;; amdgpu-corpus repo=ROCm/rccl kind=compiled arch=gfx1030 opt=O3
	.amdgcn_target "amdgcn-amd-amdhsa--gfx1030"
	.amdhsa_code_object_version 6
	.text
	.p2align	2                               ; -- Begin function __ockl_fprintf_append_string_n
	.type	__ockl_fprintf_append_string_n,@function
__ockl_fprintf_append_string_n:         ; @__ockl_fprintf_append_string_n
; %bb.0:
	s_waitcnt vmcnt(0) expcnt(0) lgkmcnt(0)
	v_or_b32_e32 v2, 2, v0
	v_cmp_eq_u32_e32 vcc_lo, 0, v6
	v_mbcnt_lo_u32_b32 v35, -1, 0
	s_getpc_b64 s[4:5]
	s_add_u32 s4, s4, .str.3@rel32@lo+4
	s_addc_u32 s5, s5, .str.3@rel32@hi+12
	s_mov_b32 s14, 0
	s_cmp_lg_u64 s[4:5], 0
	v_cndmask_b32_e32 v34, v2, v0, vcc_lo
	s_cbranch_scc0 .LBB0_113
; %bb.1:
	s_load_dwordx2 s[6:7], s[8:9], 0x50
	v_and_b32_e32 v0, -3, v34
	s_getpc_b64 s[4:5]
	s_add_u32 s4, s4, .str.3@rel32@lo+4
	s_addc_u32 s5, s5, .str.3@rel32@hi+12
	v_mov_b32_e32 v11, v1
	v_mov_b32_e32 v2, s4
	v_and_b32_e32 v36, 2, v34
	v_mov_b32_e32 v7, 0
	v_mov_b32_e32 v3, s5
	;; [unrolled: 1-line block ×5, first 2 shown]
	s_mov_b32 s15, 0
	s_branch .LBB0_3
.LBB0_2:                                ;   in Loop: Header=BB0_3 Depth=1
	s_or_b32 exec_lo, exec_lo, s12
	v_sub_co_u32 v4, vcc_lo, v4, v30
	v_sub_co_ci_u32_e64 v5, null, v5, v31, vcc_lo
	v_add_co_u32 v2, s4, v2, v30
	v_add_co_ci_u32_e64 v3, null, v3, v31, s4
	v_cmp_eq_u64_e32 vcc_lo, 0, v[4:5]
	s_or_b32 s15, vcc_lo, s15
	s_andn2_b32 exec_lo, exec_lo, s15
	s_cbranch_execz .LBB0_85
.LBB0_3:                                ; =>This Loop Header: Depth=1
                                        ;     Child Loop BB0_6 Depth 2
                                        ;     Child Loop BB0_14 Depth 2
	;; [unrolled: 1-line block ×11, first 2 shown]
	v_cmp_gt_u64_e32 vcc_lo, 56, v[4:5]
	s_mov_b32 s5, exec_lo
	v_cndmask_b32_e32 v31, 0, v5, vcc_lo
	v_cndmask_b32_e32 v30, 56, v4, vcc_lo
	v_add_co_u32 v16, vcc_lo, v2, 8
	v_add_co_ci_u32_e64 v17, null, 0, v3, vcc_lo
	v_cmpx_gt_u64_e32 8, v[4:5]
	s_xor_b32 s5, exec_lo, s5
	s_cbranch_execz .LBB0_9
; %bb.4:                                ;   in Loop: Header=BB0_3 Depth=1
	s_waitcnt vmcnt(0)
	v_mov_b32_e32 v12, 0
	v_mov_b32_e32 v13, 0
	s_mov_b32 s12, exec_lo
	v_cmpx_ne_u64_e32 0, v[4:5]
	s_cbranch_execz .LBB0_8
; %bb.5:                                ;   in Loop: Header=BB0_3 Depth=1
	v_lshlrev_b64 v[14:15], 3, v[30:31]
	v_mov_b32_e32 v12, 0
	v_mov_b32_e32 v16, v3
	;; [unrolled: 1-line block ×4, first 2 shown]
	s_mov_b64 s[10:11], 0
	s_mov_b32 s13, 0
	.p2align	6
.LBB0_6:                                ;   Parent Loop BB0_3 Depth=1
                                        ; =>  This Inner Loop Header: Depth=2
	global_load_ubyte v0, v[15:16], off
	v_mov_b32_e32 v18, s14
	v_add_co_u32 v15, vcc_lo, v15, 1
	v_add_co_ci_u32_e64 v16, null, 0, v16, vcc_lo
	s_waitcnt vmcnt(0)
	v_and_b32_e32 v17, 0xffff, v0
	v_lshlrev_b64 v[17:18], s10, v[17:18]
	s_add_u32 s10, s10, 8
	s_addc_u32 s11, s11, 0
	v_cmp_eq_u32_e64 s4, s10, v14
	v_or_b32_e32 v13, v18, v13
	v_or_b32_e32 v12, v17, v12
	s_or_b32 s13, s4, s13
	s_andn2_b32 exec_lo, exec_lo, s13
	s_cbranch_execnz .LBB0_6
; %bb.7:                                ;   in Loop: Header=BB0_3 Depth=1
	s_or_b32 exec_lo, exec_lo, s13
.LBB0_8:                                ;   in Loop: Header=BB0_3 Depth=1
	s_or_b32 exec_lo, exec_lo, s12
	v_mov_b32_e32 v17, v3
	v_mov_b32_e32 v16, v2
.LBB0_9:                                ;   in Loop: Header=BB0_3 Depth=1
	s_or_saveexec_b32 s4, s5
	v_mov_b32_e32 v0, 0
	s_xor_b32 exec_lo, exec_lo, s4
	s_cbranch_execz .LBB0_11
; %bb.10:                               ;   in Loop: Header=BB0_3 Depth=1
	global_load_dwordx2 v[12:13], v[2:3], off
	v_add_nc_u32_e32 v0, -8, v30
.LBB0_11:                               ;   in Loop: Header=BB0_3 Depth=1
	s_or_b32 exec_lo, exec_lo, s4
	v_add_co_u32 v18, s4, v16, 8
	v_add_co_ci_u32_e64 v19, null, 0, v17, s4
                                        ; implicit-def: $vgpr14_vgpr15
	s_mov_b32 s4, exec_lo
	v_cmpx_gt_u32_e32 8, v0
	s_xor_b32 s12, exec_lo, s4
	s_cbranch_execz .LBB0_17
; %bb.12:                               ;   in Loop: Header=BB0_3 Depth=1
	v_mov_b32_e32 v14, 0
	v_mov_b32_e32 v15, 0
	s_mov_b32 s13, exec_lo
	v_cmpx_ne_u32_e32 0, v0
	s_cbranch_execz .LBB0_16
; %bb.13:                               ;   in Loop: Header=BB0_3 Depth=1
	v_mov_b32_e32 v14, 0
	v_mov_b32_e32 v15, 0
	s_mov_b64 s[4:5], 0
	s_mov_b32 s16, 0
	s_mov_b64 s[10:11], 0
	.p2align	6
.LBB0_14:                               ;   Parent Loop BB0_3 Depth=1
                                        ; =>  This Inner Loop Header: Depth=2
	v_add_co_u32 v18, vcc_lo, v16, s10
	v_add_co_ci_u32_e64 v19, null, s11, v17, vcc_lo
	s_add_u32 s10, s10, 1
	s_addc_u32 s11, s11, 0
	v_cmp_eq_u32_e32 vcc_lo, s10, v0
	global_load_ubyte v6, v[18:19], off
	v_mov_b32_e32 v19, s14
	s_waitcnt vmcnt(0)
	v_and_b32_e32 v18, 0xffff, v6
	v_lshlrev_b64 v[18:19], s4, v[18:19]
	s_add_u32 s4, s4, 8
	s_addc_u32 s5, s5, 0
	s_or_b32 s16, vcc_lo, s16
	v_or_b32_e32 v15, v19, v15
	v_or_b32_e32 v14, v18, v14
	s_andn2_b32 exec_lo, exec_lo, s16
	s_cbranch_execnz .LBB0_14
; %bb.15:                               ;   in Loop: Header=BB0_3 Depth=1
	s_or_b32 exec_lo, exec_lo, s16
.LBB0_16:                               ;   in Loop: Header=BB0_3 Depth=1
	s_or_b32 exec_lo, exec_lo, s13
	v_mov_b32_e32 v19, v17
	v_mov_b32_e32 v18, v16
                                        ; implicit-def: $vgpr0
.LBB0_17:                               ;   in Loop: Header=BB0_3 Depth=1
	s_or_saveexec_b32 s4, s12
	v_mov_b32_e32 v6, 0
	s_xor_b32 exec_lo, exec_lo, s4
	s_cbranch_execz .LBB0_19
; %bb.18:                               ;   in Loop: Header=BB0_3 Depth=1
	global_load_dwordx2 v[14:15], v[16:17], off
	v_add_nc_u32_e32 v6, -8, v0
.LBB0_19:                               ;   in Loop: Header=BB0_3 Depth=1
	s_or_b32 exec_lo, exec_lo, s4
	v_add_co_u32 v20, s4, v18, 8
	v_add_co_ci_u32_e64 v21, null, 0, v19, s4
	s_mov_b32 s4, exec_lo
	v_cmpx_gt_u32_e32 8, v6
	s_xor_b32 s12, exec_lo, s4
	s_cbranch_execz .LBB0_25
; %bb.20:                               ;   in Loop: Header=BB0_3 Depth=1
	v_mov_b32_e32 v16, 0
	v_mov_b32_e32 v17, 0
	s_mov_b32 s13, exec_lo
	v_cmpx_ne_u32_e32 0, v6
	s_cbranch_execz .LBB0_24
; %bb.21:                               ;   in Loop: Header=BB0_3 Depth=1
	v_mov_b32_e32 v16, 0
	v_mov_b32_e32 v17, 0
	s_mov_b64 s[4:5], 0
	s_mov_b32 s16, 0
	s_mov_b64 s[10:11], 0
	.p2align	6
.LBB0_22:                               ;   Parent Loop BB0_3 Depth=1
                                        ; =>  This Inner Loop Header: Depth=2
	v_add_co_u32 v20, vcc_lo, v18, s10
	v_add_co_ci_u32_e64 v21, null, s11, v19, vcc_lo
	s_add_u32 s10, s10, 1
	s_addc_u32 s11, s11, 0
	v_cmp_eq_u32_e32 vcc_lo, s10, v6
	global_load_ubyte v0, v[20:21], off
	v_mov_b32_e32 v21, s14
	s_waitcnt vmcnt(0)
	v_and_b32_e32 v20, 0xffff, v0
	v_lshlrev_b64 v[20:21], s4, v[20:21]
	s_add_u32 s4, s4, 8
	s_addc_u32 s5, s5, 0
	s_or_b32 s16, vcc_lo, s16
	v_or_b32_e32 v17, v21, v17
	v_or_b32_e32 v16, v20, v16
	s_andn2_b32 exec_lo, exec_lo, s16
	s_cbranch_execnz .LBB0_22
; %bb.23:                               ;   in Loop: Header=BB0_3 Depth=1
	s_or_b32 exec_lo, exec_lo, s16
.LBB0_24:                               ;   in Loop: Header=BB0_3 Depth=1
	s_or_b32 exec_lo, exec_lo, s13
	v_mov_b32_e32 v21, v19
	v_mov_b32_e32 v20, v18
                                        ; implicit-def: $vgpr6
.LBB0_25:                               ;   in Loop: Header=BB0_3 Depth=1
	s_or_saveexec_b32 s4, s12
	v_mov_b32_e32 v0, 0
	s_xor_b32 exec_lo, exec_lo, s4
	s_cbranch_execz .LBB0_27
; %bb.26:                               ;   in Loop: Header=BB0_3 Depth=1
	global_load_dwordx2 v[16:17], v[18:19], off
	v_add_nc_u32_e32 v0, -8, v6
.LBB0_27:                               ;   in Loop: Header=BB0_3 Depth=1
	s_or_b32 exec_lo, exec_lo, s4
	v_add_co_u32 v22, s4, v20, 8
	v_add_co_ci_u32_e64 v23, null, 0, v21, s4
                                        ; implicit-def: $vgpr18_vgpr19
	s_mov_b32 s4, exec_lo
	v_cmpx_gt_u32_e32 8, v0
	s_xor_b32 s12, exec_lo, s4
	s_cbranch_execz .LBB0_33
; %bb.28:                               ;   in Loop: Header=BB0_3 Depth=1
	v_mov_b32_e32 v18, 0
	v_mov_b32_e32 v19, 0
	s_mov_b32 s13, exec_lo
	v_cmpx_ne_u32_e32 0, v0
	s_cbranch_execz .LBB0_32
; %bb.29:                               ;   in Loop: Header=BB0_3 Depth=1
	v_mov_b32_e32 v18, 0
	v_mov_b32_e32 v19, 0
	s_mov_b64 s[4:5], 0
	s_mov_b32 s16, 0
	s_mov_b64 s[10:11], 0
	.p2align	6
.LBB0_30:                               ;   Parent Loop BB0_3 Depth=1
                                        ; =>  This Inner Loop Header: Depth=2
	v_add_co_u32 v22, vcc_lo, v20, s10
	v_add_co_ci_u32_e64 v23, null, s11, v21, vcc_lo
	s_add_u32 s10, s10, 1
	s_addc_u32 s11, s11, 0
	v_cmp_eq_u32_e32 vcc_lo, s10, v0
	global_load_ubyte v6, v[22:23], off
	v_mov_b32_e32 v23, s14
	s_waitcnt vmcnt(0)
	v_and_b32_e32 v22, 0xffff, v6
	v_lshlrev_b64 v[22:23], s4, v[22:23]
	s_add_u32 s4, s4, 8
	s_addc_u32 s5, s5, 0
	s_or_b32 s16, vcc_lo, s16
	v_or_b32_e32 v19, v23, v19
	v_or_b32_e32 v18, v22, v18
	s_andn2_b32 exec_lo, exec_lo, s16
	s_cbranch_execnz .LBB0_30
; %bb.31:                               ;   in Loop: Header=BB0_3 Depth=1
	s_or_b32 exec_lo, exec_lo, s16
.LBB0_32:                               ;   in Loop: Header=BB0_3 Depth=1
	s_or_b32 exec_lo, exec_lo, s13
	v_mov_b32_e32 v23, v21
	v_mov_b32_e32 v22, v20
                                        ; implicit-def: $vgpr0
.LBB0_33:                               ;   in Loop: Header=BB0_3 Depth=1
	s_or_saveexec_b32 s4, s12
	v_mov_b32_e32 v6, 0
	s_xor_b32 exec_lo, exec_lo, s4
	s_cbranch_execz .LBB0_35
; %bb.34:                               ;   in Loop: Header=BB0_3 Depth=1
	global_load_dwordx2 v[18:19], v[20:21], off
	v_add_nc_u32_e32 v6, -8, v0
.LBB0_35:                               ;   in Loop: Header=BB0_3 Depth=1
	s_or_b32 exec_lo, exec_lo, s4
	v_add_co_u32 v24, s4, v22, 8
	v_add_co_ci_u32_e64 v25, null, 0, v23, s4
	s_mov_b32 s4, exec_lo
	v_cmpx_gt_u32_e32 8, v6
	s_xor_b32 s12, exec_lo, s4
	s_cbranch_execz .LBB0_41
; %bb.36:                               ;   in Loop: Header=BB0_3 Depth=1
	v_mov_b32_e32 v20, 0
	v_mov_b32_e32 v21, 0
	s_mov_b32 s13, exec_lo
	v_cmpx_ne_u32_e32 0, v6
	s_cbranch_execz .LBB0_40
; %bb.37:                               ;   in Loop: Header=BB0_3 Depth=1
	v_mov_b32_e32 v20, 0
	v_mov_b32_e32 v21, 0
	s_mov_b64 s[4:5], 0
	s_mov_b32 s16, 0
	s_mov_b64 s[10:11], 0
	.p2align	6
.LBB0_38:                               ;   Parent Loop BB0_3 Depth=1
                                        ; =>  This Inner Loop Header: Depth=2
	v_add_co_u32 v24, vcc_lo, v22, s10
	v_add_co_ci_u32_e64 v25, null, s11, v23, vcc_lo
	s_add_u32 s10, s10, 1
	s_addc_u32 s11, s11, 0
	v_cmp_eq_u32_e32 vcc_lo, s10, v6
	global_load_ubyte v0, v[24:25], off
	v_mov_b32_e32 v25, s14
	s_waitcnt vmcnt(0)
	v_and_b32_e32 v24, 0xffff, v0
	v_lshlrev_b64 v[24:25], s4, v[24:25]
	s_add_u32 s4, s4, 8
	s_addc_u32 s5, s5, 0
	s_or_b32 s16, vcc_lo, s16
	v_or_b32_e32 v21, v25, v21
	v_or_b32_e32 v20, v24, v20
	s_andn2_b32 exec_lo, exec_lo, s16
	s_cbranch_execnz .LBB0_38
; %bb.39:                               ;   in Loop: Header=BB0_3 Depth=1
	s_or_b32 exec_lo, exec_lo, s16
.LBB0_40:                               ;   in Loop: Header=BB0_3 Depth=1
	s_or_b32 exec_lo, exec_lo, s13
	v_mov_b32_e32 v25, v23
	v_mov_b32_e32 v24, v22
                                        ; implicit-def: $vgpr6
.LBB0_41:                               ;   in Loop: Header=BB0_3 Depth=1
	s_or_saveexec_b32 s4, s12
	v_mov_b32_e32 v0, 0
	s_xor_b32 exec_lo, exec_lo, s4
	s_cbranch_execz .LBB0_43
; %bb.42:                               ;   in Loop: Header=BB0_3 Depth=1
	global_load_dwordx2 v[20:21], v[22:23], off
	v_add_nc_u32_e32 v0, -8, v6
.LBB0_43:                               ;   in Loop: Header=BB0_3 Depth=1
	s_or_b32 exec_lo, exec_lo, s4
	v_add_co_u32 v26, s4, v24, 8
	v_add_co_ci_u32_e64 v27, null, 0, v25, s4
                                        ; implicit-def: $vgpr22_vgpr23
	s_mov_b32 s4, exec_lo
	v_cmpx_gt_u32_e32 8, v0
	s_xor_b32 s12, exec_lo, s4
	s_cbranch_execz .LBB0_49
; %bb.44:                               ;   in Loop: Header=BB0_3 Depth=1
	v_mov_b32_e32 v22, 0
	v_mov_b32_e32 v23, 0
	s_mov_b32 s13, exec_lo
	v_cmpx_ne_u32_e32 0, v0
	s_cbranch_execz .LBB0_48
; %bb.45:                               ;   in Loop: Header=BB0_3 Depth=1
	v_mov_b32_e32 v22, 0
	v_mov_b32_e32 v23, 0
	s_mov_b64 s[4:5], 0
	s_mov_b32 s16, 0
	s_mov_b64 s[10:11], 0
	.p2align	6
.LBB0_46:                               ;   Parent Loop BB0_3 Depth=1
                                        ; =>  This Inner Loop Header: Depth=2
	v_add_co_u32 v26, vcc_lo, v24, s10
	v_add_co_ci_u32_e64 v27, null, s11, v25, vcc_lo
	s_add_u32 s10, s10, 1
	s_addc_u32 s11, s11, 0
	v_cmp_eq_u32_e32 vcc_lo, s10, v0
	global_load_ubyte v6, v[26:27], off
	v_mov_b32_e32 v27, s14
	s_waitcnt vmcnt(0)
	v_and_b32_e32 v26, 0xffff, v6
	v_lshlrev_b64 v[26:27], s4, v[26:27]
	s_add_u32 s4, s4, 8
	s_addc_u32 s5, s5, 0
	s_or_b32 s16, vcc_lo, s16
	v_or_b32_e32 v23, v27, v23
	v_or_b32_e32 v22, v26, v22
	s_andn2_b32 exec_lo, exec_lo, s16
	s_cbranch_execnz .LBB0_46
; %bb.47:                               ;   in Loop: Header=BB0_3 Depth=1
	s_or_b32 exec_lo, exec_lo, s16
.LBB0_48:                               ;   in Loop: Header=BB0_3 Depth=1
	s_or_b32 exec_lo, exec_lo, s13
	v_mov_b32_e32 v27, v25
	v_mov_b32_e32 v26, v24
                                        ; implicit-def: $vgpr0
.LBB0_49:                               ;   in Loop: Header=BB0_3 Depth=1
	s_or_saveexec_b32 s4, s12
	v_mov_b32_e32 v6, 0
	s_xor_b32 exec_lo, exec_lo, s4
	s_cbranch_execz .LBB0_51
; %bb.50:                               ;   in Loop: Header=BB0_3 Depth=1
	global_load_dwordx2 v[22:23], v[24:25], off
	v_add_nc_u32_e32 v6, -8, v0
.LBB0_51:                               ;   in Loop: Header=BB0_3 Depth=1
	s_or_b32 exec_lo, exec_lo, s4
	s_mov_b32 s4, exec_lo
	v_cmpx_gt_u32_e32 8, v6
	s_xor_b32 s10, exec_lo, s4
	s_cbranch_execz .LBB0_57
; %bb.52:                               ;   in Loop: Header=BB0_3 Depth=1
	v_mov_b32_e32 v24, 0
	v_mov_b32_e32 v25, 0
	s_mov_b32 s11, exec_lo
	v_cmpx_ne_u32_e32 0, v6
	s_cbranch_execz .LBB0_56
; %bb.53:                               ;   in Loop: Header=BB0_3 Depth=1
	v_mov_b32_e32 v24, 0
	v_mov_b32_e32 v25, 0
	s_mov_b64 s[4:5], 0
	s_mov_b32 s12, 0
	.p2align	6
.LBB0_54:                               ;   Parent Loop BB0_3 Depth=1
                                        ; =>  This Inner Loop Header: Depth=2
	global_load_ubyte v0, v[26:27], off
	v_mov_b32_e32 v29, s14
	v_add_nc_u32_e32 v6, -1, v6
	v_add_co_u32 v26, vcc_lo, v26, 1
	v_add_co_ci_u32_e64 v27, null, 0, v27, vcc_lo
	v_cmp_eq_u32_e32 vcc_lo, 0, v6
	s_waitcnt vmcnt(0)
	v_and_b32_e32 v28, 0xffff, v0
	v_lshlrev_b64 v[28:29], s4, v[28:29]
	s_add_u32 s4, s4, 8
	s_addc_u32 s5, s5, 0
	s_or_b32 s12, vcc_lo, s12
	v_or_b32_e32 v25, v29, v25
	v_or_b32_e32 v24, v28, v24
	s_andn2_b32 exec_lo, exec_lo, s12
	s_cbranch_execnz .LBB0_54
; %bb.55:                               ;   in Loop: Header=BB0_3 Depth=1
	s_or_b32 exec_lo, exec_lo, s12
.LBB0_56:                               ;   in Loop: Header=BB0_3 Depth=1
	s_or_b32 exec_lo, exec_lo, s11
                                        ; implicit-def: $vgpr26_vgpr27
.LBB0_57:                               ;   in Loop: Header=BB0_3 Depth=1
	s_andn2_saveexec_b32 s4, s10
	s_cbranch_execz .LBB0_59
; %bb.58:                               ;   in Loop: Header=BB0_3 Depth=1
	global_load_dwordx2 v[24:25], v[26:27], off
.LBB0_59:                               ;   in Loop: Header=BB0_3 Depth=1
	s_or_b32 exec_lo, exec_lo, s4
	v_readfirstlane_b32 s4, v35
	v_mov_b32_e32 v32, 0
	v_mov_b32_e32 v33, 0
	v_cmp_eq_u32_e64 s4, s4, v35
	s_and_saveexec_b32 s5, s4
	s_cbranch_execz .LBB0_65
; %bb.60:                               ;   in Loop: Header=BB0_3 Depth=1
	s_waitcnt lgkmcnt(0)
	global_load_dwordx2 v[28:29], v7, s[6:7] offset:24 glc dlc
	s_waitcnt vmcnt(0)
	buffer_gl1_inv
	buffer_gl0_inv
	s_clause 0x1
	global_load_dwordx2 v[26:27], v7, s[6:7] offset:40
	global_load_dwordx2 v[32:33], v7, s[6:7]
	s_mov_b32 s10, exec_lo
	s_waitcnt vmcnt(1)
	v_and_b32_e32 v0, v27, v29
	v_and_b32_e32 v6, v26, v28
	v_mul_lo_u32 v0, v0, 24
	v_mul_hi_u32 v26, v6, 24
	v_mul_lo_u32 v6, v6, 24
	v_add_nc_u32_e32 v0, v26, v0
	s_waitcnt vmcnt(0)
	v_add_co_u32 v26, vcc_lo, v32, v6
	v_add_co_ci_u32_e64 v27, null, v33, v0, vcc_lo
	global_load_dwordx2 v[26:27], v[26:27], off glc dlc
	s_waitcnt vmcnt(0)
	global_atomic_cmpswap_x2 v[32:33], v7, v[26:29], s[6:7] offset:24 glc
	s_waitcnt vmcnt(0)
	buffer_gl1_inv
	buffer_gl0_inv
	v_cmpx_ne_u64_e64 v[32:33], v[28:29]
	s_cbranch_execz .LBB0_64
; %bb.61:                               ;   in Loop: Header=BB0_3 Depth=1
	s_mov_b32 s11, 0
	.p2align	6
.LBB0_62:                               ;   Parent Loop BB0_3 Depth=1
                                        ; =>  This Inner Loop Header: Depth=2
	s_sleep 1
	s_clause 0x1
	global_load_dwordx2 v[26:27], v7, s[6:7] offset:40
	global_load_dwordx2 v[37:38], v7, s[6:7]
	v_mov_b32_e32 v28, v32
	v_mov_b32_e32 v29, v33
	s_waitcnt vmcnt(1)
	v_and_b32_e32 v0, v26, v28
	v_and_b32_e32 v6, v27, v29
	s_waitcnt vmcnt(0)
	v_mad_u64_u32 v[32:33], null, v0, 24, v[37:38]
	v_mov_b32_e32 v0, v33
	v_mad_u64_u32 v[26:27], null, v6, 24, v[0:1]
	v_mov_b32_e32 v33, v26
	global_load_dwordx2 v[26:27], v[32:33], off glc dlc
	s_waitcnt vmcnt(0)
	global_atomic_cmpswap_x2 v[32:33], v7, v[26:29], s[6:7] offset:24 glc
	s_waitcnt vmcnt(0)
	buffer_gl1_inv
	buffer_gl0_inv
	v_cmp_eq_u64_e32 vcc_lo, v[32:33], v[28:29]
	s_or_b32 s11, vcc_lo, s11
	s_andn2_b32 exec_lo, exec_lo, s11
	s_cbranch_execnz .LBB0_62
; %bb.63:                               ;   in Loop: Header=BB0_3 Depth=1
	s_or_b32 exec_lo, exec_lo, s11
.LBB0_64:                               ;   in Loop: Header=BB0_3 Depth=1
	s_or_b32 exec_lo, exec_lo, s10
.LBB0_65:                               ;   in Loop: Header=BB0_3 Depth=1
	s_or_b32 exec_lo, exec_lo, s5
	s_waitcnt lgkmcnt(0)
	s_clause 0x1
	global_load_dwordx2 v[37:38], v7, s[6:7] offset:40
	global_load_dwordx4 v[26:29], v7, s[6:7]
	v_readfirstlane_b32 s11, v33
	v_readfirstlane_b32 s10, v32
	s_mov_b32 s5, exec_lo
	s_waitcnt vmcnt(1)
	v_readfirstlane_b32 s12, v37
	v_readfirstlane_b32 s13, v38
	s_and_b64 s[12:13], s[12:13], s[10:11]
	s_mul_i32 s16, s13, 24
	s_mul_hi_u32 s17, s12, 24
	s_mul_i32 s18, s12, 24
	s_add_i32 s17, s17, s16
	s_waitcnt vmcnt(0)
	v_add_co_u32 v32, vcc_lo, v26, s18
	v_add_co_ci_u32_e64 v33, null, s17, v27, vcc_lo
	s_and_saveexec_b32 s16, s4
	s_cbranch_execz .LBB0_67
; %bb.66:                               ;   in Loop: Header=BB0_3 Depth=1
	v_mov_b32_e32 v6, s5
	global_store_dwordx4 v[32:33], v[6:9], off offset:8
.LBB0_67:                               ;   in Loop: Header=BB0_3 Depth=1
	s_or_b32 exec_lo, exec_lo, s16
	v_cmp_gt_u64_e32 vcc_lo, 57, v[4:5]
	s_lshl_b64 s[12:13], s[12:13], 12
	v_and_b32_e32 v10, 0xffffff1f, v10
	v_lshl_add_u32 v37, v30, 2, 28
	v_cndmask_b32_e32 v6, 0, v36, vcc_lo
	v_add_co_u32 v0, vcc_lo, v28, s12
	v_add_co_ci_u32_e64 v28, null, s13, v29, vcc_lo
	v_or_b32_e32 v6, v10, v6
	v_lshlrev_b32_e32 v29, 6, v35
	v_readfirstlane_b32 s12, v0
	v_readfirstlane_b32 s13, v28
	v_and_or_b32 v10, 0x1e0, v37, v6
	global_store_dwordx4 v29, v[14:17], s[12:13] offset:16
	global_store_dwordx4 v29, v[10:13], s[12:13]
	global_store_dwordx4 v29, v[18:21], s[12:13] offset:32
	global_store_dwordx4 v29, v[22:25], s[12:13] offset:48
	s_and_saveexec_b32 s5, s4
	s_cbranch_execz .LBB0_75
; %bb.68:                               ;   in Loop: Header=BB0_3 Depth=1
	s_clause 0x1
	global_load_dwordx2 v[18:19], v7, s[6:7] offset:32 glc dlc
	global_load_dwordx2 v[10:11], v7, s[6:7] offset:40
	v_mov_b32_e32 v16, s10
	v_mov_b32_e32 v17, s11
	s_waitcnt vmcnt(0)
	v_readfirstlane_b32 s12, v10
	v_readfirstlane_b32 s13, v11
	s_and_b64 s[12:13], s[12:13], s[10:11]
	s_mul_i32 s13, s13, 24
	s_mul_hi_u32 s16, s12, 24
	s_mul_i32 s12, s12, 24
	s_add_i32 s16, s16, s13
	v_add_co_u32 v14, vcc_lo, v26, s12
	v_add_co_ci_u32_e64 v15, null, s16, v27, vcc_lo
	s_mov_b32 s12, exec_lo
	global_store_dwordx2 v[14:15], v[18:19], off
	s_waitcnt_vscnt null, 0x0
	global_atomic_cmpswap_x2 v[12:13], v7, v[16:19], s[6:7] offset:32 glc
	s_waitcnt vmcnt(0)
	v_cmpx_ne_u64_e64 v[12:13], v[18:19]
	s_cbranch_execz .LBB0_71
; %bb.69:                               ;   in Loop: Header=BB0_3 Depth=1
	s_mov_b32 s13, 0
.LBB0_70:                               ;   Parent Loop BB0_3 Depth=1
                                        ; =>  This Inner Loop Header: Depth=2
	v_mov_b32_e32 v10, s10
	v_mov_b32_e32 v11, s11
	s_sleep 1
	global_store_dwordx2 v[14:15], v[12:13], off
	s_waitcnt_vscnt null, 0x0
	global_atomic_cmpswap_x2 v[10:11], v7, v[10:13], s[6:7] offset:32 glc
	s_waitcnt vmcnt(0)
	v_cmp_eq_u64_e32 vcc_lo, v[10:11], v[12:13]
	v_mov_b32_e32 v13, v11
	v_mov_b32_e32 v12, v10
	s_or_b32 s13, vcc_lo, s13
	s_andn2_b32 exec_lo, exec_lo, s13
	s_cbranch_execnz .LBB0_70
.LBB0_71:                               ;   in Loop: Header=BB0_3 Depth=1
	s_or_b32 exec_lo, exec_lo, s12
	global_load_dwordx2 v[10:11], v7, s[6:7] offset:16
	s_mov_b32 s13, exec_lo
	s_mov_b32 s12, exec_lo
	v_mbcnt_lo_u32_b32 v6, s13, 0
	v_cmpx_eq_u32_e32 0, v6
	s_cbranch_execz .LBB0_73
; %bb.72:                               ;   in Loop: Header=BB0_3 Depth=1
	s_bcnt1_i32_b32 s13, s13
	v_mov_b32_e32 v6, s13
	s_waitcnt vmcnt(0)
	global_atomic_add_x2 v[10:11], v[6:7], off offset:8
.LBB0_73:                               ;   in Loop: Header=BB0_3 Depth=1
	s_or_b32 exec_lo, exec_lo, s12
	s_waitcnt vmcnt(0)
	global_load_dwordx2 v[12:13], v[10:11], off offset:16
	s_waitcnt vmcnt(0)
	v_cmp_eq_u64_e32 vcc_lo, 0, v[12:13]
	s_cbranch_vccnz .LBB0_75
; %bb.74:                               ;   in Loop: Header=BB0_3 Depth=1
	global_load_dword v6, v[10:11], off offset:24
	s_waitcnt vmcnt(0)
	v_readfirstlane_b32 s12, v6
	s_waitcnt_vscnt null, 0x0
	global_store_dwordx2 v[12:13], v[6:7], off
	s_and_b32 m0, s12, 0x7fffff
	s_sendmsg sendmsg(MSG_INTERRUPT)
.LBB0_75:                               ;   in Loop: Header=BB0_3 Depth=1
	s_or_b32 exec_lo, exec_lo, s5
	v_add_co_u32 v10, vcc_lo, v0, v29
	v_add_co_ci_u32_e64 v11, null, 0, v28, vcc_lo
	s_branch .LBB0_79
	.p2align	6
.LBB0_76:                               ;   in Loop: Header=BB0_79 Depth=2
	s_or_b32 exec_lo, exec_lo, s5
	v_readfirstlane_b32 s5, v0
	s_cmp_eq_u32 s5, 0
	s_cbranch_scc1 .LBB0_78
; %bb.77:                               ;   in Loop: Header=BB0_79 Depth=2
	s_sleep 1
	s_cbranch_execnz .LBB0_79
	s_branch .LBB0_81
	.p2align	6
.LBB0_78:                               ;   in Loop: Header=BB0_3 Depth=1
	s_branch .LBB0_81
.LBB0_79:                               ;   Parent Loop BB0_3 Depth=1
                                        ; =>  This Inner Loop Header: Depth=2
	v_mov_b32_e32 v0, 1
	s_and_saveexec_b32 s5, s4
	s_cbranch_execz .LBB0_76
; %bb.80:                               ;   in Loop: Header=BB0_79 Depth=2
	global_load_dword v0, v[32:33], off offset:20 glc dlc
	s_waitcnt vmcnt(0)
	buffer_gl1_inv
	buffer_gl0_inv
	v_and_b32_e32 v0, 1, v0
	s_branch .LBB0_76
.LBB0_81:                               ;   in Loop: Header=BB0_3 Depth=1
	global_load_dwordx4 v[10:13], v[10:11], off
	s_and_saveexec_b32 s12, s4
	s_cbranch_execz .LBB0_2
; %bb.82:                               ;   in Loop: Header=BB0_3 Depth=1
	s_clause 0x2
	global_load_dwordx2 v[12:13], v7, s[6:7] offset:40
	global_load_dwordx2 v[20:21], v7, s[6:7] offset:24 glc dlc
	global_load_dwordx2 v[14:15], v7, s[6:7]
	s_waitcnt vmcnt(2)
	v_readfirstlane_b32 s16, v12
	v_readfirstlane_b32 s17, v13
	s_add_u32 s13, s16, 1
	s_addc_u32 s18, s17, 0
	s_add_u32 s4, s13, s10
	s_addc_u32 s5, s18, s11
	s_cmp_eq_u64 s[4:5], 0
	s_cselect_b32 s5, s18, s5
	s_cselect_b32 s4, s13, s4
	v_mov_b32_e32 v19, s5
	s_and_b64 s[10:11], s[4:5], s[16:17]
	v_mov_b32_e32 v18, s4
	s_mul_i32 s11, s11, 24
	s_mul_hi_u32 s13, s10, 24
	s_mul_i32 s10, s10, 24
	s_add_i32 s13, s13, s11
	s_waitcnt vmcnt(0)
	v_add_co_u32 v16, vcc_lo, v14, s10
	v_add_co_ci_u32_e64 v17, null, s13, v15, vcc_lo
	global_store_dwordx2 v[16:17], v[20:21], off
	s_waitcnt_vscnt null, 0x0
	global_atomic_cmpswap_x2 v[14:15], v7, v[18:21], s[6:7] offset:24 glc
	s_waitcnt vmcnt(0)
	v_cmp_ne_u64_e32 vcc_lo, v[14:15], v[20:21]
	s_and_b32 exec_lo, exec_lo, vcc_lo
	s_cbranch_execz .LBB0_2
; %bb.83:                               ;   in Loop: Header=BB0_3 Depth=1
	s_mov_b32 s10, 0
.LBB0_84:                               ;   Parent Loop BB0_3 Depth=1
                                        ; =>  This Inner Loop Header: Depth=2
	v_mov_b32_e32 v12, s4
	v_mov_b32_e32 v13, s5
	s_sleep 1
	global_store_dwordx2 v[16:17], v[14:15], off
	s_waitcnt_vscnt null, 0x0
	global_atomic_cmpswap_x2 v[12:13], v7, v[12:15], s[6:7] offset:24 glc
	s_waitcnt vmcnt(0)
	v_cmp_eq_u64_e32 vcc_lo, v[12:13], v[14:15]
	v_mov_b32_e32 v15, v13
	v_mov_b32_e32 v14, v12
	s_or_b32 s10, vcc_lo, s10
	s_andn2_b32 exec_lo, exec_lo, s10
	s_cbranch_execnz .LBB0_84
	s_branch .LBB0_2
.LBB0_85:
	s_or_b32 exec_lo, exec_lo, s15
	s_branch .LBB0_114
.LBB0_86:
	s_load_dwordx2 s[6:7], s[8:9], 0x50
	v_readfirstlane_b32 s4, v35
	v_mov_b32_e32 v8, 0
	v_mov_b32_e32 v9, 0
	v_cmp_eq_u32_e64 s4, s4, v35
	s_and_saveexec_b32 s5, s4
	s_cbranch_execz .LBB0_92
; %bb.87:
	v_mov_b32_e32 v0, 0
	s_mov_b32 s8, exec_lo
	s_waitcnt lgkmcnt(0)
	global_load_dwordx2 v[4:5], v0, s[6:7] offset:24 glc dlc
	s_waitcnt vmcnt(0)
	buffer_gl1_inv
	buffer_gl0_inv
	s_clause 0x1
	global_load_dwordx2 v[2:3], v0, s[6:7] offset:40
	global_load_dwordx2 v[6:7], v0, s[6:7]
	s_waitcnt vmcnt(1)
	v_and_b32_e32 v3, v3, v5
	v_and_b32_e32 v2, v2, v4
	v_mul_lo_u32 v3, v3, 24
	v_mul_hi_u32 v8, v2, 24
	v_mul_lo_u32 v2, v2, 24
	v_add_nc_u32_e32 v3, v8, v3
	s_waitcnt vmcnt(0)
	v_add_co_u32 v2, vcc_lo, v6, v2
	v_add_co_ci_u32_e64 v3, null, v7, v3, vcc_lo
	global_load_dwordx2 v[2:3], v[2:3], off glc dlc
	s_waitcnt vmcnt(0)
	global_atomic_cmpswap_x2 v[8:9], v0, v[2:5], s[6:7] offset:24 glc
	s_waitcnt vmcnt(0)
	buffer_gl1_inv
	buffer_gl0_inv
	v_cmpx_ne_u64_e64 v[8:9], v[4:5]
	s_cbranch_execz .LBB0_91
; %bb.88:
	s_mov_b32 s9, 0
	.p2align	6
.LBB0_89:                               ; =>This Inner Loop Header: Depth=1
	s_sleep 1
	s_clause 0x1
	global_load_dwordx2 v[2:3], v0, s[6:7] offset:40
	global_load_dwordx2 v[6:7], v0, s[6:7]
	v_mov_b32_e32 v4, v8
	v_mov_b32_e32 v5, v9
	s_waitcnt vmcnt(1)
	v_and_b32_e32 v2, v2, v4
	v_and_b32_e32 v3, v3, v5
	s_waitcnt vmcnt(0)
	v_mad_u64_u32 v[6:7], null, v2, 24, v[6:7]
	v_mov_b32_e32 v2, v7
	v_mad_u64_u32 v[2:3], null, v3, 24, v[2:3]
	v_mov_b32_e32 v7, v2
	global_load_dwordx2 v[2:3], v[6:7], off glc dlc
	s_waitcnt vmcnt(0)
	global_atomic_cmpswap_x2 v[8:9], v0, v[2:5], s[6:7] offset:24 glc
	s_waitcnt vmcnt(0)
	buffer_gl1_inv
	buffer_gl0_inv
	v_cmp_eq_u64_e32 vcc_lo, v[8:9], v[4:5]
	s_or_b32 s9, vcc_lo, s9
	s_andn2_b32 exec_lo, exec_lo, s9
	s_cbranch_execnz .LBB0_89
; %bb.90:
	s_or_b32 exec_lo, exec_lo, s9
.LBB0_91:
	s_or_b32 exec_lo, exec_lo, s8
.LBB0_92:
	s_or_b32 exec_lo, exec_lo, s5
	v_mov_b32_e32 v2, 0
	v_readfirstlane_b32 s9, v9
	v_readfirstlane_b32 s8, v8
	s_mov_b32 s5, exec_lo
	s_waitcnt lgkmcnt(0)
	s_clause 0x1
	global_load_dwordx2 v[10:11], v2, s[6:7] offset:40
	global_load_dwordx4 v[4:7], v2, s[6:7]
	s_waitcnt vmcnt(1)
	v_readfirstlane_b32 s10, v10
	v_readfirstlane_b32 s11, v11
	s_and_b64 s[10:11], s[10:11], s[8:9]
	s_mul_i32 s12, s11, 24
	s_mul_hi_u32 s13, s10, 24
	s_mul_i32 s14, s10, 24
	s_add_i32 s13, s13, s12
	s_waitcnt vmcnt(0)
	v_add_co_u32 v8, vcc_lo, v4, s14
	v_add_co_ci_u32_e64 v9, null, s13, v5, vcc_lo
	s_and_saveexec_b32 s12, s4
	s_cbranch_execz .LBB0_94
; %bb.93:
	v_mov_b32_e32 v10, s5
	v_mov_b32_e32 v11, v2
	v_mov_b32_e32 v12, 2
	v_mov_b32_e32 v13, 1
	global_store_dwordx4 v[8:9], v[10:13], off offset:8
.LBB0_94:
	s_or_b32 exec_lo, exec_lo, s12
	s_lshl_b64 s[10:11], s[10:11], 12
	s_mov_b32 s12, 0
	v_add_co_u32 v6, vcc_lo, v6, s10
	v_add_co_ci_u32_e64 v7, null, s11, v7, vcc_lo
	s_mov_b32 s13, s12
	s_mov_b32 s14, s12
	;; [unrolled: 1-line block ×3, first 2 shown]
	v_and_or_b32 v0, 0xffffff1f, v34, 32
	v_lshlrev_b32_e32 v14, 6, v35
	v_mov_b32_e32 v3, v2
	v_readfirstlane_b32 s10, v6
	v_readfirstlane_b32 s11, v7
	v_mov_b32_e32 v10, s12
	v_mov_b32_e32 v11, s13
	;; [unrolled: 1-line block ×4, first 2 shown]
	global_store_dwordx4 v14, v[0:3], s[10:11]
	global_store_dwordx4 v14, v[10:13], s[10:11] offset:16
	global_store_dwordx4 v14, v[10:13], s[10:11] offset:32
	;; [unrolled: 1-line block ×3, first 2 shown]
	s_and_saveexec_b32 s5, s4
	s_cbranch_execz .LBB0_102
; %bb.95:
	v_mov_b32_e32 v6, 0
	v_mov_b32_e32 v10, s8
	;; [unrolled: 1-line block ×3, first 2 shown]
	s_mov_b32 s10, exec_lo
	s_clause 0x1
	global_load_dwordx2 v[12:13], v6, s[6:7] offset:32 glc dlc
	global_load_dwordx2 v[0:1], v6, s[6:7] offset:40
	s_waitcnt vmcnt(0)
	v_and_b32_e32 v1, s9, v1
	v_and_b32_e32 v0, s8, v0
	v_mul_lo_u32 v1, v1, 24
	v_mul_hi_u32 v2, v0, 24
	v_mul_lo_u32 v0, v0, 24
	v_add_nc_u32_e32 v1, v2, v1
	v_add_co_u32 v4, vcc_lo, v4, v0
	v_add_co_ci_u32_e64 v5, null, v5, v1, vcc_lo
	global_store_dwordx2 v[4:5], v[12:13], off
	s_waitcnt_vscnt null, 0x0
	global_atomic_cmpswap_x2 v[2:3], v6, v[10:13], s[6:7] offset:32 glc
	s_waitcnt vmcnt(0)
	v_cmpx_ne_u64_e64 v[2:3], v[12:13]
	s_cbranch_execz .LBB0_98
; %bb.96:
	s_mov_b32 s11, 0
.LBB0_97:                               ; =>This Inner Loop Header: Depth=1
	v_mov_b32_e32 v0, s8
	v_mov_b32_e32 v1, s9
	s_sleep 1
	global_store_dwordx2 v[4:5], v[2:3], off
	s_waitcnt_vscnt null, 0x0
	global_atomic_cmpswap_x2 v[0:1], v6, v[0:3], s[6:7] offset:32 glc
	s_waitcnt vmcnt(0)
	v_cmp_eq_u64_e32 vcc_lo, v[0:1], v[2:3]
	v_mov_b32_e32 v3, v1
	v_mov_b32_e32 v2, v0
	s_or_b32 s11, vcc_lo, s11
	s_andn2_b32 exec_lo, exec_lo, s11
	s_cbranch_execnz .LBB0_97
.LBB0_98:
	s_or_b32 exec_lo, exec_lo, s10
	v_mov_b32_e32 v3, 0
	s_mov_b32 s11, exec_lo
	s_mov_b32 s10, exec_lo
	v_mbcnt_lo_u32_b32 v2, s11, 0
	global_load_dwordx2 v[0:1], v3, s[6:7] offset:16
	v_cmpx_eq_u32_e32 0, v2
	s_cbranch_execz .LBB0_100
; %bb.99:
	s_bcnt1_i32_b32 s11, s11
	v_mov_b32_e32 v2, s11
	s_waitcnt vmcnt(0)
	global_atomic_add_x2 v[0:1], v[2:3], off offset:8
.LBB0_100:
	s_or_b32 exec_lo, exec_lo, s10
	s_waitcnt vmcnt(0)
	global_load_dwordx2 v[2:3], v[0:1], off offset:16
	s_waitcnt vmcnt(0)
	v_cmp_eq_u64_e32 vcc_lo, 0, v[2:3]
	s_cbranch_vccnz .LBB0_102
; %bb.101:
	global_load_dword v0, v[0:1], off offset:24
	v_mov_b32_e32 v1, 0
	s_waitcnt vmcnt(0)
	v_readfirstlane_b32 s10, v0
	s_waitcnt_vscnt null, 0x0
	global_store_dwordx2 v[2:3], v[0:1], off
	s_and_b32 m0, s10, 0x7fffff
	s_sendmsg sendmsg(MSG_INTERRUPT)
.LBB0_102:
	s_or_b32 exec_lo, exec_lo, s5
	s_branch .LBB0_106
	.p2align	6
.LBB0_103:                              ;   in Loop: Header=BB0_106 Depth=1
	s_or_b32 exec_lo, exec_lo, s5
	v_readfirstlane_b32 s5, v0
	s_cmp_eq_u32 s5, 0
	s_cbranch_scc1 .LBB0_105
; %bb.104:                              ;   in Loop: Header=BB0_106 Depth=1
	s_sleep 1
	s_cbranch_execnz .LBB0_106
	s_branch .LBB0_108
	.p2align	6
.LBB0_105:
	s_branch .LBB0_108
.LBB0_106:                              ; =>This Inner Loop Header: Depth=1
	v_mov_b32_e32 v0, 1
	s_and_saveexec_b32 s5, s4
	s_cbranch_execz .LBB0_103
; %bb.107:                              ;   in Loop: Header=BB0_106 Depth=1
	global_load_dword v0, v[8:9], off offset:20 glc dlc
	s_waitcnt vmcnt(0)
	buffer_gl1_inv
	buffer_gl0_inv
	v_and_b32_e32 v0, 1, v0
	s_branch .LBB0_103
.LBB0_108:
	s_and_saveexec_b32 s10, s4
	s_cbranch_execz .LBB0_112
; %bb.109:
	v_mov_b32_e32 v6, 0
	s_clause 0x2
	global_load_dwordx2 v[0:1], v6, s[6:7] offset:40
	global_load_dwordx2 v[9:10], v6, s[6:7] offset:24 glc dlc
	global_load_dwordx2 v[2:3], v6, s[6:7]
	s_waitcnt vmcnt(2)
	v_readfirstlane_b32 s12, v0
	v_readfirstlane_b32 s13, v1
	s_add_u32 s11, s12, 1
	s_addc_u32 s14, s13, 0
	s_add_u32 s4, s11, s8
	s_addc_u32 s5, s14, s9
	s_cmp_eq_u64 s[4:5], 0
	s_cselect_b32 s5, s14, s5
	s_cselect_b32 s4, s11, s4
	v_mov_b32_e32 v8, s5
	s_and_b64 s[8:9], s[4:5], s[12:13]
	v_mov_b32_e32 v7, s4
	s_mul_i32 s9, s9, 24
	s_mul_hi_u32 s11, s8, 24
	s_mul_i32 s8, s8, 24
	s_add_i32 s11, s11, s9
	s_waitcnt vmcnt(0)
	v_add_co_u32 v4, vcc_lo, v2, s8
	v_add_co_ci_u32_e64 v5, null, s11, v3, vcc_lo
	global_store_dwordx2 v[4:5], v[9:10], off
	s_waitcnt_vscnt null, 0x0
	global_atomic_cmpswap_x2 v[2:3], v6, v[7:10], s[6:7] offset:24 glc
	s_waitcnt vmcnt(0)
	v_cmp_ne_u64_e32 vcc_lo, v[2:3], v[9:10]
	s_and_b32 exec_lo, exec_lo, vcc_lo
	s_cbranch_execz .LBB0_112
; %bb.110:
	s_mov_b32 s8, 0
.LBB0_111:                              ; =>This Inner Loop Header: Depth=1
	v_mov_b32_e32 v0, s4
	v_mov_b32_e32 v1, s5
	s_sleep 1
	global_store_dwordx2 v[4:5], v[2:3], off
	s_waitcnt_vscnt null, 0x0
	global_atomic_cmpswap_x2 v[0:1], v6, v[0:3], s[6:7] offset:24 glc
	s_waitcnt vmcnt(0)
	v_cmp_eq_u64_e32 vcc_lo, v[0:1], v[2:3]
	v_mov_b32_e32 v3, v1
	v_mov_b32_e32 v2, v0
	s_or_b32 s8, vcc_lo, s8
	s_andn2_b32 exec_lo, exec_lo, s8
	s_cbranch_execnz .LBB0_111
.LBB0_112:
	s_or_b32 exec_lo, exec_lo, s10
	s_waitcnt lgkmcnt(0)
	s_setpc_b64 s[30:31]
.LBB0_113:
	s_cbranch_execnz .LBB0_86
.LBB0_114:
	s_waitcnt vmcnt(0) lgkmcnt(0)
	s_setpc_b64 s[30:31]
.Lfunc_end0:
	.size	__ockl_fprintf_append_string_n, .Lfunc_end0-__ockl_fprintf_append_string_n
                                        ; -- End function
	.set .L__ockl_fprintf_append_string_n.num_vgpr, 39
	.set .L__ockl_fprintf_append_string_n.num_agpr, 0
	.set .L__ockl_fprintf_append_string_n.numbered_sgpr, 32
	.set .L__ockl_fprintf_append_string_n.num_named_barrier, 0
	.set .L__ockl_fprintf_append_string_n.private_seg_size, 0
	.set .L__ockl_fprintf_append_string_n.uses_vcc, 1
	.set .L__ockl_fprintf_append_string_n.uses_flat_scratch, 0
	.set .L__ockl_fprintf_append_string_n.has_dyn_sized_stack, 0
	.set .L__ockl_fprintf_append_string_n.has_recursion, 0
	.set .L__ockl_fprintf_append_string_n.has_indirect_call, 0
	.section	.AMDGPU.csdata,"",@progbits
; Function info:
; codeLenInByte = 4528
; TotalNumSgprs: 34
; NumVgprs: 39
; ScratchSize: 0
; MemoryBound: 0
	.text
	.p2align	2                               ; -- Begin function __assert_fail
	.type	__assert_fail,@function
__assert_fail:                          ; @__assert_fail
; %bb.0:
	s_waitcnt vmcnt(0) expcnt(0) lgkmcnt(0)
	s_mov_b32 s24, s33
	s_mov_b32 s33, s32
	s_xor_saveexec_b32 s4, -1
	buffer_store_dword v39, off, s[0:3], s33 offset:48 ; 4-byte Folded Spill
	s_mov_b32 exec_lo, s4
	v_writelane_b32 v39, s30, 0
	s_addk_i32 s32, 0x800
	v_writelane_b32 v39, s31, 1
	v_mov_b32_e32 v4, v0
	v_mov_b32_e32 v0, 0
	s_getpc_b64 s[4:5]
	s_add_u32 s4, s4, __const.__assert_fail.fmt@rel32@lo+35
	s_addc_u32 s5, s5, __const.__assert_fail.fmt@rel32@hi+43
	v_mbcnt_lo_u32_b32 v32, -1, 0
	v_mov_b32_e32 v6, 0
	v_mov_b32_e32 v5, v1
	global_load_dwordx4 v[8:11], v0, s[4:5]
	s_getpc_b64 s[4:5]
	s_add_u32 s4, s4, __const.__assert_fail.fmt@rel32@lo+4
	s_addc_u32 s5, s5, __const.__assert_fail.fmt@rel32@hi+12
	s_getpc_b64 s[6:7]
	s_add_u32 s6, s6, __const.__assert_fail.fmt@rel32@lo+20
	s_addc_u32 s7, s7, __const.__assert_fail.fmt@rel32@hi+28
	s_clause 0x1
	s_load_dwordx4 s[12:15], s[4:5], 0x0
	s_load_dwordx4 s[16:19], s[6:7], 0x0
	s_load_dwordx2 s[6:7], s[8:9], 0x50
	v_readfirstlane_b32 s4, v32
	v_mov_b32_e32 v7, 0
	v_cmp_eq_u32_e64 s4, s4, v32
	s_waitcnt lgkmcnt(0)
	v_mov_b32_e32 v1, s15
	v_mov_b32_e32 v2, s14
	;; [unrolled: 1-line block ×8, first 2 shown]
	buffer_store_dword v1, off, s[0:3], s33 offset:12
	buffer_store_dword v2, off, s[0:3], s33 offset:8
	;; [unrolled: 1-line block ×3, first 2 shown]
	buffer_store_dword v12, off, s[0:3], s33
	buffer_store_dword v13, off, s[0:3], s33 offset:28
	buffer_store_dword v14, off, s[0:3], s33 offset:24
	;; [unrolled: 1-line block ×4, first 2 shown]
	s_waitcnt vmcnt(0)
	buffer_store_dword v11, off, s[0:3], s33 offset:43
	buffer_store_dword v10, off, s[0:3], s33 offset:39
	;; [unrolled: 1-line block ×4, first 2 shown]
	s_and_saveexec_b32 s5, s4
	s_cbranch_execz .LBB1_6
; %bb.1:
	global_load_dwordx2 v[8:9], v0, s[6:7] offset:24 glc dlc
	s_waitcnt vmcnt(0)
	buffer_gl1_inv
	buffer_gl0_inv
	s_clause 0x1
	global_load_dwordx2 v[1:2], v0, s[6:7] offset:40
	global_load_dwordx2 v[6:7], v0, s[6:7]
	s_mov_b32 s10, exec_lo
	s_waitcnt vmcnt(1)
	v_and_b32_e32 v2, v2, v9
	v_and_b32_e32 v1, v1, v8
	v_mul_lo_u32 v2, v2, 24
	v_mul_hi_u32 v3, v1, 24
	v_mul_lo_u32 v1, v1, 24
	v_add_nc_u32_e32 v2, v3, v2
	s_waitcnt vmcnt(0)
	v_add_co_u32 v1, vcc_lo, v6, v1
	v_add_co_ci_u32_e64 v2, null, v7, v2, vcc_lo
	global_load_dwordx2 v[6:7], v[1:2], off glc dlc
	s_waitcnt vmcnt(0)
	global_atomic_cmpswap_x2 v[6:7], v0, v[6:9], s[6:7] offset:24 glc
	s_waitcnt vmcnt(0)
	buffer_gl1_inv
	buffer_gl0_inv
	v_cmpx_ne_u64_e64 v[6:7], v[8:9]
	s_cbranch_execz .LBB1_5
; %bb.2:
	v_mov_b32_e32 v1, 0
	s_mov_b32 s11, 0
	.p2align	6
.LBB1_3:                                ; =>This Inner Loop Header: Depth=1
	s_sleep 1
	s_clause 0x1
	global_load_dwordx2 v[2:3], v1, s[6:7] offset:40
	global_load_dwordx2 v[10:11], v1, s[6:7]
	v_mov_b32_e32 v9, v7
	v_mov_b32_e32 v8, v6
	s_waitcnt vmcnt(1)
	v_and_b32_e32 v2, v2, v8
	v_and_b32_e32 v3, v3, v9
	s_waitcnt vmcnt(0)
	v_mad_u64_u32 v[6:7], null, v2, 24, v[10:11]
	v_mov_b32_e32 v2, v7
	v_mad_u64_u32 v[2:3], null, v3, 24, v[2:3]
	v_mov_b32_e32 v7, v2
	global_load_dwordx2 v[6:7], v[6:7], off glc dlc
	s_waitcnt vmcnt(0)
	global_atomic_cmpswap_x2 v[6:7], v1, v[6:9], s[6:7] offset:24 glc
	s_waitcnt vmcnt(0)
	buffer_gl1_inv
	buffer_gl0_inv
	v_cmp_eq_u64_e32 vcc_lo, v[6:7], v[8:9]
	s_or_b32 s11, vcc_lo, s11
	s_andn2_b32 exec_lo, exec_lo, s11
	s_cbranch_execnz .LBB1_3
; %bb.4:
	s_or_b32 exec_lo, exec_lo, s11
.LBB1_5:
	s_or_b32 exec_lo, exec_lo, s10
.LBB1_6:
	s_or_b32 exec_lo, exec_lo, s5
	s_clause 0x1
	global_load_dwordx2 v[8:9], v0, s[6:7] offset:40
	global_load_dwordx4 v[0:3], v0, s[6:7]
	v_readfirstlane_b32 s11, v7
	v_readfirstlane_b32 s10, v6
	s_mov_b32 s5, exec_lo
	s_waitcnt vmcnt(1)
	v_readfirstlane_b32 s12, v8
	v_readfirstlane_b32 s13, v9
	s_and_b64 s[12:13], s[12:13], s[10:11]
	s_mul_i32 s14, s13, 24
	s_mul_hi_u32 s15, s12, 24
	s_mul_i32 s16, s12, 24
	s_add_i32 s15, s15, s14
	s_waitcnt vmcnt(0)
	v_add_co_u32 v10, vcc_lo, v0, s16
	v_add_co_ci_u32_e64 v11, null, s15, v1, vcc_lo
	s_and_saveexec_b32 s14, s4
	s_cbranch_execz .LBB1_8
; %bb.7:
	v_mov_b32_e32 v6, s5
	v_mov_b32_e32 v7, 0
	;; [unrolled: 1-line block ×4, first 2 shown]
	global_store_dwordx4 v[10:11], v[6:9], off offset:8
.LBB1_8:
	s_or_b32 exec_lo, exec_lo, s14
	s_lshl_b64 s[12:13], s[12:13], 12
	v_lshlrev_b32_e32 v33, 6, v32
	v_add_co_u32 v2, vcc_lo, v2, s12
	v_add_co_ci_u32_e64 v3, null, s13, v3, vcc_lo
	v_mov_b32_e32 v7, 0
	s_mov_b32 s12, 0
	v_add_co_u32 v12, vcc_lo, v2, v33
	s_mov_b32 s15, s12
	s_mov_b32 s13, s12
	;; [unrolled: 1-line block ×3, first 2 shown]
	v_mov_b32_e32 v6, 33
	v_mov_b32_e32 v8, 1
	;; [unrolled: 1-line block ×3, first 2 shown]
	v_readfirstlane_b32 s16, v2
	v_readfirstlane_b32 s17, v3
	v_mov_b32_e32 v17, s15
	v_add_co_ci_u32_e64 v13, null, 0, v3, vcc_lo
	v_mov_b32_e32 v16, s14
	v_mov_b32_e32 v15, s13
	;; [unrolled: 1-line block ×3, first 2 shown]
	global_store_dwordx4 v33, v[6:9], s[16:17]
	global_store_dwordx4 v33, v[14:17], s[16:17] offset:16
	global_store_dwordx4 v33, v[14:17], s[16:17] offset:32
	;; [unrolled: 1-line block ×3, first 2 shown]
	s_and_saveexec_b32 s5, s4
	s_cbranch_execz .LBB1_16
; %bb.9:
	s_clause 0x1
	global_load_dwordx2 v[16:17], v7, s[6:7] offset:32 glc dlc
	global_load_dwordx2 v[2:3], v7, s[6:7] offset:40
	v_mov_b32_e32 v14, s10
	v_mov_b32_e32 v15, s11
	s_mov_b32 s12, exec_lo
	s_waitcnt vmcnt(0)
	v_and_b32_e32 v3, s11, v3
	v_and_b32_e32 v2, s10, v2
	v_mul_lo_u32 v3, v3, 24
	v_mul_hi_u32 v6, v2, 24
	v_mul_lo_u32 v2, v2, 24
	v_add_nc_u32_e32 v3, v6, v3
	v_add_co_u32 v8, vcc_lo, v0, v2
	v_add_co_ci_u32_e64 v9, null, v1, v3, vcc_lo
	global_store_dwordx2 v[8:9], v[16:17], off
	s_waitcnt_vscnt null, 0x0
	global_atomic_cmpswap_x2 v[2:3], v7, v[14:17], s[6:7] offset:32 glc
	s_waitcnt vmcnt(0)
	v_cmpx_ne_u64_e64 v[2:3], v[16:17]
	s_cbranch_execz .LBB1_12
; %bb.10:
	v_mov_b32_e32 v6, 0
	s_mov_b32 s13, 0
.LBB1_11:                               ; =>This Inner Loop Header: Depth=1
	v_mov_b32_e32 v0, s10
	v_mov_b32_e32 v1, s11
	s_sleep 1
	global_store_dwordx2 v[8:9], v[2:3], off
	s_waitcnt_vscnt null, 0x0
	global_atomic_cmpswap_x2 v[0:1], v6, v[0:3], s[6:7] offset:32 glc
	s_waitcnt vmcnt(0)
	v_cmp_eq_u64_e32 vcc_lo, v[0:1], v[2:3]
	v_mov_b32_e32 v3, v1
	v_mov_b32_e32 v2, v0
	s_or_b32 s13, vcc_lo, s13
	s_andn2_b32 exec_lo, exec_lo, s13
	s_cbranch_execnz .LBB1_11
.LBB1_12:
	s_or_b32 exec_lo, exec_lo, s12
	v_mov_b32_e32 v3, 0
	s_mov_b32 s13, exec_lo
	s_mov_b32 s12, exec_lo
	v_mbcnt_lo_u32_b32 v2, s13, 0
	global_load_dwordx2 v[0:1], v3, s[6:7] offset:16
	v_cmpx_eq_u32_e32 0, v2
	s_cbranch_execz .LBB1_14
; %bb.13:
	s_bcnt1_i32_b32 s13, s13
	v_mov_b32_e32 v2, s13
	s_waitcnt vmcnt(0)
	global_atomic_add_x2 v[0:1], v[2:3], off offset:8
.LBB1_14:
	s_or_b32 exec_lo, exec_lo, s12
	s_waitcnt vmcnt(0)
	global_load_dwordx2 v[2:3], v[0:1], off offset:16
	s_waitcnt vmcnt(0)
	v_cmp_eq_u64_e32 vcc_lo, 0, v[2:3]
	s_cbranch_vccnz .LBB1_16
; %bb.15:
	global_load_dword v0, v[0:1], off offset:24
	v_mov_b32_e32 v1, 0
	s_waitcnt vmcnt(0)
	v_readfirstlane_b32 s12, v0
	s_waitcnt_vscnt null, 0x0
	global_store_dwordx2 v[2:3], v[0:1], off
	s_and_b32 m0, s12, 0x7fffff
	s_sendmsg sendmsg(MSG_INTERRUPT)
.LBB1_16:
	s_or_b32 exec_lo, exec_lo, s5
	s_branch .LBB1_20
	.p2align	6
.LBB1_17:                               ;   in Loop: Header=BB1_20 Depth=1
	s_or_b32 exec_lo, exec_lo, s5
	v_readfirstlane_b32 s5, v0
	s_cmp_eq_u32 s5, 0
	s_cbranch_scc1 .LBB1_19
; %bb.18:                               ;   in Loop: Header=BB1_20 Depth=1
	s_sleep 1
	s_cbranch_execnz .LBB1_20
	s_branch .LBB1_22
	.p2align	6
.LBB1_19:
	s_branch .LBB1_22
.LBB1_20:                               ; =>This Inner Loop Header: Depth=1
	v_mov_b32_e32 v0, 1
	s_and_saveexec_b32 s5, s4
	s_cbranch_execz .LBB1_17
; %bb.21:                               ;   in Loop: Header=BB1_20 Depth=1
	global_load_dword v0, v[10:11], off offset:20 glc dlc
	s_waitcnt vmcnt(0)
	buffer_gl1_inv
	buffer_gl0_inv
	v_and_b32_e32 v0, 1, v0
	s_branch .LBB1_17
.LBB1_22:
	global_load_dwordx2 v[6:7], v[12:13], off
	s_and_saveexec_b32 s12, s4
	s_cbranch_execz .LBB1_26
; %bb.23:
	v_mov_b32_e32 v10, 0
	s_clause 0x2
	global_load_dwordx2 v[0:1], v10, s[6:7] offset:40
	global_load_dwordx2 v[13:14], v10, s[6:7] offset:24 glc dlc
	global_load_dwordx2 v[2:3], v10, s[6:7]
	s_waitcnt vmcnt(2)
	v_readfirstlane_b32 s14, v0
	v_readfirstlane_b32 s15, v1
	s_add_u32 s13, s14, 1
	s_addc_u32 s16, s15, 0
	s_add_u32 s4, s13, s10
	s_addc_u32 s5, s16, s11
	s_cmp_eq_u64 s[4:5], 0
	s_cselect_b32 s5, s16, s5
	s_cselect_b32 s4, s13, s4
	v_mov_b32_e32 v12, s5
	s_and_b64 s[10:11], s[4:5], s[14:15]
	v_mov_b32_e32 v11, s4
	s_mul_i32 s11, s11, 24
	s_mul_hi_u32 s13, s10, 24
	s_mul_i32 s10, s10, 24
	s_add_i32 s13, s13, s11
	s_waitcnt vmcnt(0)
	v_add_co_u32 v8, vcc_lo, v2, s10
	v_add_co_ci_u32_e64 v9, null, s13, v3, vcc_lo
	global_store_dwordx2 v[8:9], v[13:14], off
	s_waitcnt_vscnt null, 0x0
	global_atomic_cmpswap_x2 v[2:3], v10, v[11:14], s[6:7] offset:24 glc
	s_waitcnt vmcnt(0)
	v_cmp_ne_u64_e32 vcc_lo, v[2:3], v[13:14]
	s_and_b32 exec_lo, exec_lo, vcc_lo
	s_cbranch_execz .LBB1_26
; %bb.24:
	s_mov_b32 s10, 0
.LBB1_25:                               ; =>This Inner Loop Header: Depth=1
	v_mov_b32_e32 v0, s4
	v_mov_b32_e32 v1, s5
	s_sleep 1
	global_store_dwordx2 v[8:9], v[2:3], off
	s_waitcnt_vscnt null, 0x0
	global_atomic_cmpswap_x2 v[0:1], v10, v[0:3], s[6:7] offset:24 glc
	s_waitcnt vmcnt(0)
	v_cmp_eq_u64_e32 vcc_lo, v[0:1], v[2:3]
	v_mov_b32_e32 v3, v1
	v_mov_b32_e32 v2, v0
	s_or_b32 s10, vcc_lo, s10
	s_andn2_b32 exec_lo, exec_lo, s10
	s_cbranch_execnz .LBB1_25
.LBB1_26:
	s_or_b32 exec_lo, exec_lo, s12
	s_lshr_b32 s5, s33, 5
	s_mov_b32 s4, 0
.LBB1_27:                               ; =>This Inner Loop Header: Depth=1
	v_mov_b32_e32 v0, s5
	s_add_i32 s5, s5, 1
	buffer_load_ubyte v0, v0, s[0:3], 0 offen
	s_waitcnt vmcnt(0)
	v_cmp_eq_u16_e32 vcc_lo, 0, v0
	v_mov_b32_e32 v0, s5
	s_or_b32 s4, vcc_lo, s4
	s_andn2_b32 exec_lo, exec_lo, s4
	s_cbranch_execnz .LBB1_27
; %bb.28:
	s_or_b32 exec_lo, exec_lo, s4
	s_lshr_b32 s4, s33, 5
	s_cmp_lg_u32 s4, -1
	s_cbranch_scc0 .LBB1_113
; %bb.29:
	v_lshrrev_b32_e64 v1, 5, s33
	v_and_b32_e32 v34, 2, v6
	v_mov_b32_e32 v9, 0
	v_lshrrev_b32_e64 v35, 5, s33
	v_mov_b32_e32 v10, 2
	v_subrev_nc_u32_e32 v28, v1, v0
	v_and_b32_e32 v0, -3, v6
	v_mov_b32_e32 v1, v7
	v_mov_b32_e32 v11, 1
	s_mov_b32 s15, 0
	v_ashrrev_i32_e32 v29, 31, v28
	s_mov_b32 s14, 0
	s_branch .LBB1_31
.LBB1_30:                               ;   in Loop: Header=BB1_31 Depth=1
	s_or_b32 exec_lo, exec_lo, s12
	v_sub_co_u32 v28, vcc_lo, v28, v36
	v_sub_co_ci_u32_e64 v29, null, v29, v26, vcc_lo
	v_add_nc_u32_e32 v35, v35, v36
	v_cmp_eq_u64_e32 vcc_lo, 0, v[28:29]
	s_or_b32 s14, vcc_lo, s14
	s_andn2_b32 exec_lo, exec_lo, s14
	s_cbranch_execz .LBB1_114
.LBB1_31:                               ; =>This Loop Header: Depth=1
                                        ;     Child Loop BB1_34 Depth 2
                                        ;     Child Loop BB1_42 Depth 2
	;; [unrolled: 1-line block ×11, first 2 shown]
	v_cmp_gt_u64_e32 vcc_lo, 56, v[28:29]
	v_add_nc_u32_e32 v14, 8, v35
	s_mov_b32 s5, exec_lo
	v_cndmask_b32_e32 v36, 56, v28, vcc_lo
	v_cmpx_gt_u64_e32 8, v[28:29]
	s_xor_b32 s5, exec_lo, s5
	s_cbranch_execz .LBB1_37
; %bb.32:                               ;   in Loop: Header=BB1_31 Depth=1
	v_mov_b32_e32 v2, 0
	v_mov_b32_e32 v3, 0
	s_mov_b32 s12, exec_lo
	v_cmpx_ne_u64_e32 0, v[28:29]
	s_cbranch_execz .LBB1_36
; %bb.33:                               ;   in Loop: Header=BB1_31 Depth=1
	v_mov_b32_e32 v2, 0
	v_mov_b32_e32 v3, 0
	s_mov_b64 s[10:11], 0
	s_mov_b32 s13, 0
	s_mov_b32 s16, 0
	.p2align	6
.LBB1_34:                               ;   Parent Loop BB1_31 Depth=1
                                        ; =>  This Inner Loop Header: Depth=2
	v_add_nc_u32_e32 v8, s16, v35
	v_mov_b32_e32 v13, s15
	s_add_i32 s16, s16, 1
	v_cmp_eq_u32_e64 s4, s16, v36
	buffer_load_ubyte v8, v8, s[0:3], 0 offen
	s_waitcnt vmcnt(0)
	v_and_b32_e32 v12, 0xffff, v8
	v_lshlrev_b64 v[12:13], s10, v[12:13]
	s_add_u32 s10, s10, 8
	s_addc_u32 s11, s11, 0
	s_or_b32 s13, s4, s13
	v_or_b32_e32 v3, v13, v3
	v_or_b32_e32 v2, v12, v2
	s_andn2_b32 exec_lo, exec_lo, s13
	s_cbranch_execnz .LBB1_34
; %bb.35:                               ;   in Loop: Header=BB1_31 Depth=1
	s_or_b32 exec_lo, exec_lo, s13
.LBB1_36:                               ;   in Loop: Header=BB1_31 Depth=1
	s_or_b32 exec_lo, exec_lo, s12
	v_mov_b32_e32 v14, v35
.LBB1_37:                               ;   in Loop: Header=BB1_31 Depth=1
	s_or_saveexec_b32 s4, s5
	v_mov_b32_e32 v15, 0
	s_xor_b32 exec_lo, exec_lo, s4
	s_cbranch_execz .LBB1_39
; %bb.38:                               ;   in Loop: Header=BB1_31 Depth=1
	s_clause 0x1
	buffer_load_dword v2, v35, s[0:3], 0 offen
	buffer_load_dword v3, v35, s[0:3], 0 offen offset:4
	v_add_nc_u32_e32 v15, -8, v36
.LBB1_39:                               ;   in Loop: Header=BB1_31 Depth=1
	s_or_b32 exec_lo, exec_lo, s4
	v_add_nc_u32_e32 v8, 8, v14
	s_mov_b32 s5, exec_lo
                                        ; implicit-def: $vgpr12_vgpr13
	v_cmpx_gt_u32_e32 8, v15
	s_xor_b32 s5, exec_lo, s5
	s_cbranch_execz .LBB1_45
; %bb.40:                               ;   in Loop: Header=BB1_31 Depth=1
	v_mov_b32_e32 v12, 0
	v_mov_b32_e32 v13, 0
	s_mov_b32 s12, exec_lo
	v_cmpx_ne_u32_e32 0, v15
	s_cbranch_execz .LBB1_44
; %bb.41:                               ;   in Loop: Header=BB1_31 Depth=1
	v_mov_b32_e32 v12, 0
	v_mov_b32_e32 v13, 0
	s_mov_b64 s[10:11], 0
	s_mov_b32 s13, 0
	s_mov_b32 s16, 0
	.p2align	6
.LBB1_42:                               ;   Parent Loop BB1_31 Depth=1
                                        ; =>  This Inner Loop Header: Depth=2
	v_add_nc_u32_e32 v8, s16, v14
	v_mov_b32_e32 v17, s15
	s_add_i32 s16, s16, 1
	v_cmp_eq_u32_e64 s4, s16, v15
	buffer_load_ubyte v8, v8, s[0:3], 0 offen
	s_waitcnt vmcnt(0)
	v_and_b32_e32 v16, 0xffff, v8
	v_lshlrev_b64 v[16:17], s10, v[16:17]
	s_add_u32 s10, s10, 8
	s_addc_u32 s11, s11, 0
	s_or_b32 s13, s4, s13
	v_or_b32_e32 v13, v17, v13
	v_or_b32_e32 v12, v16, v12
	s_andn2_b32 exec_lo, exec_lo, s13
	s_cbranch_execnz .LBB1_42
; %bb.43:                               ;   in Loop: Header=BB1_31 Depth=1
	s_or_b32 exec_lo, exec_lo, s13
.LBB1_44:                               ;   in Loop: Header=BB1_31 Depth=1
	s_or_b32 exec_lo, exec_lo, s12
	v_mov_b32_e32 v8, v14
                                        ; implicit-def: $vgpr15
.LBB1_45:                               ;   in Loop: Header=BB1_31 Depth=1
	s_or_saveexec_b32 s4, s5
	v_mov_b32_e32 v16, 0
	s_xor_b32 exec_lo, exec_lo, s4
	s_cbranch_execz .LBB1_47
; %bb.46:                               ;   in Loop: Header=BB1_31 Depth=1
	s_clause 0x1
	buffer_load_dword v12, v14, s[0:3], 0 offen
	buffer_load_dword v13, v14, s[0:3], 0 offen offset:4
	v_add_nc_u32_e32 v16, -8, v15
.LBB1_47:                               ;   in Loop: Header=BB1_31 Depth=1
	s_or_b32 exec_lo, exec_lo, s4
	v_add_nc_u32_e32 v18, 8, v8
	s_mov_b32 s5, exec_lo
	v_cmpx_gt_u32_e32 8, v16
	s_xor_b32 s5, exec_lo, s5
	s_cbranch_execz .LBB1_53
; %bb.48:                               ;   in Loop: Header=BB1_31 Depth=1
	v_mov_b32_e32 v14, 0
	v_mov_b32_e32 v15, 0
	s_mov_b32 s12, exec_lo
	v_cmpx_ne_u32_e32 0, v16
	s_cbranch_execz .LBB1_52
; %bb.49:                               ;   in Loop: Header=BB1_31 Depth=1
	v_mov_b32_e32 v14, 0
	v_mov_b32_e32 v15, 0
	s_mov_b64 s[10:11], 0
	s_mov_b32 s13, 0
	s_mov_b32 s16, 0
	.p2align	6
.LBB1_50:                               ;   Parent Loop BB1_31 Depth=1
                                        ; =>  This Inner Loop Header: Depth=2
	v_add_nc_u32_e32 v17, s16, v8
	v_mov_b32_e32 v18, s15
	s_add_i32 s16, s16, 1
	v_cmp_eq_u32_e64 s4, s16, v16
	buffer_load_ubyte v17, v17, s[0:3], 0 offen
	s_waitcnt vmcnt(0)
	v_and_b32_e32 v17, 0xffff, v17
	v_lshlrev_b64 v[17:18], s10, v[17:18]
	s_add_u32 s10, s10, 8
	s_addc_u32 s11, s11, 0
	s_or_b32 s13, s4, s13
	v_or_b32_e32 v15, v18, v15
	v_or_b32_e32 v14, v17, v14
	s_andn2_b32 exec_lo, exec_lo, s13
	s_cbranch_execnz .LBB1_50
; %bb.51:                               ;   in Loop: Header=BB1_31 Depth=1
	s_or_b32 exec_lo, exec_lo, s13
.LBB1_52:                               ;   in Loop: Header=BB1_31 Depth=1
	s_or_b32 exec_lo, exec_lo, s12
	v_mov_b32_e32 v18, v8
                                        ; implicit-def: $vgpr16
.LBB1_53:                               ;   in Loop: Header=BB1_31 Depth=1
	s_or_saveexec_b32 s4, s5
	v_mov_b32_e32 v19, 0
	s_xor_b32 exec_lo, exec_lo, s4
	s_cbranch_execz .LBB1_55
; %bb.54:                               ;   in Loop: Header=BB1_31 Depth=1
	s_clause 0x1
	buffer_load_dword v14, v8, s[0:3], 0 offen
	buffer_load_dword v15, v8, s[0:3], 0 offen offset:4
	v_add_nc_u32_e32 v19, -8, v16
.LBB1_55:                               ;   in Loop: Header=BB1_31 Depth=1
	s_or_b32 exec_lo, exec_lo, s4
	v_add_nc_u32_e32 v8, 8, v18
	s_mov_b32 s5, exec_lo
                                        ; implicit-def: $vgpr16_vgpr17
	v_cmpx_gt_u32_e32 8, v19
	s_xor_b32 s5, exec_lo, s5
	s_cbranch_execz .LBB1_61
; %bb.56:                               ;   in Loop: Header=BB1_31 Depth=1
	v_mov_b32_e32 v16, 0
	v_mov_b32_e32 v17, 0
	s_mov_b32 s12, exec_lo
	v_cmpx_ne_u32_e32 0, v19
	s_cbranch_execz .LBB1_60
; %bb.57:                               ;   in Loop: Header=BB1_31 Depth=1
	v_mov_b32_e32 v16, 0
	v_mov_b32_e32 v17, 0
	s_mov_b64 s[10:11], 0
	s_mov_b32 s13, 0
	s_mov_b32 s16, 0
	.p2align	6
.LBB1_58:                               ;   Parent Loop BB1_31 Depth=1
                                        ; =>  This Inner Loop Header: Depth=2
	v_add_nc_u32_e32 v8, s16, v18
	v_mov_b32_e32 v21, s15
	s_add_i32 s16, s16, 1
	v_cmp_eq_u32_e64 s4, s16, v19
	buffer_load_ubyte v8, v8, s[0:3], 0 offen
	s_waitcnt vmcnt(0)
	v_and_b32_e32 v20, 0xffff, v8
	v_lshlrev_b64 v[20:21], s10, v[20:21]
	s_add_u32 s10, s10, 8
	s_addc_u32 s11, s11, 0
	s_or_b32 s13, s4, s13
	v_or_b32_e32 v17, v21, v17
	v_or_b32_e32 v16, v20, v16
	s_andn2_b32 exec_lo, exec_lo, s13
	s_cbranch_execnz .LBB1_58
; %bb.59:                               ;   in Loop: Header=BB1_31 Depth=1
	s_or_b32 exec_lo, exec_lo, s13
.LBB1_60:                               ;   in Loop: Header=BB1_31 Depth=1
	s_or_b32 exec_lo, exec_lo, s12
	v_mov_b32_e32 v8, v18
                                        ; implicit-def: $vgpr19
.LBB1_61:                               ;   in Loop: Header=BB1_31 Depth=1
	s_or_saveexec_b32 s4, s5
	v_mov_b32_e32 v20, 0
	s_xor_b32 exec_lo, exec_lo, s4
	s_cbranch_execz .LBB1_63
; %bb.62:                               ;   in Loop: Header=BB1_31 Depth=1
	s_clause 0x1
	buffer_load_dword v16, v18, s[0:3], 0 offen
	buffer_load_dword v17, v18, s[0:3], 0 offen offset:4
	v_add_nc_u32_e32 v20, -8, v19
.LBB1_63:                               ;   in Loop: Header=BB1_31 Depth=1
	s_or_b32 exec_lo, exec_lo, s4
	v_add_nc_u32_e32 v22, 8, v8
	s_mov_b32 s5, exec_lo
	v_cmpx_gt_u32_e32 8, v20
	s_xor_b32 s5, exec_lo, s5
	s_cbranch_execz .LBB1_69
; %bb.64:                               ;   in Loop: Header=BB1_31 Depth=1
	v_mov_b32_e32 v18, 0
	v_mov_b32_e32 v19, 0
	s_mov_b32 s12, exec_lo
	v_cmpx_ne_u32_e32 0, v20
	s_cbranch_execz .LBB1_68
; %bb.65:                               ;   in Loop: Header=BB1_31 Depth=1
	v_mov_b32_e32 v18, 0
	v_mov_b32_e32 v19, 0
	s_mov_b64 s[10:11], 0
	s_mov_b32 s13, 0
	s_mov_b32 s16, 0
	.p2align	6
.LBB1_66:                               ;   Parent Loop BB1_31 Depth=1
                                        ; =>  This Inner Loop Header: Depth=2
	v_add_nc_u32_e32 v21, s16, v8
	v_mov_b32_e32 v22, s15
	s_add_i32 s16, s16, 1
	v_cmp_eq_u32_e64 s4, s16, v20
	buffer_load_ubyte v21, v21, s[0:3], 0 offen
	s_waitcnt vmcnt(0)
	v_and_b32_e32 v21, 0xffff, v21
	v_lshlrev_b64 v[21:22], s10, v[21:22]
	s_add_u32 s10, s10, 8
	s_addc_u32 s11, s11, 0
	s_or_b32 s13, s4, s13
	v_or_b32_e32 v19, v22, v19
	v_or_b32_e32 v18, v21, v18
	s_andn2_b32 exec_lo, exec_lo, s13
	s_cbranch_execnz .LBB1_66
; %bb.67:                               ;   in Loop: Header=BB1_31 Depth=1
	s_or_b32 exec_lo, exec_lo, s13
.LBB1_68:                               ;   in Loop: Header=BB1_31 Depth=1
	s_or_b32 exec_lo, exec_lo, s12
	v_mov_b32_e32 v22, v8
                                        ; implicit-def: $vgpr20
.LBB1_69:                               ;   in Loop: Header=BB1_31 Depth=1
	s_or_saveexec_b32 s4, s5
	v_mov_b32_e32 v23, 0
	s_xor_b32 exec_lo, exec_lo, s4
	s_cbranch_execz .LBB1_71
; %bb.70:                               ;   in Loop: Header=BB1_31 Depth=1
	s_clause 0x1
	buffer_load_dword v18, v8, s[0:3], 0 offen
	buffer_load_dword v19, v8, s[0:3], 0 offen offset:4
	v_add_nc_u32_e32 v23, -8, v20
.LBB1_71:                               ;   in Loop: Header=BB1_31 Depth=1
	s_or_b32 exec_lo, exec_lo, s4
	v_add_nc_u32_e32 v8, 8, v22
	s_mov_b32 s5, exec_lo
                                        ; implicit-def: $vgpr20_vgpr21
	v_cmpx_gt_u32_e32 8, v23
	s_xor_b32 s5, exec_lo, s5
	s_cbranch_execz .LBB1_77
; %bb.72:                               ;   in Loop: Header=BB1_31 Depth=1
	v_mov_b32_e32 v20, 0
	v_mov_b32_e32 v21, 0
	s_mov_b32 s12, exec_lo
	v_cmpx_ne_u32_e32 0, v23
	s_cbranch_execz .LBB1_76
; %bb.73:                               ;   in Loop: Header=BB1_31 Depth=1
	v_mov_b32_e32 v20, 0
	v_mov_b32_e32 v21, 0
	s_mov_b64 s[10:11], 0
	s_mov_b32 s13, 0
	s_mov_b32 s16, 0
	.p2align	6
.LBB1_74:                               ;   Parent Loop BB1_31 Depth=1
                                        ; =>  This Inner Loop Header: Depth=2
	v_add_nc_u32_e32 v8, s16, v22
	v_mov_b32_e32 v25, s15
	s_add_i32 s16, s16, 1
	v_cmp_eq_u32_e64 s4, s16, v23
	buffer_load_ubyte v8, v8, s[0:3], 0 offen
	s_waitcnt vmcnt(0)
	v_and_b32_e32 v24, 0xffff, v8
	v_lshlrev_b64 v[24:25], s10, v[24:25]
	s_add_u32 s10, s10, 8
	s_addc_u32 s11, s11, 0
	s_or_b32 s13, s4, s13
	v_or_b32_e32 v21, v25, v21
	v_or_b32_e32 v20, v24, v20
	s_andn2_b32 exec_lo, exec_lo, s13
	s_cbranch_execnz .LBB1_74
; %bb.75:                               ;   in Loop: Header=BB1_31 Depth=1
	s_or_b32 exec_lo, exec_lo, s13
.LBB1_76:                               ;   in Loop: Header=BB1_31 Depth=1
	s_or_b32 exec_lo, exec_lo, s12
	v_mov_b32_e32 v8, v22
                                        ; implicit-def: $vgpr23
.LBB1_77:                               ;   in Loop: Header=BB1_31 Depth=1
	s_or_saveexec_b32 s4, s5
	v_mov_b32_e32 v24, 0
	s_xor_b32 exec_lo, exec_lo, s4
	s_cbranch_execz .LBB1_79
; %bb.78:                               ;   in Loop: Header=BB1_31 Depth=1
	s_clause 0x1
	buffer_load_dword v20, v22, s[0:3], 0 offen
	buffer_load_dword v21, v22, s[0:3], 0 offen offset:4
	v_add_nc_u32_e32 v24, -8, v23
.LBB1_79:                               ;   in Loop: Header=BB1_31 Depth=1
	s_or_b32 exec_lo, exec_lo, s4
	s_mov_b32 s5, exec_lo
	v_cmpx_gt_u32_e32 8, v24
	s_xor_b32 s5, exec_lo, s5
	s_cbranch_execz .LBB1_85
; %bb.80:                               ;   in Loop: Header=BB1_31 Depth=1
	v_mov_b32_e32 v22, 0
	v_mov_b32_e32 v23, 0
	s_mov_b32 s12, exec_lo
	v_cmpx_ne_u32_e32 0, v24
	s_cbranch_execz .LBB1_84
; %bb.81:                               ;   in Loop: Header=BB1_31 Depth=1
	v_mov_b32_e32 v22, 0
	v_mov_b32_e32 v23, 0
	s_mov_b64 s[10:11], 0
	s_mov_b32 s13, 0
	.p2align	6
.LBB1_82:                               ;   Parent Loop BB1_31 Depth=1
                                        ; =>  This Inner Loop Header: Depth=2
	buffer_load_ubyte v25, v8, s[0:3], 0 offen
	v_mov_b32_e32 v26, s15
	v_add_nc_u32_e32 v24, -1, v24
	v_add_nc_u32_e32 v8, 1, v8
	v_cmp_eq_u32_e64 s4, 0, v24
	s_waitcnt vmcnt(0)
	v_and_b32_e32 v25, 0xffff, v25
	v_lshlrev_b64 v[25:26], s10, v[25:26]
	s_add_u32 s10, s10, 8
	s_addc_u32 s11, s11, 0
	s_or_b32 s13, s4, s13
	v_or_b32_e32 v23, v26, v23
	v_or_b32_e32 v22, v25, v22
	s_andn2_b32 exec_lo, exec_lo, s13
	s_cbranch_execnz .LBB1_82
; %bb.83:                               ;   in Loop: Header=BB1_31 Depth=1
	s_or_b32 exec_lo, exec_lo, s13
.LBB1_84:                               ;   in Loop: Header=BB1_31 Depth=1
	s_or_b32 exec_lo, exec_lo, s12
                                        ; implicit-def: $vgpr8
.LBB1_85:                               ;   in Loop: Header=BB1_31 Depth=1
	s_andn2_saveexec_b32 s4, s5
	s_cbranch_execz .LBB1_87
; %bb.86:                               ;   in Loop: Header=BB1_31 Depth=1
	s_clause 0x1
	buffer_load_dword v22, v8, s[0:3], 0 offen
	buffer_load_dword v23, v8, s[0:3], 0 offen offset:4
.LBB1_87:                               ;   in Loop: Header=BB1_31 Depth=1
	s_or_b32 exec_lo, exec_lo, s4
	v_readfirstlane_b32 s4, v32
	v_mov_b32_e32 v30, 0
	v_mov_b32_e32 v31, 0
	v_cmp_eq_u32_e64 s4, s4, v32
	s_and_saveexec_b32 s10, s4
	s_cbranch_execz .LBB1_93
; %bb.88:                               ;   in Loop: Header=BB1_31 Depth=1
	global_load_dwordx2 v[26:27], v9, s[6:7] offset:24 glc dlc
	s_waitcnt vmcnt(0)
	buffer_gl1_inv
	buffer_gl0_inv
	s_clause 0x1
	global_load_dwordx2 v[24:25], v9, s[6:7] offset:40
	global_load_dwordx2 v[30:31], v9, s[6:7]
	s_mov_b32 s11, exec_lo
	s_waitcnt vmcnt(1)
	v_and_b32_e32 v8, v25, v27
	v_and_b32_e32 v24, v24, v26
	v_mul_lo_u32 v8, v8, 24
	v_mul_hi_u32 v25, v24, 24
	v_mul_lo_u32 v24, v24, 24
	v_add_nc_u32_e32 v8, v25, v8
	s_waitcnt vmcnt(0)
	v_add_co_u32 v24, s5, v30, v24
	v_add_co_ci_u32_e64 v25, null, v31, v8, s5
	global_load_dwordx2 v[24:25], v[24:25], off glc dlc
	s_waitcnt vmcnt(0)
	global_atomic_cmpswap_x2 v[30:31], v9, v[24:27], s[6:7] offset:24 glc
	s_waitcnt vmcnt(0)
	buffer_gl1_inv
	buffer_gl0_inv
	v_cmpx_ne_u64_e64 v[30:31], v[26:27]
	s_cbranch_execz .LBB1_92
; %bb.89:                               ;   in Loop: Header=BB1_31 Depth=1
	s_mov_b32 s12, 0
	.p2align	6
.LBB1_90:                               ;   Parent Loop BB1_31 Depth=1
                                        ; =>  This Inner Loop Header: Depth=2
	s_sleep 1
	s_clause 0x1
	global_load_dwordx2 v[24:25], v9, s[6:7] offset:40
	global_load_dwordx2 v[37:38], v9, s[6:7]
	v_mov_b32_e32 v26, v30
	v_mov_b32_e32 v27, v31
	s_waitcnt vmcnt(1)
	v_and_b32_e32 v8, v24, v26
	v_and_b32_e32 v24, v25, v27
	s_waitcnt vmcnt(0)
	v_mad_u64_u32 v[30:31], null, v8, 24, v[37:38]
	v_mov_b32_e32 v8, v31
	v_mad_u64_u32 v[24:25], null, v24, 24, v[8:9]
	v_mov_b32_e32 v31, v24
	global_load_dwordx2 v[24:25], v[30:31], off glc dlc
	s_waitcnt vmcnt(0)
	global_atomic_cmpswap_x2 v[30:31], v9, v[24:27], s[6:7] offset:24 glc
	s_waitcnt vmcnt(0)
	buffer_gl1_inv
	buffer_gl0_inv
	v_cmp_eq_u64_e64 s5, v[30:31], v[26:27]
	s_or_b32 s12, s5, s12
	s_andn2_b32 exec_lo, exec_lo, s12
	s_cbranch_execnz .LBB1_90
; %bb.91:                               ;   in Loop: Header=BB1_31 Depth=1
	s_or_b32 exec_lo, exec_lo, s12
.LBB1_92:                               ;   in Loop: Header=BB1_31 Depth=1
	s_or_b32 exec_lo, exec_lo, s11
.LBB1_93:                               ;   in Loop: Header=BB1_31 Depth=1
	s_or_b32 exec_lo, exec_lo, s10
	s_clause 0x1
	global_load_dwordx2 v[37:38], v9, s[6:7] offset:40
	global_load_dwordx4 v[24:27], v9, s[6:7]
	v_readfirstlane_b32 s11, v31
	v_readfirstlane_b32 s10, v30
	s_mov_b32 s16, exec_lo
	s_waitcnt vmcnt(1)
	v_readfirstlane_b32 s12, v37
	v_readfirstlane_b32 s13, v38
	s_and_b64 s[12:13], s[12:13], s[10:11]
	s_mul_i32 s5, s13, 24
	s_mul_hi_u32 s17, s12, 24
	s_mul_i32 s18, s12, 24
	s_add_i32 s17, s17, s5
	s_waitcnt vmcnt(0)
	v_add_co_u32 v30, s5, v24, s18
	v_add_co_ci_u32_e64 v31, null, s17, v25, s5
	s_and_saveexec_b32 s5, s4
	s_cbranch_execz .LBB1_95
; %bb.94:                               ;   in Loop: Header=BB1_31 Depth=1
	v_mov_b32_e32 v8, s16
	global_store_dwordx4 v[30:31], v[8:11], off offset:8
.LBB1_95:                               ;   in Loop: Header=BB1_31 Depth=1
	s_or_b32 exec_lo, exec_lo, s5
	v_cmp_gt_u64_e64 s5, 57, v[28:29]
	v_and_b32_e32 v0, 0xffffff1f, v0
	s_lshl_b64 s[12:13], s[12:13], 12
	v_cndmask_b32_e64 v8, 0, v34, s5
	v_add_co_u32 v37, s5, v26, s12
	v_add_co_ci_u32_e64 v27, null, s13, v27, s5
	v_lshl_add_u32 v26, v36, 2, 28
	v_or_b32_e32 v0, v0, v8
	v_readfirstlane_b32 s12, v37
	v_readfirstlane_b32 s13, v27
	v_and_or_b32 v0, 0x1e0, v26, v0
	v_cndmask_b32_e32 v26, 0, v29, vcc_lo
	global_store_dwordx4 v33, v[12:15], s[12:13] offset:16
	global_store_dwordx4 v33, v[0:3], s[12:13]
	global_store_dwordx4 v33, v[16:19], s[12:13] offset:32
	global_store_dwordx4 v33, v[20:23], s[12:13] offset:48
	s_and_saveexec_b32 s5, s4
	s_cbranch_execz .LBB1_103
; %bb.96:                               ;   in Loop: Header=BB1_31 Depth=1
	s_clause 0x1
	global_load_dwordx2 v[16:17], v9, s[6:7] offset:32 glc dlc
	global_load_dwordx2 v[0:1], v9, s[6:7] offset:40
	v_mov_b32_e32 v14, s10
	v_mov_b32_e32 v15, s11
	s_waitcnt vmcnt(0)
	v_readfirstlane_b32 s12, v0
	v_readfirstlane_b32 s13, v1
	s_and_b64 s[12:13], s[12:13], s[10:11]
	s_mul_i32 s13, s13, 24
	s_mul_hi_u32 s16, s12, 24
	s_mul_i32 s12, s12, 24
	s_add_i32 s16, s16, s13
	v_add_co_u32 v12, vcc_lo, v24, s12
	v_add_co_ci_u32_e64 v13, null, s16, v25, vcc_lo
	s_mov_b32 s12, exec_lo
	global_store_dwordx2 v[12:13], v[16:17], off
	s_waitcnt_vscnt null, 0x0
	global_atomic_cmpswap_x2 v[2:3], v9, v[14:17], s[6:7] offset:32 glc
	s_waitcnt vmcnt(0)
	v_cmpx_ne_u64_e64 v[2:3], v[16:17]
	s_cbranch_execz .LBB1_99
; %bb.97:                               ;   in Loop: Header=BB1_31 Depth=1
	s_mov_b32 s13, 0
.LBB1_98:                               ;   Parent Loop BB1_31 Depth=1
                                        ; =>  This Inner Loop Header: Depth=2
	v_mov_b32_e32 v0, s10
	v_mov_b32_e32 v1, s11
	s_sleep 1
	global_store_dwordx2 v[12:13], v[2:3], off
	s_waitcnt_vscnt null, 0x0
	global_atomic_cmpswap_x2 v[0:1], v9, v[0:3], s[6:7] offset:32 glc
	s_waitcnt vmcnt(0)
	v_cmp_eq_u64_e32 vcc_lo, v[0:1], v[2:3]
	v_mov_b32_e32 v3, v1
	v_mov_b32_e32 v2, v0
	s_or_b32 s13, vcc_lo, s13
	s_andn2_b32 exec_lo, exec_lo, s13
	s_cbranch_execnz .LBB1_98
.LBB1_99:                               ;   in Loop: Header=BB1_31 Depth=1
	s_or_b32 exec_lo, exec_lo, s12
	global_load_dwordx2 v[0:1], v9, s[6:7] offset:16
	s_mov_b32 s13, exec_lo
	s_mov_b32 s12, exec_lo
	v_mbcnt_lo_u32_b32 v2, s13, 0
	v_cmpx_eq_u32_e32 0, v2
	s_cbranch_execz .LBB1_101
; %bb.100:                              ;   in Loop: Header=BB1_31 Depth=1
	s_bcnt1_i32_b32 s13, s13
	v_mov_b32_e32 v8, s13
	s_waitcnt vmcnt(0)
	global_atomic_add_x2 v[0:1], v[8:9], off offset:8
.LBB1_101:                              ;   in Loop: Header=BB1_31 Depth=1
	s_or_b32 exec_lo, exec_lo, s12
	s_waitcnt vmcnt(0)
	global_load_dwordx2 v[2:3], v[0:1], off offset:16
	s_waitcnt vmcnt(0)
	v_cmp_eq_u64_e32 vcc_lo, 0, v[2:3]
	s_cbranch_vccnz .LBB1_103
; %bb.102:                              ;   in Loop: Header=BB1_31 Depth=1
	global_load_dword v8, v[0:1], off offset:24
	s_waitcnt vmcnt(0)
	v_readfirstlane_b32 s12, v8
	s_waitcnt_vscnt null, 0x0
	global_store_dwordx2 v[2:3], v[8:9], off
	s_and_b32 m0, s12, 0x7fffff
	s_sendmsg sendmsg(MSG_INTERRUPT)
.LBB1_103:                              ;   in Loop: Header=BB1_31 Depth=1
	s_or_b32 exec_lo, exec_lo, s5
	v_add_co_u32 v0, vcc_lo, v37, v33
	v_add_co_ci_u32_e64 v1, null, 0, v27, vcc_lo
	s_branch .LBB1_107
	.p2align	6
.LBB1_104:                              ;   in Loop: Header=BB1_107 Depth=2
	s_or_b32 exec_lo, exec_lo, s5
	v_readfirstlane_b32 s5, v2
	s_cmp_eq_u32 s5, 0
	s_cbranch_scc1 .LBB1_106
; %bb.105:                              ;   in Loop: Header=BB1_107 Depth=2
	s_sleep 1
	s_cbranch_execnz .LBB1_107
	s_branch .LBB1_109
	.p2align	6
.LBB1_106:                              ;   in Loop: Header=BB1_31 Depth=1
	s_branch .LBB1_109
.LBB1_107:                              ;   Parent Loop BB1_31 Depth=1
                                        ; =>  This Inner Loop Header: Depth=2
	v_mov_b32_e32 v2, 1
	s_and_saveexec_b32 s5, s4
	s_cbranch_execz .LBB1_104
; %bb.108:                              ;   in Loop: Header=BB1_107 Depth=2
	global_load_dword v2, v[30:31], off offset:20 glc dlc
	s_waitcnt vmcnt(0)
	buffer_gl1_inv
	buffer_gl0_inv
	v_and_b32_e32 v2, 1, v2
	s_branch .LBB1_104
.LBB1_109:                              ;   in Loop: Header=BB1_31 Depth=1
	global_load_dwordx2 v[0:1], v[0:1], off
	s_and_saveexec_b32 s12, s4
	s_cbranch_execz .LBB1_30
; %bb.110:                              ;   in Loop: Header=BB1_31 Depth=1
	s_clause 0x2
	global_load_dwordx2 v[2:3], v9, s[6:7] offset:40
	global_load_dwordx2 v[16:17], v9, s[6:7] offset:24 glc dlc
	global_load_dwordx2 v[12:13], v9, s[6:7]
	s_waitcnt vmcnt(2)
	v_readfirstlane_b32 s16, v2
	v_readfirstlane_b32 s17, v3
	s_add_u32 s13, s16, 1
	s_addc_u32 s18, s17, 0
	s_add_u32 s4, s13, s10
	s_addc_u32 s5, s18, s11
	s_cmp_eq_u64 s[4:5], 0
	s_cselect_b32 s5, s18, s5
	s_cselect_b32 s4, s13, s4
	v_mov_b32_e32 v15, s5
	s_and_b64 s[10:11], s[4:5], s[16:17]
	v_mov_b32_e32 v14, s4
	s_mul_i32 s11, s11, 24
	s_mul_hi_u32 s13, s10, 24
	s_mul_i32 s10, s10, 24
	s_add_i32 s13, s13, s11
	s_waitcnt vmcnt(0)
	v_add_co_u32 v2, vcc_lo, v12, s10
	v_add_co_ci_u32_e64 v3, null, s13, v13, vcc_lo
	global_store_dwordx2 v[2:3], v[16:17], off
	s_waitcnt_vscnt null, 0x0
	global_atomic_cmpswap_x2 v[14:15], v9, v[14:17], s[6:7] offset:24 glc
	s_waitcnt vmcnt(0)
	v_cmp_ne_u64_e32 vcc_lo, v[14:15], v[16:17]
	s_and_b32 exec_lo, exec_lo, vcc_lo
	s_cbranch_execz .LBB1_30
; %bb.111:                              ;   in Loop: Header=BB1_31 Depth=1
	s_mov_b32 s10, 0
.LBB1_112:                              ;   Parent Loop BB1_31 Depth=1
                                        ; =>  This Inner Loop Header: Depth=2
	v_mov_b32_e32 v12, s4
	v_mov_b32_e32 v13, s5
	s_sleep 1
	global_store_dwordx2 v[2:3], v[14:15], off
	s_waitcnt_vscnt null, 0x0
	global_atomic_cmpswap_x2 v[12:13], v9, v[12:15], s[6:7] offset:24 glc
	s_waitcnt vmcnt(0)
	v_cmp_eq_u64_e32 vcc_lo, v[12:13], v[14:15]
	v_mov_b32_e32 v15, v13
	v_mov_b32_e32 v14, v12
	s_or_b32 s10, vcc_lo, s10
	s_andn2_b32 exec_lo, exec_lo, s10
	s_cbranch_execnz .LBB1_112
	s_branch .LBB1_30
.LBB1_113:
                                        ; implicit-def: $vgpr0_vgpr1
	s_cbranch_execnz .LBB1_115
	s_branch .LBB1_142
.LBB1_114:
	s_or_b32 exec_lo, exec_lo, s14
	s_branch .LBB1_142
.LBB1_115:
	v_readfirstlane_b32 s4, v32
	v_mov_b32_e32 v9, 0
	v_mov_b32_e32 v10, 0
	v_cmp_eq_u32_e64 s4, s4, v32
	s_and_saveexec_b32 s5, s4
	s_cbranch_execz .LBB1_121
; %bb.116:
	s_waitcnt vmcnt(0)
	v_mov_b32_e32 v0, 0
	s_mov_b32 s10, exec_lo
	global_load_dwordx2 v[11:12], v0, s[6:7] offset:24 glc dlc
	s_waitcnt vmcnt(0)
	buffer_gl1_inv
	buffer_gl0_inv
	s_clause 0x1
	global_load_dwordx2 v[1:2], v0, s[6:7] offset:40
	global_load_dwordx2 v[8:9], v0, s[6:7]
	s_waitcnt vmcnt(1)
	v_and_b32_e32 v2, v2, v12
	v_and_b32_e32 v1, v1, v11
	v_mul_lo_u32 v2, v2, 24
	v_mul_hi_u32 v3, v1, 24
	v_mul_lo_u32 v1, v1, 24
	v_add_nc_u32_e32 v2, v3, v2
	s_waitcnt vmcnt(0)
	v_add_co_u32 v1, vcc_lo, v8, v1
	v_add_co_ci_u32_e64 v2, null, v9, v2, vcc_lo
	global_load_dwordx2 v[9:10], v[1:2], off glc dlc
	s_waitcnt vmcnt(0)
	global_atomic_cmpswap_x2 v[9:10], v0, v[9:12], s[6:7] offset:24 glc
	s_waitcnt vmcnt(0)
	buffer_gl1_inv
	buffer_gl0_inv
	v_cmpx_ne_u64_e64 v[9:10], v[11:12]
	s_cbranch_execz .LBB1_120
; %bb.117:
	s_mov_b32 s11, 0
	.p2align	6
.LBB1_118:                              ; =>This Inner Loop Header: Depth=1
	s_sleep 1
	s_clause 0x1
	global_load_dwordx2 v[1:2], v0, s[6:7] offset:40
	global_load_dwordx2 v[13:14], v0, s[6:7]
	v_mov_b32_e32 v12, v10
	v_mov_b32_e32 v11, v9
	s_waitcnt vmcnt(1)
	v_and_b32_e32 v1, v1, v11
	v_and_b32_e32 v2, v2, v12
	s_waitcnt vmcnt(0)
	v_mad_u64_u32 v[8:9], null, v1, 24, v[13:14]
	v_mov_b32_e32 v1, v9
	v_mad_u64_u32 v[1:2], null, v2, 24, v[1:2]
	v_mov_b32_e32 v9, v1
	global_load_dwordx2 v[9:10], v[8:9], off glc dlc
	s_waitcnt vmcnt(0)
	global_atomic_cmpswap_x2 v[9:10], v0, v[9:12], s[6:7] offset:24 glc
	s_waitcnt vmcnt(0)
	buffer_gl1_inv
	buffer_gl0_inv
	v_cmp_eq_u64_e32 vcc_lo, v[9:10], v[11:12]
	s_or_b32 s11, vcc_lo, s11
	s_andn2_b32 exec_lo, exec_lo, s11
	s_cbranch_execnz .LBB1_118
; %bb.119:
	s_or_b32 exec_lo, exec_lo, s11
.LBB1_120:
	s_or_b32 exec_lo, exec_lo, s10
.LBB1_121:
	s_or_b32 exec_lo, exec_lo, s5
	v_mov_b32_e32 v8, 0
	v_readfirstlane_b32 s11, v10
	v_readfirstlane_b32 s10, v9
	s_mov_b32 s5, exec_lo
	s_clause 0x1
	global_load_dwordx2 v[11:12], v8, s[6:7] offset:40
	global_load_dwordx4 v[0:3], v8, s[6:7]
	s_waitcnt vmcnt(1)
	v_readfirstlane_b32 s12, v11
	v_readfirstlane_b32 s13, v12
	s_and_b64 s[12:13], s[12:13], s[10:11]
	s_mul_i32 s14, s13, 24
	s_mul_hi_u32 s15, s12, 24
	s_mul_i32 s16, s12, 24
	s_add_i32 s15, s15, s14
	s_waitcnt vmcnt(0)
	v_add_co_u32 v10, vcc_lo, v0, s16
	v_add_co_ci_u32_e64 v11, null, s15, v1, vcc_lo
	s_and_saveexec_b32 s14, s4
	s_cbranch_execz .LBB1_123
; %bb.122:
	v_mov_b32_e32 v12, s5
	v_mov_b32_e32 v13, v8
	;; [unrolled: 1-line block ×4, first 2 shown]
	global_store_dwordx4 v[10:11], v[12:15], off offset:8
.LBB1_123:
	s_or_b32 exec_lo, exec_lo, s14
	s_lshl_b64 s[12:13], s[12:13], 12
	v_and_or_b32 v6, 0xffffff1f, v6, 32
	v_add_co_u32 v2, vcc_lo, v2, s12
	v_add_co_ci_u32_e64 v3, null, s13, v3, vcc_lo
	s_mov_b32 s12, 0
	v_add_co_u32 v12, vcc_lo, v2, v33
	s_mov_b32 s15, s12
	s_mov_b32 s13, s12
	;; [unrolled: 1-line block ×3, first 2 shown]
	v_mov_b32_e32 v9, v8
	v_readfirstlane_b32 s16, v2
	v_readfirstlane_b32 s17, v3
	v_mov_b32_e32 v17, s15
	v_add_co_ci_u32_e64 v13, null, 0, v3, vcc_lo
	v_mov_b32_e32 v16, s14
	v_mov_b32_e32 v15, s13
	;; [unrolled: 1-line block ×3, first 2 shown]
	global_store_dwordx4 v33, v[6:9], s[16:17]
	global_store_dwordx4 v33, v[14:17], s[16:17] offset:16
	global_store_dwordx4 v33, v[14:17], s[16:17] offset:32
	;; [unrolled: 1-line block ×3, first 2 shown]
	s_and_saveexec_b32 s5, s4
	s_cbranch_execz .LBB1_131
; %bb.124:
	v_mov_b32_e32 v8, 0
	v_mov_b32_e32 v14, s10
	;; [unrolled: 1-line block ×3, first 2 shown]
	s_clause 0x1
	global_load_dwordx2 v[16:17], v8, s[6:7] offset:32 glc dlc
	global_load_dwordx2 v[2:3], v8, s[6:7] offset:40
	s_waitcnt vmcnt(0)
	v_readfirstlane_b32 s12, v2
	v_readfirstlane_b32 s13, v3
	s_and_b64 s[12:13], s[12:13], s[10:11]
	s_mul_i32 s13, s13, 24
	s_mul_hi_u32 s14, s12, 24
	s_mul_i32 s12, s12, 24
	s_add_i32 s14, s14, s13
	v_add_co_u32 v6, vcc_lo, v0, s12
	v_add_co_ci_u32_e64 v7, null, s14, v1, vcc_lo
	s_mov_b32 s12, exec_lo
	global_store_dwordx2 v[6:7], v[16:17], off
	s_waitcnt_vscnt null, 0x0
	global_atomic_cmpswap_x2 v[2:3], v8, v[14:17], s[6:7] offset:32 glc
	s_waitcnt vmcnt(0)
	v_cmpx_ne_u64_e64 v[2:3], v[16:17]
	s_cbranch_execz .LBB1_127
; %bb.125:
	s_mov_b32 s13, 0
.LBB1_126:                              ; =>This Inner Loop Header: Depth=1
	v_mov_b32_e32 v0, s10
	v_mov_b32_e32 v1, s11
	s_sleep 1
	global_store_dwordx2 v[6:7], v[2:3], off
	s_waitcnt_vscnt null, 0x0
	global_atomic_cmpswap_x2 v[0:1], v8, v[0:3], s[6:7] offset:32 glc
	s_waitcnt vmcnt(0)
	v_cmp_eq_u64_e32 vcc_lo, v[0:1], v[2:3]
	v_mov_b32_e32 v3, v1
	v_mov_b32_e32 v2, v0
	s_or_b32 s13, vcc_lo, s13
	s_andn2_b32 exec_lo, exec_lo, s13
	s_cbranch_execnz .LBB1_126
.LBB1_127:
	s_or_b32 exec_lo, exec_lo, s12
	v_mov_b32_e32 v3, 0
	s_mov_b32 s13, exec_lo
	s_mov_b32 s12, exec_lo
	v_mbcnt_lo_u32_b32 v2, s13, 0
	global_load_dwordx2 v[0:1], v3, s[6:7] offset:16
	v_cmpx_eq_u32_e32 0, v2
	s_cbranch_execz .LBB1_129
; %bb.128:
	s_bcnt1_i32_b32 s13, s13
	v_mov_b32_e32 v2, s13
	s_waitcnt vmcnt(0)
	global_atomic_add_x2 v[0:1], v[2:3], off offset:8
.LBB1_129:
	s_or_b32 exec_lo, exec_lo, s12
	s_waitcnt vmcnt(0)
	global_load_dwordx2 v[2:3], v[0:1], off offset:16
	s_waitcnt vmcnt(0)
	v_cmp_eq_u64_e32 vcc_lo, 0, v[2:3]
	s_cbranch_vccnz .LBB1_131
; %bb.130:
	global_load_dword v0, v[0:1], off offset:24
	v_mov_b32_e32 v1, 0
	s_waitcnt vmcnt(0)
	v_readfirstlane_b32 s12, v0
	s_waitcnt_vscnt null, 0x0
	global_store_dwordx2 v[2:3], v[0:1], off
	s_and_b32 m0, s12, 0x7fffff
	s_sendmsg sendmsg(MSG_INTERRUPT)
.LBB1_131:
	s_or_b32 exec_lo, exec_lo, s5
	s_branch .LBB1_135
	.p2align	6
.LBB1_132:                              ;   in Loop: Header=BB1_135 Depth=1
	s_or_b32 exec_lo, exec_lo, s5
	v_readfirstlane_b32 s5, v0
	s_cmp_eq_u32 s5, 0
	s_cbranch_scc1 .LBB1_134
; %bb.133:                              ;   in Loop: Header=BB1_135 Depth=1
	s_sleep 1
	s_cbranch_execnz .LBB1_135
	s_branch .LBB1_137
	.p2align	6
.LBB1_134:
	s_branch .LBB1_137
.LBB1_135:                              ; =>This Inner Loop Header: Depth=1
	v_mov_b32_e32 v0, 1
	s_and_saveexec_b32 s5, s4
	s_cbranch_execz .LBB1_132
; %bb.136:                              ;   in Loop: Header=BB1_135 Depth=1
	global_load_dword v0, v[10:11], off offset:20 glc dlc
	s_waitcnt vmcnt(0)
	buffer_gl1_inv
	buffer_gl0_inv
	v_and_b32_e32 v0, 1, v0
	s_branch .LBB1_132
.LBB1_137:
	global_load_dwordx2 v[0:1], v[12:13], off
	s_and_saveexec_b32 s12, s4
	s_cbranch_execz .LBB1_141
; %bb.138:
	v_mov_b32_e32 v10, 0
	s_clause 0x2
	global_load_dwordx2 v[2:3], v10, s[6:7] offset:40
	global_load_dwordx2 v[13:14], v10, s[6:7] offset:24 glc dlc
	global_load_dwordx2 v[6:7], v10, s[6:7]
	s_waitcnt vmcnt(2)
	v_readfirstlane_b32 s14, v2
	v_readfirstlane_b32 s15, v3
	s_add_u32 s13, s14, 1
	s_addc_u32 s16, s15, 0
	s_add_u32 s4, s13, s10
	s_addc_u32 s5, s16, s11
	s_cmp_eq_u64 s[4:5], 0
	s_cselect_b32 s5, s16, s5
	s_cselect_b32 s4, s13, s4
	v_mov_b32_e32 v12, s5
	s_and_b64 s[10:11], s[4:5], s[14:15]
	v_mov_b32_e32 v11, s4
	s_mul_i32 s11, s11, 24
	s_mul_hi_u32 s13, s10, 24
	s_mul_i32 s10, s10, 24
	s_add_i32 s13, s13, s11
	s_waitcnt vmcnt(0)
	v_add_co_u32 v2, vcc_lo, v6, s10
	v_add_co_ci_u32_e64 v3, null, s13, v7, vcc_lo
	global_store_dwordx2 v[2:3], v[13:14], off
	s_waitcnt_vscnt null, 0x0
	global_atomic_cmpswap_x2 v[8:9], v10, v[11:14], s[6:7] offset:24 glc
	s_waitcnt vmcnt(0)
	v_cmp_ne_u64_e32 vcc_lo, v[8:9], v[13:14]
	s_and_b32 exec_lo, exec_lo, vcc_lo
	s_cbranch_execz .LBB1_141
; %bb.139:
	s_mov_b32 s10, 0
.LBB1_140:                              ; =>This Inner Loop Header: Depth=1
	v_mov_b32_e32 v6, s4
	v_mov_b32_e32 v7, s5
	s_sleep 1
	global_store_dwordx2 v[2:3], v[8:9], off
	s_waitcnt_vscnt null, 0x0
	global_atomic_cmpswap_x2 v[6:7], v10, v[6:9], s[6:7] offset:24 glc
	s_waitcnt vmcnt(0)
	v_cmp_eq_u64_e32 vcc_lo, v[6:7], v[8:9]
	v_mov_b32_e32 v9, v7
	v_mov_b32_e32 v8, v6
	s_or_b32 s10, vcc_lo, s10
	s_andn2_b32 exec_lo, exec_lo, s10
	s_cbranch_execnz .LBB1_140
.LBB1_141:
	s_or_b32 exec_lo, exec_lo, s12
.LBB1_142:
	s_getpc_b64 s[10:11]
	s_add_u32 s10, s10, .str.4@rel32@lo+4
	s_addc_u32 s11, s11, .str.4@rel32@hi+12
	s_cmp_lg_u64 s[10:11], 0
	s_cbranch_scc0 .LBB1_220
; %bb.143:
	s_getpc_b64 s[4:5]
	s_add_u32 s4, s4, .str.4@rel32@lo+80
	s_addc_u32 s5, s5, .str.4@rel32@hi+88
	s_waitcnt vmcnt(0)
	v_and_b32_e32 v30, 2, v0
	v_mov_b32_e32 v11, 0
	v_and_b32_e32 v6, -3, v0
	v_mov_b32_e32 v7, v1
	v_mov_b32_e32 v12, 2
	;; [unrolled: 1-line block ×3, first 2 shown]
	s_sub_i32 s12, s4, s10
	s_ashr_i32 s13, s12, 31
	s_branch .LBB1_145
.LBB1_144:                              ;   in Loop: Header=BB1_145 Depth=1
	s_or_b32 exec_lo, exec_lo, s18
	s_sub_u32 s12, s12, s14
	s_subb_u32 s13, s13, s15
	s_add_u32 s10, s10, s14
	s_addc_u32 s11, s11, s15
	s_cmp_lg_u64 s[12:13], 0
	s_cbranch_scc0 .LBB1_221
.LBB1_145:                              ; =>This Loop Header: Depth=1
                                        ;     Child Loop BB1_148 Depth 2
                                        ;     Child Loop BB1_155 Depth 2
                                        ;     Child Loop BB1_162 Depth 2
                                        ;     Child Loop BB1_169 Depth 2
                                        ;     Child Loop BB1_176 Depth 2
                                        ;     Child Loop BB1_183 Depth 2
                                        ;     Child Loop BB1_190 Depth 2
                                        ;     Child Loop BB1_197 Depth 2
                                        ;     Child Loop BB1_205 Depth 2
                                        ;     Child Loop BB1_214 Depth 2
                                        ;     Child Loop BB1_219 Depth 2
	v_cmp_lt_u64_e64 s4, s[12:13], 56
	v_cmp_gt_u64_e64 s16, s[12:13], 7
	s_and_b32 s4, s4, exec_lo
	s_cselect_b32 s15, s13, 0
	s_cselect_b32 s14, s12, 56
	s_add_u32 s4, s10, 8
	s_addc_u32 s5, s11, 0
	s_and_b32 vcc_lo, exec_lo, s16
	s_cbranch_vccnz .LBB1_150
; %bb.146:                              ;   in Loop: Header=BB1_145 Depth=1
	v_mov_b32_e32 v8, 0
	v_mov_b32_e32 v9, 0
	s_cmp_eq_u64 s[12:13], 0
	s_cbranch_scc1 .LBB1_149
; %bb.147:                              ;   in Loop: Header=BB1_145 Depth=1
	s_lshl_b64 s[4:5], s[14:15], 3
	s_mov_b64 s[16:17], 0
	s_mov_b64 s[18:19], s[10:11]
.LBB1_148:                              ;   Parent Loop BB1_145 Depth=1
                                        ; =>  This Inner Loop Header: Depth=2
	global_load_ubyte v2, v11, s[18:19]
	s_waitcnt vmcnt(0)
	v_and_b32_e32 v10, 0xffff, v2
	v_lshlrev_b64 v[2:3], s16, v[10:11]
	s_add_u32 s16, s16, 8
	s_addc_u32 s17, s17, 0
	s_add_u32 s18, s18, 1
	s_addc_u32 s19, s19, 0
	s_cmp_lg_u32 s4, s16
	v_or_b32_e32 v8, v2, v8
	v_or_b32_e32 v9, v3, v9
	s_cbranch_scc1 .LBB1_148
.LBB1_149:                              ;   in Loop: Header=BB1_145 Depth=1
	s_mov_b64 s[4:5], s[10:11]
	s_mov_b32 s20, 0
	s_cbranch_execz .LBB1_151
	s_branch .LBB1_152
.LBB1_150:                              ;   in Loop: Header=BB1_145 Depth=1
	s_mov_b32 s20, 0
.LBB1_151:                              ;   in Loop: Header=BB1_145 Depth=1
	global_load_dwordx2 v[8:9], v11, s[10:11]
	s_add_i32 s20, s14, -8
.LBB1_152:                              ;   in Loop: Header=BB1_145 Depth=1
	s_add_u32 s16, s4, 8
	s_addc_u32 s17, s5, 0
	s_cmp_gt_u32 s20, 7
	s_cbranch_scc1 .LBB1_157
; %bb.153:                              ;   in Loop: Header=BB1_145 Depth=1
	v_mov_b32_e32 v14, 0
	v_mov_b32_e32 v15, 0
	s_cmp_eq_u32 s20, 0
	s_cbranch_scc1 .LBB1_156
; %bb.154:                              ;   in Loop: Header=BB1_145 Depth=1
	s_mov_b64 s[16:17], 0
	s_mov_b64 s[18:19], 0
.LBB1_155:                              ;   Parent Loop BB1_145 Depth=1
                                        ; =>  This Inner Loop Header: Depth=2
	s_add_u32 s22, s4, s18
	s_addc_u32 s23, s5, s19
	s_add_u32 s18, s18, 1
	global_load_ubyte v2, v11, s[22:23]
	s_addc_u32 s19, s19, 0
	s_waitcnt vmcnt(0)
	v_and_b32_e32 v10, 0xffff, v2
	v_lshlrev_b64 v[2:3], s16, v[10:11]
	s_add_u32 s16, s16, 8
	s_addc_u32 s17, s17, 0
	s_cmp_lg_u32 s20, s18
	v_or_b32_e32 v14, v2, v14
	v_or_b32_e32 v15, v3, v15
	s_cbranch_scc1 .LBB1_155
.LBB1_156:                              ;   in Loop: Header=BB1_145 Depth=1
	s_mov_b64 s[16:17], s[4:5]
	s_mov_b32 s21, 0
	s_cbranch_execz .LBB1_158
	s_branch .LBB1_159
.LBB1_157:                              ;   in Loop: Header=BB1_145 Depth=1
                                        ; implicit-def: $vgpr14_vgpr15
	s_mov_b32 s21, 0
.LBB1_158:                              ;   in Loop: Header=BB1_145 Depth=1
	global_load_dwordx2 v[14:15], v11, s[4:5]
	s_add_i32 s21, s20, -8
.LBB1_159:                              ;   in Loop: Header=BB1_145 Depth=1
	s_add_u32 s4, s16, 8
	s_addc_u32 s5, s17, 0
	s_cmp_gt_u32 s21, 7
	s_cbranch_scc1 .LBB1_164
; %bb.160:                              ;   in Loop: Header=BB1_145 Depth=1
	v_mov_b32_e32 v16, 0
	v_mov_b32_e32 v17, 0
	s_cmp_eq_u32 s21, 0
	s_cbranch_scc1 .LBB1_163
; %bb.161:                              ;   in Loop: Header=BB1_145 Depth=1
	s_mov_b64 s[4:5], 0
	s_mov_b64 s[18:19], 0
.LBB1_162:                              ;   Parent Loop BB1_145 Depth=1
                                        ; =>  This Inner Loop Header: Depth=2
	s_add_u32 s22, s16, s18
	s_addc_u32 s23, s17, s19
	s_add_u32 s18, s18, 1
	global_load_ubyte v2, v11, s[22:23]
	s_addc_u32 s19, s19, 0
	s_waitcnt vmcnt(0)
	v_and_b32_e32 v10, 0xffff, v2
	v_lshlrev_b64 v[2:3], s4, v[10:11]
	s_add_u32 s4, s4, 8
	s_addc_u32 s5, s5, 0
	s_cmp_lg_u32 s21, s18
	v_or_b32_e32 v16, v2, v16
	v_or_b32_e32 v17, v3, v17
	s_cbranch_scc1 .LBB1_162
.LBB1_163:                              ;   in Loop: Header=BB1_145 Depth=1
	s_mov_b64 s[4:5], s[16:17]
	s_mov_b32 s20, 0
	s_cbranch_execz .LBB1_165
	s_branch .LBB1_166
.LBB1_164:                              ;   in Loop: Header=BB1_145 Depth=1
	s_mov_b32 s20, 0
.LBB1_165:                              ;   in Loop: Header=BB1_145 Depth=1
	global_load_dwordx2 v[16:17], v11, s[16:17]
	s_add_i32 s20, s21, -8
.LBB1_166:                              ;   in Loop: Header=BB1_145 Depth=1
	s_add_u32 s16, s4, 8
	s_addc_u32 s17, s5, 0
	s_cmp_gt_u32 s20, 7
	s_cbranch_scc1 .LBB1_171
; %bb.167:                              ;   in Loop: Header=BB1_145 Depth=1
	v_mov_b32_e32 v18, 0
	v_mov_b32_e32 v19, 0
	s_cmp_eq_u32 s20, 0
	s_cbranch_scc1 .LBB1_170
; %bb.168:                              ;   in Loop: Header=BB1_145 Depth=1
	s_mov_b64 s[16:17], 0
	s_mov_b64 s[18:19], 0
.LBB1_169:                              ;   Parent Loop BB1_145 Depth=1
                                        ; =>  This Inner Loop Header: Depth=2
	s_add_u32 s22, s4, s18
	s_addc_u32 s23, s5, s19
	s_add_u32 s18, s18, 1
	global_load_ubyte v2, v11, s[22:23]
	s_addc_u32 s19, s19, 0
	s_waitcnt vmcnt(0)
	v_and_b32_e32 v10, 0xffff, v2
	v_lshlrev_b64 v[2:3], s16, v[10:11]
	s_add_u32 s16, s16, 8
	s_addc_u32 s17, s17, 0
	s_cmp_lg_u32 s20, s18
	v_or_b32_e32 v18, v2, v18
	v_or_b32_e32 v19, v3, v19
	s_cbranch_scc1 .LBB1_169
.LBB1_170:                              ;   in Loop: Header=BB1_145 Depth=1
	s_mov_b64 s[16:17], s[4:5]
	s_mov_b32 s21, 0
	s_cbranch_execz .LBB1_172
	s_branch .LBB1_173
.LBB1_171:                              ;   in Loop: Header=BB1_145 Depth=1
                                        ; implicit-def: $vgpr18_vgpr19
	s_mov_b32 s21, 0
.LBB1_172:                              ;   in Loop: Header=BB1_145 Depth=1
	global_load_dwordx2 v[18:19], v11, s[4:5]
	s_add_i32 s21, s20, -8
.LBB1_173:                              ;   in Loop: Header=BB1_145 Depth=1
	s_add_u32 s4, s16, 8
	s_addc_u32 s5, s17, 0
	s_cmp_gt_u32 s21, 7
	s_cbranch_scc1 .LBB1_178
; %bb.174:                              ;   in Loop: Header=BB1_145 Depth=1
	v_mov_b32_e32 v20, 0
	v_mov_b32_e32 v21, 0
	s_cmp_eq_u32 s21, 0
	s_cbranch_scc1 .LBB1_177
; %bb.175:                              ;   in Loop: Header=BB1_145 Depth=1
	s_mov_b64 s[4:5], 0
	s_mov_b64 s[18:19], 0
.LBB1_176:                              ;   Parent Loop BB1_145 Depth=1
                                        ; =>  This Inner Loop Header: Depth=2
	s_add_u32 s22, s16, s18
	s_addc_u32 s23, s17, s19
	s_add_u32 s18, s18, 1
	global_load_ubyte v2, v11, s[22:23]
	s_addc_u32 s19, s19, 0
	s_waitcnt vmcnt(0)
	v_and_b32_e32 v10, 0xffff, v2
	v_lshlrev_b64 v[2:3], s4, v[10:11]
	s_add_u32 s4, s4, 8
	s_addc_u32 s5, s5, 0
	s_cmp_lg_u32 s21, s18
	v_or_b32_e32 v20, v2, v20
	v_or_b32_e32 v21, v3, v21
	s_cbranch_scc1 .LBB1_176
.LBB1_177:                              ;   in Loop: Header=BB1_145 Depth=1
	s_mov_b64 s[4:5], s[16:17]
	s_mov_b32 s20, 0
	s_cbranch_execz .LBB1_179
	s_branch .LBB1_180
.LBB1_178:                              ;   in Loop: Header=BB1_145 Depth=1
	s_mov_b32 s20, 0
.LBB1_179:                              ;   in Loop: Header=BB1_145 Depth=1
	global_load_dwordx2 v[20:21], v11, s[16:17]
	s_add_i32 s20, s21, -8
.LBB1_180:                              ;   in Loop: Header=BB1_145 Depth=1
	s_add_u32 s16, s4, 8
	s_addc_u32 s17, s5, 0
	s_cmp_gt_u32 s20, 7
	s_cbranch_scc1 .LBB1_185
; %bb.181:                              ;   in Loop: Header=BB1_145 Depth=1
	v_mov_b32_e32 v22, 0
	v_mov_b32_e32 v23, 0
	s_cmp_eq_u32 s20, 0
	s_cbranch_scc1 .LBB1_184
; %bb.182:                              ;   in Loop: Header=BB1_145 Depth=1
	s_mov_b64 s[16:17], 0
	s_mov_b64 s[18:19], 0
.LBB1_183:                              ;   Parent Loop BB1_145 Depth=1
                                        ; =>  This Inner Loop Header: Depth=2
	s_add_u32 s22, s4, s18
	s_addc_u32 s23, s5, s19
	s_add_u32 s18, s18, 1
	global_load_ubyte v2, v11, s[22:23]
	s_addc_u32 s19, s19, 0
	s_waitcnt vmcnt(0)
	v_and_b32_e32 v10, 0xffff, v2
	v_lshlrev_b64 v[2:3], s16, v[10:11]
	s_add_u32 s16, s16, 8
	s_addc_u32 s17, s17, 0
	s_cmp_lg_u32 s20, s18
	v_or_b32_e32 v22, v2, v22
	v_or_b32_e32 v23, v3, v23
	s_cbranch_scc1 .LBB1_183
.LBB1_184:                              ;   in Loop: Header=BB1_145 Depth=1
	s_mov_b64 s[16:17], s[4:5]
	s_mov_b32 s21, 0
	s_cbranch_execz .LBB1_186
	s_branch .LBB1_187
.LBB1_185:                              ;   in Loop: Header=BB1_145 Depth=1
                                        ; implicit-def: $vgpr22_vgpr23
	s_mov_b32 s21, 0
.LBB1_186:                              ;   in Loop: Header=BB1_145 Depth=1
	global_load_dwordx2 v[22:23], v11, s[4:5]
	s_add_i32 s21, s20, -8
.LBB1_187:                              ;   in Loop: Header=BB1_145 Depth=1
	s_cmp_gt_u32 s21, 7
	s_cbranch_scc1 .LBB1_192
; %bb.188:                              ;   in Loop: Header=BB1_145 Depth=1
	v_mov_b32_e32 v24, 0
	v_mov_b32_e32 v25, 0
	s_cmp_eq_u32 s21, 0
	s_cbranch_scc1 .LBB1_191
; %bb.189:                              ;   in Loop: Header=BB1_145 Depth=1
	s_mov_b64 s[4:5], 0
	s_mov_b64 s[18:19], s[16:17]
.LBB1_190:                              ;   Parent Loop BB1_145 Depth=1
                                        ; =>  This Inner Loop Header: Depth=2
	global_load_ubyte v2, v11, s[18:19]
	s_add_i32 s21, s21, -1
	s_waitcnt vmcnt(0)
	v_and_b32_e32 v10, 0xffff, v2
	v_lshlrev_b64 v[2:3], s4, v[10:11]
	s_add_u32 s4, s4, 8
	s_addc_u32 s5, s5, 0
	s_add_u32 s18, s18, 1
	s_addc_u32 s19, s19, 0
	s_cmp_lg_u32 s21, 0
	v_or_b32_e32 v24, v2, v24
	v_or_b32_e32 v25, v3, v25
	s_cbranch_scc1 .LBB1_190
.LBB1_191:                              ;   in Loop: Header=BB1_145 Depth=1
	s_cbranch_execz .LBB1_193
	s_branch .LBB1_194
.LBB1_192:                              ;   in Loop: Header=BB1_145 Depth=1
.LBB1_193:                              ;   in Loop: Header=BB1_145 Depth=1
	global_load_dwordx2 v[24:25], v11, s[16:17]
.LBB1_194:                              ;   in Loop: Header=BB1_145 Depth=1
	v_readfirstlane_b32 s4, v32
	v_mov_b32_e32 v2, 0
	v_mov_b32_e32 v3, 0
	v_cmp_eq_u32_e64 s4, s4, v32
	s_and_saveexec_b32 s5, s4
	s_cbranch_execz .LBB1_200
; %bb.195:                              ;   in Loop: Header=BB1_145 Depth=1
	global_load_dwordx2 v[28:29], v11, s[6:7] offset:24 glc dlc
	s_waitcnt vmcnt(0)
	buffer_gl1_inv
	buffer_gl0_inv
	s_clause 0x1
	global_load_dwordx2 v[2:3], v11, s[6:7] offset:40
	global_load_dwordx2 v[26:27], v11, s[6:7]
	s_mov_b32 s16, exec_lo
	s_waitcnt vmcnt(1)
	v_and_b32_e32 v3, v3, v29
	v_and_b32_e32 v2, v2, v28
	v_mul_lo_u32 v3, v3, 24
	v_mul_hi_u32 v10, v2, 24
	v_mul_lo_u32 v2, v2, 24
	v_add_nc_u32_e32 v3, v10, v3
	s_waitcnt vmcnt(0)
	v_add_co_u32 v2, vcc_lo, v26, v2
	v_add_co_ci_u32_e64 v3, null, v27, v3, vcc_lo
	global_load_dwordx2 v[26:27], v[2:3], off glc dlc
	s_waitcnt vmcnt(0)
	global_atomic_cmpswap_x2 v[2:3], v11, v[26:29], s[6:7] offset:24 glc
	s_waitcnt vmcnt(0)
	buffer_gl1_inv
	buffer_gl0_inv
	v_cmpx_ne_u64_e64 v[2:3], v[28:29]
	s_cbranch_execz .LBB1_199
; %bb.196:                              ;   in Loop: Header=BB1_145 Depth=1
	s_mov_b32 s17, 0
	.p2align	6
.LBB1_197:                              ;   Parent Loop BB1_145 Depth=1
                                        ; =>  This Inner Loop Header: Depth=2
	s_sleep 1
	s_clause 0x1
	global_load_dwordx2 v[26:27], v11, s[6:7] offset:40
	global_load_dwordx2 v[34:35], v11, s[6:7]
	v_mov_b32_e32 v29, v3
	v_mov_b32_e32 v28, v2
	s_waitcnt vmcnt(1)
	v_and_b32_e32 v2, v26, v28
	v_and_b32_e32 v10, v27, v29
	s_waitcnt vmcnt(0)
	v_mad_u64_u32 v[2:3], null, v2, 24, v[34:35]
	v_mad_u64_u32 v[26:27], null, v10, 24, v[3:4]
	v_mov_b32_e32 v3, v26
	global_load_dwordx2 v[26:27], v[2:3], off glc dlc
	s_waitcnt vmcnt(0)
	global_atomic_cmpswap_x2 v[2:3], v11, v[26:29], s[6:7] offset:24 glc
	s_waitcnt vmcnt(0)
	buffer_gl1_inv
	buffer_gl0_inv
	v_cmp_eq_u64_e32 vcc_lo, v[2:3], v[28:29]
	s_or_b32 s17, vcc_lo, s17
	s_andn2_b32 exec_lo, exec_lo, s17
	s_cbranch_execnz .LBB1_197
; %bb.198:                              ;   in Loop: Header=BB1_145 Depth=1
	s_or_b32 exec_lo, exec_lo, s17
.LBB1_199:                              ;   in Loop: Header=BB1_145 Depth=1
	s_or_b32 exec_lo, exec_lo, s16
.LBB1_200:                              ;   in Loop: Header=BB1_145 Depth=1
	s_or_b32 exec_lo, exec_lo, s5
	s_clause 0x1
	global_load_dwordx2 v[34:35], v11, s[6:7] offset:40
	global_load_dwordx4 v[26:29], v11, s[6:7]
	v_readfirstlane_b32 s17, v3
	v_readfirstlane_b32 s16, v2
	s_mov_b32 s5, exec_lo
	s_waitcnt vmcnt(1)
	v_readfirstlane_b32 s18, v34
	v_readfirstlane_b32 s19, v35
	s_and_b64 s[18:19], s[18:19], s[16:17]
	s_mul_i32 s20, s19, 24
	s_mul_hi_u32 s21, s18, 24
	s_mul_i32 s22, s18, 24
	s_add_i32 s21, s21, s20
	s_waitcnt vmcnt(0)
	v_add_co_u32 v2, vcc_lo, v26, s22
	v_add_co_ci_u32_e64 v3, null, s21, v27, vcc_lo
	s_and_saveexec_b32 s20, s4
	s_cbranch_execz .LBB1_202
; %bb.201:                              ;   in Loop: Header=BB1_145 Depth=1
	v_mov_b32_e32 v10, s5
	global_store_dwordx4 v[2:3], v[10:13], off offset:8
.LBB1_202:                              ;   in Loop: Header=BB1_145 Depth=1
	s_or_b32 exec_lo, exec_lo, s20
	v_cmp_lt_u64_e64 vcc_lo, s[12:13], 57
	s_lshl_b64 s[18:19], s[18:19], 12
	v_and_b32_e32 v6, 0xffffff1f, v6
	s_lshl_b32 s5, s14, 2
	s_add_i32 s5, s5, 28
	v_cndmask_b32_e32 v10, 0, v30, vcc_lo
	v_add_co_u32 v28, vcc_lo, v28, s18
	v_add_co_ci_u32_e64 v29, null, s19, v29, vcc_lo
	v_or_b32_e32 v6, v6, v10
	v_readfirstlane_b32 s18, v28
	v_readfirstlane_b32 s19, v29
	v_and_or_b32 v6, 0x1e0, s5, v6
	global_store_dwordx4 v33, v[14:17], s[18:19] offset:16
	global_store_dwordx4 v33, v[6:9], s[18:19]
	global_store_dwordx4 v33, v[18:21], s[18:19] offset:32
	global_store_dwordx4 v33, v[22:25], s[18:19] offset:48
	s_and_saveexec_b32 s5, s4
	s_cbranch_execz .LBB1_210
; %bb.203:                              ;   in Loop: Header=BB1_145 Depth=1
	s_clause 0x1
	global_load_dwordx2 v[18:19], v11, s[6:7] offset:32 glc dlc
	global_load_dwordx2 v[6:7], v11, s[6:7] offset:40
	v_mov_b32_e32 v16, s16
	v_mov_b32_e32 v17, s17
	s_waitcnt vmcnt(0)
	v_readfirstlane_b32 s18, v6
	v_readfirstlane_b32 s19, v7
	s_and_b64 s[18:19], s[18:19], s[16:17]
	s_mul_i32 s19, s19, 24
	s_mul_hi_u32 s20, s18, 24
	s_mul_i32 s18, s18, 24
	s_add_i32 s20, s20, s19
	v_add_co_u32 v14, vcc_lo, v26, s18
	v_add_co_ci_u32_e64 v15, null, s20, v27, vcc_lo
	s_mov_b32 s18, exec_lo
	global_store_dwordx2 v[14:15], v[18:19], off
	s_waitcnt_vscnt null, 0x0
	global_atomic_cmpswap_x2 v[8:9], v11, v[16:19], s[6:7] offset:32 glc
	s_waitcnt vmcnt(0)
	v_cmpx_ne_u64_e64 v[8:9], v[18:19]
	s_cbranch_execz .LBB1_206
; %bb.204:                              ;   in Loop: Header=BB1_145 Depth=1
	s_mov_b32 s19, 0
.LBB1_205:                              ;   Parent Loop BB1_145 Depth=1
                                        ; =>  This Inner Loop Header: Depth=2
	v_mov_b32_e32 v6, s16
	v_mov_b32_e32 v7, s17
	s_sleep 1
	global_store_dwordx2 v[14:15], v[8:9], off
	s_waitcnt_vscnt null, 0x0
	global_atomic_cmpswap_x2 v[6:7], v11, v[6:9], s[6:7] offset:32 glc
	s_waitcnt vmcnt(0)
	v_cmp_eq_u64_e32 vcc_lo, v[6:7], v[8:9]
	v_mov_b32_e32 v9, v7
	v_mov_b32_e32 v8, v6
	s_or_b32 s19, vcc_lo, s19
	s_andn2_b32 exec_lo, exec_lo, s19
	s_cbranch_execnz .LBB1_205
.LBB1_206:                              ;   in Loop: Header=BB1_145 Depth=1
	s_or_b32 exec_lo, exec_lo, s18
	global_load_dwordx2 v[6:7], v11, s[6:7] offset:16
	s_mov_b32 s19, exec_lo
	s_mov_b32 s18, exec_lo
	v_mbcnt_lo_u32_b32 v8, s19, 0
	v_cmpx_eq_u32_e32 0, v8
	s_cbranch_execz .LBB1_208
; %bb.207:                              ;   in Loop: Header=BB1_145 Depth=1
	s_bcnt1_i32_b32 s19, s19
	v_mov_b32_e32 v10, s19
	s_waitcnt vmcnt(0)
	global_atomic_add_x2 v[6:7], v[10:11], off offset:8
.LBB1_208:                              ;   in Loop: Header=BB1_145 Depth=1
	s_or_b32 exec_lo, exec_lo, s18
	s_waitcnt vmcnt(0)
	global_load_dwordx2 v[8:9], v[6:7], off offset:16
	s_waitcnt vmcnt(0)
	v_cmp_eq_u64_e32 vcc_lo, 0, v[8:9]
	s_cbranch_vccnz .LBB1_210
; %bb.209:                              ;   in Loop: Header=BB1_145 Depth=1
	global_load_dword v10, v[6:7], off offset:24
	s_waitcnt vmcnt(0)
	v_readfirstlane_b32 s18, v10
	s_waitcnt_vscnt null, 0x0
	global_store_dwordx2 v[8:9], v[10:11], off
	s_and_b32 m0, s18, 0x7fffff
	s_sendmsg sendmsg(MSG_INTERRUPT)
.LBB1_210:                              ;   in Loop: Header=BB1_145 Depth=1
	s_or_b32 exec_lo, exec_lo, s5
	v_add_co_u32 v6, vcc_lo, v28, v33
	v_add_co_ci_u32_e64 v7, null, 0, v29, vcc_lo
	s_branch .LBB1_214
	.p2align	6
.LBB1_211:                              ;   in Loop: Header=BB1_214 Depth=2
	s_or_b32 exec_lo, exec_lo, s5
	v_readfirstlane_b32 s5, v8
	s_cmp_eq_u32 s5, 0
	s_cbranch_scc1 .LBB1_213
; %bb.212:                              ;   in Loop: Header=BB1_214 Depth=2
	s_sleep 1
	s_cbranch_execnz .LBB1_214
	s_branch .LBB1_216
	.p2align	6
.LBB1_213:                              ;   in Loop: Header=BB1_145 Depth=1
	s_branch .LBB1_216
.LBB1_214:                              ;   Parent Loop BB1_145 Depth=1
                                        ; =>  This Inner Loop Header: Depth=2
	v_mov_b32_e32 v8, 1
	s_and_saveexec_b32 s5, s4
	s_cbranch_execz .LBB1_211
; %bb.215:                              ;   in Loop: Header=BB1_214 Depth=2
	global_load_dword v8, v[2:3], off offset:20 glc dlc
	s_waitcnt vmcnt(0)
	buffer_gl1_inv
	buffer_gl0_inv
	v_and_b32_e32 v8, 1, v8
	s_branch .LBB1_211
.LBB1_216:                              ;   in Loop: Header=BB1_145 Depth=1
	global_load_dwordx2 v[6:7], v[6:7], off
	s_and_saveexec_b32 s18, s4
	s_cbranch_execz .LBB1_144
; %bb.217:                              ;   in Loop: Header=BB1_145 Depth=1
	s_clause 0x2
	global_load_dwordx2 v[2:3], v11, s[6:7] offset:40
	global_load_dwordx2 v[18:19], v11, s[6:7] offset:24 glc dlc
	global_load_dwordx2 v[8:9], v11, s[6:7]
	s_waitcnt vmcnt(2)
	v_readfirstlane_b32 s20, v2
	v_readfirstlane_b32 s21, v3
	s_add_u32 s19, s20, 1
	s_addc_u32 s22, s21, 0
	s_add_u32 s4, s19, s16
	s_addc_u32 s5, s22, s17
	s_cmp_eq_u64 s[4:5], 0
	s_cselect_b32 s5, s22, s5
	s_cselect_b32 s4, s19, s4
	v_mov_b32_e32 v17, s5
	s_and_b64 s[16:17], s[4:5], s[20:21]
	v_mov_b32_e32 v16, s4
	s_mul_i32 s17, s17, 24
	s_mul_hi_u32 s19, s16, 24
	s_mul_i32 s16, s16, 24
	s_add_i32 s19, s19, s17
	s_waitcnt vmcnt(0)
	v_add_co_u32 v2, vcc_lo, v8, s16
	v_add_co_ci_u32_e64 v3, null, s19, v9, vcc_lo
	global_store_dwordx2 v[2:3], v[18:19], off
	s_waitcnt_vscnt null, 0x0
	global_atomic_cmpswap_x2 v[16:17], v11, v[16:19], s[6:7] offset:24 glc
	s_waitcnt vmcnt(0)
	v_cmp_ne_u64_e32 vcc_lo, v[16:17], v[18:19]
	s_and_b32 exec_lo, exec_lo, vcc_lo
	s_cbranch_execz .LBB1_144
; %bb.218:                              ;   in Loop: Header=BB1_145 Depth=1
	s_mov_b32 s16, 0
.LBB1_219:                              ;   Parent Loop BB1_145 Depth=1
                                        ; =>  This Inner Loop Header: Depth=2
	v_mov_b32_e32 v14, s4
	v_mov_b32_e32 v15, s5
	s_sleep 1
	global_store_dwordx2 v[2:3], v[16:17], off
	s_waitcnt_vscnt null, 0x0
	global_atomic_cmpswap_x2 v[8:9], v11, v[14:17], s[6:7] offset:24 glc
	s_waitcnt vmcnt(0)
	v_cmp_eq_u64_e32 vcc_lo, v[8:9], v[16:17]
	v_mov_b32_e32 v17, v9
	v_mov_b32_e32 v16, v8
	s_or_b32 s16, vcc_lo, s16
	s_andn2_b32 exec_lo, exec_lo, s16
	s_cbranch_execnz .LBB1_219
	s_branch .LBB1_144
.LBB1_220:
                                        ; implicit-def: $vgpr6_vgpr7
	s_cbranch_execnz .LBB1_222
	s_branch .LBB1_249
.LBB1_221:
	s_branch .LBB1_249
.LBB1_222:
	v_readfirstlane_b32 s4, v32
	v_mov_b32_e32 v10, 0
	v_mov_b32_e32 v11, 0
	v_cmp_eq_u32_e64 s4, s4, v32
	s_and_saveexec_b32 s5, s4
	s_cbranch_execz .LBB1_228
; %bb.223:
	v_mov_b32_e32 v2, 0
	s_mov_b32 s10, exec_lo
	global_load_dwordx2 v[8:9], v2, s[6:7] offset:24 glc dlc
	s_waitcnt vmcnt(0)
	buffer_gl1_inv
	buffer_gl0_inv
	s_clause 0x1
	global_load_dwordx2 v[6:7], v2, s[6:7] offset:40
	global_load_dwordx2 v[10:11], v2, s[6:7]
	s_waitcnt vmcnt(1)
	v_and_b32_e32 v3, v7, v9
	v_and_b32_e32 v6, v6, v8
	v_mul_lo_u32 v3, v3, 24
	v_mul_hi_u32 v7, v6, 24
	v_mul_lo_u32 v6, v6, 24
	v_add_nc_u32_e32 v3, v7, v3
	s_waitcnt vmcnt(0)
	v_add_co_u32 v6, vcc_lo, v10, v6
	v_add_co_ci_u32_e64 v7, null, v11, v3, vcc_lo
	global_load_dwordx2 v[6:7], v[6:7], off glc dlc
	s_waitcnt vmcnt(0)
	global_atomic_cmpswap_x2 v[10:11], v2, v[6:9], s[6:7] offset:24 glc
	s_waitcnt vmcnt(0)
	buffer_gl1_inv
	buffer_gl0_inv
	v_cmpx_ne_u64_e64 v[10:11], v[8:9]
	s_cbranch_execz .LBB1_227
; %bb.224:
	s_mov_b32 s11, 0
	.p2align	6
.LBB1_225:                              ; =>This Inner Loop Header: Depth=1
	s_sleep 1
	s_clause 0x1
	global_load_dwordx2 v[6:7], v2, s[6:7] offset:40
	global_load_dwordx2 v[12:13], v2, s[6:7]
	v_mov_b32_e32 v8, v10
	v_mov_b32_e32 v9, v11
	s_waitcnt vmcnt(1)
	v_and_b32_e32 v3, v6, v8
	v_and_b32_e32 v6, v7, v9
	s_waitcnt vmcnt(0)
	v_mad_u64_u32 v[10:11], null, v3, 24, v[12:13]
	v_mov_b32_e32 v3, v11
	v_mad_u64_u32 v[6:7], null, v6, 24, v[3:4]
	v_mov_b32_e32 v11, v6
	global_load_dwordx2 v[6:7], v[10:11], off glc dlc
	s_waitcnt vmcnt(0)
	global_atomic_cmpswap_x2 v[10:11], v2, v[6:9], s[6:7] offset:24 glc
	s_waitcnt vmcnt(0)
	buffer_gl1_inv
	buffer_gl0_inv
	v_cmp_eq_u64_e32 vcc_lo, v[10:11], v[8:9]
	s_or_b32 s11, vcc_lo, s11
	s_andn2_b32 exec_lo, exec_lo, s11
	s_cbranch_execnz .LBB1_225
; %bb.226:
	s_or_b32 exec_lo, exec_lo, s11
.LBB1_227:
	s_or_b32 exec_lo, exec_lo, s10
.LBB1_228:
	s_or_b32 exec_lo, exec_lo, s5
	v_mov_b32_e32 v2, 0
	v_readfirstlane_b32 s11, v11
	v_readfirstlane_b32 s10, v10
	s_mov_b32 s5, exec_lo
	s_clause 0x1
	global_load_dwordx2 v[12:13], v2, s[6:7] offset:40
	global_load_dwordx4 v[6:9], v2, s[6:7]
	s_waitcnt vmcnt(1)
	v_readfirstlane_b32 s12, v12
	v_readfirstlane_b32 s13, v13
	s_and_b64 s[12:13], s[12:13], s[10:11]
	s_mul_i32 s14, s13, 24
	s_mul_hi_u32 s15, s12, 24
	s_mul_i32 s16, s12, 24
	s_add_i32 s15, s15, s14
	s_waitcnt vmcnt(0)
	v_add_co_u32 v10, vcc_lo, v6, s16
	v_add_co_ci_u32_e64 v11, null, s15, v7, vcc_lo
	s_and_saveexec_b32 s14, s4
	s_cbranch_execz .LBB1_230
; %bb.229:
	v_mov_b32_e32 v12, s5
	v_mov_b32_e32 v13, v2
	;; [unrolled: 1-line block ×4, first 2 shown]
	global_store_dwordx4 v[10:11], v[12:15], off offset:8
.LBB1_230:
	s_or_b32 exec_lo, exec_lo, s14
	s_lshl_b64 s[12:13], s[12:13], 12
	v_and_or_b32 v0, 0xffffff1f, v0, 32
	v_add_co_u32 v8, vcc_lo, v8, s12
	v_add_co_ci_u32_e64 v9, null, s13, v9, vcc_lo
	s_mov_b32 s12, 0
	v_readfirstlane_b32 s16, v8
	v_add_co_u32 v8, vcc_lo, v8, v33
	s_mov_b32 s13, s12
	s_mov_b32 s14, s12
	;; [unrolled: 1-line block ×3, first 2 shown]
	v_mov_b32_e32 v3, v2
	v_readfirstlane_b32 s17, v9
	v_mov_b32_e32 v12, s12
	v_add_co_ci_u32_e64 v9, null, 0, v9, vcc_lo
	v_mov_b32_e32 v13, s13
	v_mov_b32_e32 v14, s14
	;; [unrolled: 1-line block ×3, first 2 shown]
	global_store_dwordx4 v33, v[0:3], s[16:17]
	global_store_dwordx4 v33, v[12:15], s[16:17] offset:16
	global_store_dwordx4 v33, v[12:15], s[16:17] offset:32
	;; [unrolled: 1-line block ×3, first 2 shown]
	s_and_saveexec_b32 s5, s4
	s_cbranch_execz .LBB1_238
; %bb.231:
	v_mov_b32_e32 v12, 0
	v_mov_b32_e32 v13, s10
	;; [unrolled: 1-line block ×3, first 2 shown]
	s_clause 0x1
	global_load_dwordx2 v[15:16], v12, s[6:7] offset:32 glc dlc
	global_load_dwordx2 v[0:1], v12, s[6:7] offset:40
	s_waitcnt vmcnt(0)
	v_readfirstlane_b32 s12, v0
	v_readfirstlane_b32 s13, v1
	s_and_b64 s[12:13], s[12:13], s[10:11]
	s_mul_i32 s13, s13, 24
	s_mul_hi_u32 s14, s12, 24
	s_mul_i32 s12, s12, 24
	s_add_i32 s14, s14, s13
	v_add_co_u32 v6, vcc_lo, v6, s12
	v_add_co_ci_u32_e64 v7, null, s14, v7, vcc_lo
	s_mov_b32 s12, exec_lo
	global_store_dwordx2 v[6:7], v[15:16], off
	s_waitcnt_vscnt null, 0x0
	global_atomic_cmpswap_x2 v[2:3], v12, v[13:16], s[6:7] offset:32 glc
	s_waitcnt vmcnt(0)
	v_cmpx_ne_u64_e64 v[2:3], v[15:16]
	s_cbranch_execz .LBB1_234
; %bb.232:
	s_mov_b32 s13, 0
.LBB1_233:                              ; =>This Inner Loop Header: Depth=1
	v_mov_b32_e32 v0, s10
	v_mov_b32_e32 v1, s11
	s_sleep 1
	global_store_dwordx2 v[6:7], v[2:3], off
	s_waitcnt_vscnt null, 0x0
	global_atomic_cmpswap_x2 v[0:1], v12, v[0:3], s[6:7] offset:32 glc
	s_waitcnt vmcnt(0)
	v_cmp_eq_u64_e32 vcc_lo, v[0:1], v[2:3]
	v_mov_b32_e32 v3, v1
	v_mov_b32_e32 v2, v0
	s_or_b32 s13, vcc_lo, s13
	s_andn2_b32 exec_lo, exec_lo, s13
	s_cbranch_execnz .LBB1_233
.LBB1_234:
	s_or_b32 exec_lo, exec_lo, s12
	v_mov_b32_e32 v3, 0
	s_mov_b32 s13, exec_lo
	s_mov_b32 s12, exec_lo
	v_mbcnt_lo_u32_b32 v2, s13, 0
	global_load_dwordx2 v[0:1], v3, s[6:7] offset:16
	v_cmpx_eq_u32_e32 0, v2
	s_cbranch_execz .LBB1_236
; %bb.235:
	s_bcnt1_i32_b32 s13, s13
	v_mov_b32_e32 v2, s13
	s_waitcnt vmcnt(0)
	global_atomic_add_x2 v[0:1], v[2:3], off offset:8
.LBB1_236:
	s_or_b32 exec_lo, exec_lo, s12
	s_waitcnt vmcnt(0)
	global_load_dwordx2 v[2:3], v[0:1], off offset:16
	s_waitcnt vmcnt(0)
	v_cmp_eq_u64_e32 vcc_lo, 0, v[2:3]
	s_cbranch_vccnz .LBB1_238
; %bb.237:
	global_load_dword v0, v[0:1], off offset:24
	v_mov_b32_e32 v1, 0
	s_waitcnt vmcnt(0)
	v_readfirstlane_b32 s12, v0
	s_waitcnt_vscnt null, 0x0
	global_store_dwordx2 v[2:3], v[0:1], off
	s_and_b32 m0, s12, 0x7fffff
	s_sendmsg sendmsg(MSG_INTERRUPT)
.LBB1_238:
	s_or_b32 exec_lo, exec_lo, s5
	s_branch .LBB1_242
	.p2align	6
.LBB1_239:                              ;   in Loop: Header=BB1_242 Depth=1
	s_or_b32 exec_lo, exec_lo, s5
	v_readfirstlane_b32 s5, v0
	s_cmp_eq_u32 s5, 0
	s_cbranch_scc1 .LBB1_241
; %bb.240:                              ;   in Loop: Header=BB1_242 Depth=1
	s_sleep 1
	s_cbranch_execnz .LBB1_242
	s_branch .LBB1_244
	.p2align	6
.LBB1_241:
	s_branch .LBB1_244
.LBB1_242:                              ; =>This Inner Loop Header: Depth=1
	v_mov_b32_e32 v0, 1
	s_and_saveexec_b32 s5, s4
	s_cbranch_execz .LBB1_239
; %bb.243:                              ;   in Loop: Header=BB1_242 Depth=1
	global_load_dword v0, v[10:11], off offset:20 glc dlc
	s_waitcnt vmcnt(0)
	buffer_gl1_inv
	buffer_gl0_inv
	v_and_b32_e32 v0, 1, v0
	s_branch .LBB1_239
.LBB1_244:
	global_load_dwordx2 v[6:7], v[8:9], off
	s_and_saveexec_b32 s12, s4
	s_cbranch_execz .LBB1_248
; %bb.245:
	v_mov_b32_e32 v10, 0
	s_clause 0x2
	global_load_dwordx2 v[0:1], v10, s[6:7] offset:40
	global_load_dwordx2 v[13:14], v10, s[6:7] offset:24 glc dlc
	global_load_dwordx2 v[2:3], v10, s[6:7]
	s_waitcnt vmcnt(2)
	v_readfirstlane_b32 s14, v0
	v_readfirstlane_b32 s15, v1
	s_add_u32 s13, s14, 1
	s_addc_u32 s16, s15, 0
	s_add_u32 s4, s13, s10
	s_addc_u32 s5, s16, s11
	s_cmp_eq_u64 s[4:5], 0
	s_cselect_b32 s5, s16, s5
	s_cselect_b32 s4, s13, s4
	v_mov_b32_e32 v12, s5
	s_and_b64 s[10:11], s[4:5], s[14:15]
	v_mov_b32_e32 v11, s4
	s_mul_i32 s11, s11, 24
	s_mul_hi_u32 s13, s10, 24
	s_mul_i32 s10, s10, 24
	s_add_i32 s13, s13, s11
	s_waitcnt vmcnt(0)
	v_add_co_u32 v8, vcc_lo, v2, s10
	v_add_co_ci_u32_e64 v9, null, s13, v3, vcc_lo
	global_store_dwordx2 v[8:9], v[13:14], off
	s_waitcnt_vscnt null, 0x0
	global_atomic_cmpswap_x2 v[2:3], v10, v[11:14], s[6:7] offset:24 glc
	s_waitcnt vmcnt(0)
	v_cmp_ne_u64_e32 vcc_lo, v[2:3], v[13:14]
	s_and_b32 exec_lo, exec_lo, vcc_lo
	s_cbranch_execz .LBB1_248
; %bb.246:
	s_mov_b32 s10, 0
.LBB1_247:                              ; =>This Inner Loop Header: Depth=1
	v_mov_b32_e32 v0, s4
	v_mov_b32_e32 v1, s5
	s_sleep 1
	global_store_dwordx2 v[8:9], v[2:3], off
	s_waitcnt_vscnt null, 0x0
	global_atomic_cmpswap_x2 v[0:1], v10, v[0:3], s[6:7] offset:24 glc
	s_waitcnt vmcnt(0)
	v_cmp_eq_u64_e32 vcc_lo, v[0:1], v[2:3]
	v_mov_b32_e32 v3, v1
	v_mov_b32_e32 v2, v0
	s_or_b32 s10, vcc_lo, s10
	s_andn2_b32 exec_lo, exec_lo, s10
	s_cbranch_execnz .LBB1_247
.LBB1_248:
	s_or_b32 exec_lo, exec_lo, s12
.LBB1_249:
	v_readfirstlane_b32 s4, v32
	v_mov_b32_e32 v10, 0
	v_mov_b32_e32 v11, 0
	v_cmp_eq_u32_e64 s4, s4, v32
	s_and_saveexec_b32 s5, s4
	s_cbranch_execz .LBB1_255
; %bb.250:
	s_waitcnt vmcnt(0)
	v_mov_b32_e32 v0, 0
	s_mov_b32 s10, exec_lo
	global_load_dwordx2 v[12:13], v0, s[6:7] offset:24 glc dlc
	s_waitcnt vmcnt(0)
	buffer_gl1_inv
	buffer_gl0_inv
	s_clause 0x1
	global_load_dwordx2 v[1:2], v0, s[6:7] offset:40
	global_load_dwordx2 v[8:9], v0, s[6:7]
	s_waitcnt vmcnt(1)
	v_and_b32_e32 v2, v2, v13
	v_and_b32_e32 v1, v1, v12
	v_mul_lo_u32 v2, v2, 24
	v_mul_hi_u32 v3, v1, 24
	v_mul_lo_u32 v1, v1, 24
	v_add_nc_u32_e32 v2, v3, v2
	s_waitcnt vmcnt(0)
	v_add_co_u32 v1, vcc_lo, v8, v1
	v_add_co_ci_u32_e64 v2, null, v9, v2, vcc_lo
	global_load_dwordx2 v[10:11], v[1:2], off glc dlc
	s_waitcnt vmcnt(0)
	global_atomic_cmpswap_x2 v[10:11], v0, v[10:13], s[6:7] offset:24 glc
	s_waitcnt vmcnt(0)
	buffer_gl1_inv
	buffer_gl0_inv
	v_cmpx_ne_u64_e64 v[10:11], v[12:13]
	s_cbranch_execz .LBB1_254
; %bb.251:
	s_mov_b32 s11, 0
	.p2align	6
.LBB1_252:                              ; =>This Inner Loop Header: Depth=1
	s_sleep 1
	s_clause 0x1
	global_load_dwordx2 v[1:2], v0, s[6:7] offset:40
	global_load_dwordx2 v[8:9], v0, s[6:7]
	v_mov_b32_e32 v13, v11
	v_mov_b32_e32 v12, v10
	s_waitcnt vmcnt(1)
	v_and_b32_e32 v1, v1, v12
	v_and_b32_e32 v2, v2, v13
	s_waitcnt vmcnt(0)
	v_mad_u64_u32 v[8:9], null, v1, 24, v[8:9]
	v_mov_b32_e32 v1, v9
	v_mad_u64_u32 v[1:2], null, v2, 24, v[1:2]
	v_mov_b32_e32 v9, v1
	global_load_dwordx2 v[10:11], v[8:9], off glc dlc
	s_waitcnt vmcnt(0)
	global_atomic_cmpswap_x2 v[10:11], v0, v[10:13], s[6:7] offset:24 glc
	s_waitcnt vmcnt(0)
	buffer_gl1_inv
	buffer_gl0_inv
	v_cmp_eq_u64_e32 vcc_lo, v[10:11], v[12:13]
	s_or_b32 s11, vcc_lo, s11
	s_andn2_b32 exec_lo, exec_lo, s11
	s_cbranch_execnz .LBB1_252
; %bb.253:
	s_or_b32 exec_lo, exec_lo, s11
.LBB1_254:
	s_or_b32 exec_lo, exec_lo, s10
.LBB1_255:
	s_or_b32 exec_lo, exec_lo, s5
	v_mov_b32_e32 v9, 0
	v_readfirstlane_b32 s11, v11
	v_readfirstlane_b32 s10, v10
	s_mov_b32 s5, exec_lo
	s_clause 0x1
	global_load_dwordx2 v[12:13], v9, s[6:7] offset:40
	global_load_dwordx4 v[0:3], v9, s[6:7]
	s_waitcnt vmcnt(1)
	v_readfirstlane_b32 s12, v12
	v_readfirstlane_b32 s13, v13
	s_and_b64 s[12:13], s[12:13], s[10:11]
	s_mul_i32 s14, s13, 24
	s_mul_hi_u32 s15, s12, 24
	s_mul_i32 s16, s12, 24
	s_add_i32 s15, s15, s14
	s_waitcnt vmcnt(0)
	v_add_co_u32 v10, vcc_lo, v0, s16
	v_add_co_ci_u32_e64 v11, null, s15, v1, vcc_lo
	s_and_saveexec_b32 s14, s4
	s_cbranch_execz .LBB1_257
; %bb.256:
	v_mov_b32_e32 v8, s5
	v_mov_b32_e32 v13, v9
	;; [unrolled: 1-line block ×5, first 2 shown]
	global_store_dwordx4 v[10:11], v[12:15], off offset:8
.LBB1_257:
	s_or_b32 exec_lo, exec_lo, s14
	s_lshl_b64 s[12:13], s[12:13], 12
	v_and_or_b32 v6, 0xffffff1f, v6, 32
	v_add_co_u32 v2, vcc_lo, v2, s12
	v_add_co_ci_u32_e64 v3, null, s13, v3, vcc_lo
	s_mov_b32 s12, 0
	v_add_co_u32 v12, vcc_lo, v2, v33
	s_mov_b32 s15, s12
	s_mov_b32 s13, s12
	;; [unrolled: 1-line block ×3, first 2 shown]
	v_mov_b32_e32 v8, 0x331
	v_readfirstlane_b32 s16, v2
	v_readfirstlane_b32 s17, v3
	v_mov_b32_e32 v17, s15
	v_add_co_ci_u32_e64 v13, null, 0, v3, vcc_lo
	v_mov_b32_e32 v16, s14
	v_mov_b32_e32 v15, s13
	;; [unrolled: 1-line block ×3, first 2 shown]
	global_store_dwordx4 v33, v[6:9], s[16:17]
	global_store_dwordx4 v33, v[14:17], s[16:17] offset:16
	global_store_dwordx4 v33, v[14:17], s[16:17] offset:32
	;; [unrolled: 1-line block ×3, first 2 shown]
	s_and_saveexec_b32 s5, s4
	s_cbranch_execz .LBB1_265
; %bb.258:
	v_mov_b32_e32 v8, 0
	v_mov_b32_e32 v14, s10
	;; [unrolled: 1-line block ×3, first 2 shown]
	s_clause 0x1
	global_load_dwordx2 v[16:17], v8, s[6:7] offset:32 glc dlc
	global_load_dwordx2 v[2:3], v8, s[6:7] offset:40
	s_waitcnt vmcnt(0)
	v_readfirstlane_b32 s12, v2
	v_readfirstlane_b32 s13, v3
	s_and_b64 s[12:13], s[12:13], s[10:11]
	s_mul_i32 s13, s13, 24
	s_mul_hi_u32 s14, s12, 24
	s_mul_i32 s12, s12, 24
	s_add_i32 s14, s14, s13
	v_add_co_u32 v6, vcc_lo, v0, s12
	v_add_co_ci_u32_e64 v7, null, s14, v1, vcc_lo
	s_mov_b32 s12, exec_lo
	global_store_dwordx2 v[6:7], v[16:17], off
	s_waitcnt_vscnt null, 0x0
	global_atomic_cmpswap_x2 v[2:3], v8, v[14:17], s[6:7] offset:32 glc
	s_waitcnt vmcnt(0)
	v_cmpx_ne_u64_e64 v[2:3], v[16:17]
	s_cbranch_execz .LBB1_261
; %bb.259:
	s_mov_b32 s13, 0
.LBB1_260:                              ; =>This Inner Loop Header: Depth=1
	v_mov_b32_e32 v0, s10
	v_mov_b32_e32 v1, s11
	s_sleep 1
	global_store_dwordx2 v[6:7], v[2:3], off
	s_waitcnt_vscnt null, 0x0
	global_atomic_cmpswap_x2 v[0:1], v8, v[0:3], s[6:7] offset:32 glc
	s_waitcnt vmcnt(0)
	v_cmp_eq_u64_e32 vcc_lo, v[0:1], v[2:3]
	v_mov_b32_e32 v3, v1
	v_mov_b32_e32 v2, v0
	s_or_b32 s13, vcc_lo, s13
	s_andn2_b32 exec_lo, exec_lo, s13
	s_cbranch_execnz .LBB1_260
.LBB1_261:
	s_or_b32 exec_lo, exec_lo, s12
	v_mov_b32_e32 v3, 0
	s_mov_b32 s13, exec_lo
	s_mov_b32 s12, exec_lo
	v_mbcnt_lo_u32_b32 v2, s13, 0
	global_load_dwordx2 v[0:1], v3, s[6:7] offset:16
	v_cmpx_eq_u32_e32 0, v2
	s_cbranch_execz .LBB1_263
; %bb.262:
	s_bcnt1_i32_b32 s13, s13
	v_mov_b32_e32 v2, s13
	s_waitcnt vmcnt(0)
	global_atomic_add_x2 v[0:1], v[2:3], off offset:8
.LBB1_263:
	s_or_b32 exec_lo, exec_lo, s12
	s_waitcnt vmcnt(0)
	global_load_dwordx2 v[2:3], v[0:1], off offset:16
	s_waitcnt vmcnt(0)
	v_cmp_eq_u64_e32 vcc_lo, 0, v[2:3]
	s_cbranch_vccnz .LBB1_265
; %bb.264:
	global_load_dword v0, v[0:1], off offset:24
	v_mov_b32_e32 v1, 0
	s_waitcnt vmcnt(0)
	v_readfirstlane_b32 s12, v0
	s_waitcnt_vscnt null, 0x0
	global_store_dwordx2 v[2:3], v[0:1], off
	s_and_b32 m0, s12, 0x7fffff
	s_sendmsg sendmsg(MSG_INTERRUPT)
.LBB1_265:
	s_or_b32 exec_lo, exec_lo, s5
	s_branch .LBB1_269
	.p2align	6
.LBB1_266:                              ;   in Loop: Header=BB1_269 Depth=1
	s_or_b32 exec_lo, exec_lo, s5
	v_readfirstlane_b32 s5, v0
	s_cmp_eq_u32 s5, 0
	s_cbranch_scc1 .LBB1_268
; %bb.267:                              ;   in Loop: Header=BB1_269 Depth=1
	s_sleep 1
	s_cbranch_execnz .LBB1_269
	s_branch .LBB1_271
	.p2align	6
.LBB1_268:
	s_branch .LBB1_271
.LBB1_269:                              ; =>This Inner Loop Header: Depth=1
	v_mov_b32_e32 v0, 1
	s_and_saveexec_b32 s5, s4
	s_cbranch_execz .LBB1_266
; %bb.270:                              ;   in Loop: Header=BB1_269 Depth=1
	global_load_dword v0, v[10:11], off offset:20 glc dlc
	s_waitcnt vmcnt(0)
	buffer_gl1_inv
	buffer_gl0_inv
	v_and_b32_e32 v0, 1, v0
	s_branch .LBB1_266
.LBB1_271:
	global_load_dwordx2 v[0:1], v[12:13], off
	s_and_saveexec_b32 s12, s4
	s_cbranch_execz .LBB1_275
; %bb.272:
	v_mov_b32_e32 v10, 0
	s_clause 0x2
	global_load_dwordx2 v[2:3], v10, s[6:7] offset:40
	global_load_dwordx2 v[13:14], v10, s[6:7] offset:24 glc dlc
	global_load_dwordx2 v[6:7], v10, s[6:7]
	s_waitcnt vmcnt(2)
	v_readfirstlane_b32 s14, v2
	v_readfirstlane_b32 s15, v3
	s_add_u32 s13, s14, 1
	s_addc_u32 s16, s15, 0
	s_add_u32 s4, s13, s10
	s_addc_u32 s5, s16, s11
	s_cmp_eq_u64 s[4:5], 0
	s_cselect_b32 s5, s16, s5
	s_cselect_b32 s4, s13, s4
	v_mov_b32_e32 v12, s5
	s_and_b64 s[10:11], s[4:5], s[14:15]
	v_mov_b32_e32 v11, s4
	s_mul_i32 s11, s11, 24
	s_mul_hi_u32 s13, s10, 24
	s_mul_i32 s10, s10, 24
	s_add_i32 s13, s13, s11
	s_waitcnt vmcnt(0)
	v_add_co_u32 v2, vcc_lo, v6, s10
	v_add_co_ci_u32_e64 v3, null, s13, v7, vcc_lo
	global_store_dwordx2 v[2:3], v[13:14], off
	s_waitcnt_vscnt null, 0x0
	global_atomic_cmpswap_x2 v[8:9], v10, v[11:14], s[6:7] offset:24 glc
	s_waitcnt vmcnt(0)
	v_cmp_ne_u64_e32 vcc_lo, v[8:9], v[13:14]
	s_and_b32 exec_lo, exec_lo, vcc_lo
	s_cbranch_execz .LBB1_275
; %bb.273:
	s_mov_b32 s10, 0
.LBB1_274:                              ; =>This Inner Loop Header: Depth=1
	v_mov_b32_e32 v6, s4
	v_mov_b32_e32 v7, s5
	s_sleep 1
	global_store_dwordx2 v[2:3], v[8:9], off
	s_waitcnt_vscnt null, 0x0
	global_atomic_cmpswap_x2 v[6:7], v10, v[6:9], s[6:7] offset:24 glc
	s_waitcnt vmcnt(0)
	v_cmp_eq_u64_e32 vcc_lo, v[6:7], v[8:9]
	v_mov_b32_e32 v9, v7
	v_mov_b32_e32 v8, v6
	s_or_b32 s10, vcc_lo, s10
	s_andn2_b32 exec_lo, exec_lo, s10
	s_cbranch_execnz .LBB1_274
.LBB1_275:
	s_or_b32 exec_lo, exec_lo, s12
	v_mov_b32_e32 v7, v5
	v_mov_b32_e32 v6, v4
	s_mov_b32 s4, 0
.LBB1_276:                              ; =>This Inner Loop Header: Depth=1
	global_load_ubyte v8, v[6:7], off
	v_add_co_u32 v2, vcc_lo, v6, 1
	v_add_co_ci_u32_e64 v3, null, 0, v7, vcc_lo
	v_mov_b32_e32 v7, v3
	v_mov_b32_e32 v6, v2
	s_waitcnt vmcnt(0)
	v_cmp_eq_u16_e32 vcc_lo, 0, v8
	s_or_b32 s4, vcc_lo, s4
	s_andn2_b32 exec_lo, exec_lo, s4
	s_cbranch_execnz .LBB1_276
; %bb.277:
	s_or_b32 exec_lo, exec_lo, s4
	s_mov_b32 s4, exec_lo
	v_cmpx_ne_u64_e32 0, v[4:5]
	s_xor_b32 s14, exec_lo, s4
	s_cbranch_execz .LBB1_363
; %bb.278:
	v_sub_nc_u32_e32 v26, v2, v4
	v_and_b32_e32 v34, 2, v0
	v_mov_b32_e32 v7, 0
	v_and_b32_e32 v0, -3, v0
	v_mov_b32_e32 v8, 2
	v_ashrrev_i32_e32 v27, 31, v26
	v_mov_b32_e32 v9, 1
	s_mov_b32 s16, 0
	s_mov_b32 s15, 0
	s_branch .LBB1_280
.LBB1_279:                              ;   in Loop: Header=BB1_280 Depth=1
	s_or_b32 exec_lo, exec_lo, s12
	v_sub_co_u32 v26, vcc_lo, v26, v28
	v_sub_co_ci_u32_e64 v27, null, v27, v29, vcc_lo
	v_add_co_u32 v4, s4, v4, v28
	v_add_co_ci_u32_e64 v5, null, v5, v29, s4
	v_cmp_eq_u64_e32 vcc_lo, 0, v[26:27]
	s_or_b32 s15, vcc_lo, s15
	s_andn2_b32 exec_lo, exec_lo, s15
	s_cbranch_execz .LBB1_362
.LBB1_280:                              ; =>This Loop Header: Depth=1
                                        ;     Child Loop BB1_283 Depth 2
                                        ;     Child Loop BB1_291 Depth 2
	;; [unrolled: 1-line block ×11, first 2 shown]
	v_cmp_gt_u64_e32 vcc_lo, 56, v[26:27]
	s_mov_b32 s5, exec_lo
	v_cndmask_b32_e32 v29, 0, v27, vcc_lo
	v_cndmask_b32_e32 v28, 56, v26, vcc_lo
	v_add_co_u32 v12, vcc_lo, v4, 8
	v_add_co_ci_u32_e64 v13, null, 0, v5, vcc_lo
	v_cmpx_gt_u64_e32 8, v[26:27]
	s_xor_b32 s5, exec_lo, s5
	s_cbranch_execz .LBB1_286
; %bb.281:                              ;   in Loop: Header=BB1_280 Depth=1
	v_mov_b32_e32 v2, 0
	v_mov_b32_e32 v3, 0
	s_mov_b32 s12, exec_lo
	v_cmpx_ne_u64_e32 0, v[26:27]
	s_cbranch_execz .LBB1_285
; %bb.282:                              ;   in Loop: Header=BB1_280 Depth=1
	v_lshlrev_b64 v[10:11], 3, v[28:29]
	v_mov_b32_e32 v2, 0
	v_mov_b32_e32 v12, v5
	;; [unrolled: 1-line block ×4, first 2 shown]
	s_mov_b64 s[10:11], 0
	s_mov_b32 s13, 0
	.p2align	6
.LBB1_283:                              ;   Parent Loop BB1_280 Depth=1
                                        ; =>  This Inner Loop Header: Depth=2
	global_load_ubyte v6, v[11:12], off
	v_mov_b32_e32 v14, s16
	v_add_co_u32 v11, vcc_lo, v11, 1
	v_add_co_ci_u32_e64 v12, null, 0, v12, vcc_lo
	s_waitcnt vmcnt(0)
	v_and_b32_e32 v13, 0xffff, v6
	v_lshlrev_b64 v[13:14], s10, v[13:14]
	s_add_u32 s10, s10, 8
	s_addc_u32 s11, s11, 0
	v_cmp_eq_u32_e64 s4, s10, v10
	v_or_b32_e32 v3, v14, v3
	v_or_b32_e32 v2, v13, v2
	s_or_b32 s13, s4, s13
	s_andn2_b32 exec_lo, exec_lo, s13
	s_cbranch_execnz .LBB1_283
; %bb.284:                              ;   in Loop: Header=BB1_280 Depth=1
	s_or_b32 exec_lo, exec_lo, s13
.LBB1_285:                              ;   in Loop: Header=BB1_280 Depth=1
	s_or_b32 exec_lo, exec_lo, s12
	v_mov_b32_e32 v13, v5
	v_mov_b32_e32 v12, v4
.LBB1_286:                              ;   in Loop: Header=BB1_280 Depth=1
	s_or_saveexec_b32 s4, s5
	v_mov_b32_e32 v6, 0
	s_xor_b32 exec_lo, exec_lo, s4
	s_cbranch_execz .LBB1_288
; %bb.287:                              ;   in Loop: Header=BB1_280 Depth=1
	global_load_dwordx2 v[2:3], v[4:5], off
	v_add_nc_u32_e32 v6, -8, v28
.LBB1_288:                              ;   in Loop: Header=BB1_280 Depth=1
	s_or_b32 exec_lo, exec_lo, s4
	v_add_co_u32 v14, s4, v12, 8
	v_add_co_ci_u32_e64 v15, null, 0, v13, s4
                                        ; implicit-def: $vgpr10_vgpr11
	s_mov_b32 s4, exec_lo
	v_cmpx_gt_u32_e32 8, v6
	s_xor_b32 s12, exec_lo, s4
	s_cbranch_execz .LBB1_294
; %bb.289:                              ;   in Loop: Header=BB1_280 Depth=1
	v_mov_b32_e32 v10, 0
	v_mov_b32_e32 v11, 0
	s_mov_b32 s13, exec_lo
	v_cmpx_ne_u32_e32 0, v6
	s_cbranch_execz .LBB1_293
; %bb.290:                              ;   in Loop: Header=BB1_280 Depth=1
	v_mov_b32_e32 v10, 0
	v_mov_b32_e32 v11, 0
	s_mov_b64 s[4:5], 0
	s_mov_b32 s17, 0
	s_mov_b64 s[10:11], 0
	.p2align	6
.LBB1_291:                              ;   Parent Loop BB1_280 Depth=1
                                        ; =>  This Inner Loop Header: Depth=2
	v_add_co_u32 v14, vcc_lo, v12, s10
	v_add_co_ci_u32_e64 v15, null, s11, v13, vcc_lo
	s_add_u32 s10, s10, 1
	s_addc_u32 s11, s11, 0
	v_cmp_eq_u32_e32 vcc_lo, s10, v6
	global_load_ubyte v14, v[14:15], off
	v_mov_b32_e32 v15, s16
	s_waitcnt vmcnt(0)
	v_and_b32_e32 v14, 0xffff, v14
	v_lshlrev_b64 v[14:15], s4, v[14:15]
	s_add_u32 s4, s4, 8
	s_addc_u32 s5, s5, 0
	s_or_b32 s17, vcc_lo, s17
	v_or_b32_e32 v11, v15, v11
	v_or_b32_e32 v10, v14, v10
	s_andn2_b32 exec_lo, exec_lo, s17
	s_cbranch_execnz .LBB1_291
; %bb.292:                              ;   in Loop: Header=BB1_280 Depth=1
	s_or_b32 exec_lo, exec_lo, s17
.LBB1_293:                              ;   in Loop: Header=BB1_280 Depth=1
	s_or_b32 exec_lo, exec_lo, s13
	v_mov_b32_e32 v15, v13
	v_mov_b32_e32 v14, v12
                                        ; implicit-def: $vgpr6
.LBB1_294:                              ;   in Loop: Header=BB1_280 Depth=1
	s_or_saveexec_b32 s4, s12
	v_mov_b32_e32 v18, 0
	s_xor_b32 exec_lo, exec_lo, s4
	s_cbranch_execz .LBB1_296
; %bb.295:                              ;   in Loop: Header=BB1_280 Depth=1
	global_load_dwordx2 v[10:11], v[12:13], off
	v_add_nc_u32_e32 v18, -8, v6
.LBB1_296:                              ;   in Loop: Header=BB1_280 Depth=1
	s_or_b32 exec_lo, exec_lo, s4
	v_add_co_u32 v16, s4, v14, 8
	v_add_co_ci_u32_e64 v17, null, 0, v15, s4
	s_mov_b32 s4, exec_lo
	v_cmpx_gt_u32_e32 8, v18
	s_xor_b32 s12, exec_lo, s4
	s_cbranch_execz .LBB1_302
; %bb.297:                              ;   in Loop: Header=BB1_280 Depth=1
	v_mov_b32_e32 v12, 0
	v_mov_b32_e32 v13, 0
	s_mov_b32 s13, exec_lo
	v_cmpx_ne_u32_e32 0, v18
	s_cbranch_execz .LBB1_301
; %bb.298:                              ;   in Loop: Header=BB1_280 Depth=1
	v_mov_b32_e32 v12, 0
	v_mov_b32_e32 v13, 0
	s_mov_b64 s[4:5], 0
	s_mov_b32 s17, 0
	s_mov_b64 s[10:11], 0
	.p2align	6
.LBB1_299:                              ;   Parent Loop BB1_280 Depth=1
                                        ; =>  This Inner Loop Header: Depth=2
	v_add_co_u32 v16, vcc_lo, v14, s10
	v_add_co_ci_u32_e64 v17, null, s11, v15, vcc_lo
	s_add_u32 s10, s10, 1
	s_addc_u32 s11, s11, 0
	v_cmp_eq_u32_e32 vcc_lo, s10, v18
	global_load_ubyte v6, v[16:17], off
	v_mov_b32_e32 v17, s16
	s_waitcnt vmcnt(0)
	v_and_b32_e32 v16, 0xffff, v6
	v_lshlrev_b64 v[16:17], s4, v[16:17]
	s_add_u32 s4, s4, 8
	s_addc_u32 s5, s5, 0
	s_or_b32 s17, vcc_lo, s17
	v_or_b32_e32 v13, v17, v13
	v_or_b32_e32 v12, v16, v12
	s_andn2_b32 exec_lo, exec_lo, s17
	s_cbranch_execnz .LBB1_299
; %bb.300:                              ;   in Loop: Header=BB1_280 Depth=1
	s_or_b32 exec_lo, exec_lo, s17
.LBB1_301:                              ;   in Loop: Header=BB1_280 Depth=1
	s_or_b32 exec_lo, exec_lo, s13
	v_mov_b32_e32 v17, v15
	v_mov_b32_e32 v16, v14
                                        ; implicit-def: $vgpr18
.LBB1_302:                              ;   in Loop: Header=BB1_280 Depth=1
	s_or_saveexec_b32 s4, s12
	v_mov_b32_e32 v6, 0
	s_xor_b32 exec_lo, exec_lo, s4
	s_cbranch_execz .LBB1_304
; %bb.303:                              ;   in Loop: Header=BB1_280 Depth=1
	global_load_dwordx2 v[12:13], v[14:15], off
	v_add_nc_u32_e32 v6, -8, v18
.LBB1_304:                              ;   in Loop: Header=BB1_280 Depth=1
	s_or_b32 exec_lo, exec_lo, s4
	v_add_co_u32 v18, s4, v16, 8
	v_add_co_ci_u32_e64 v19, null, 0, v17, s4
                                        ; implicit-def: $vgpr14_vgpr15
	s_mov_b32 s4, exec_lo
	v_cmpx_gt_u32_e32 8, v6
	s_xor_b32 s12, exec_lo, s4
	s_cbranch_execz .LBB1_310
; %bb.305:                              ;   in Loop: Header=BB1_280 Depth=1
	v_mov_b32_e32 v14, 0
	v_mov_b32_e32 v15, 0
	s_mov_b32 s13, exec_lo
	v_cmpx_ne_u32_e32 0, v6
	s_cbranch_execz .LBB1_309
; %bb.306:                              ;   in Loop: Header=BB1_280 Depth=1
	v_mov_b32_e32 v14, 0
	v_mov_b32_e32 v15, 0
	s_mov_b64 s[4:5], 0
	s_mov_b32 s17, 0
	s_mov_b64 s[10:11], 0
	.p2align	6
.LBB1_307:                              ;   Parent Loop BB1_280 Depth=1
                                        ; =>  This Inner Loop Header: Depth=2
	v_add_co_u32 v18, vcc_lo, v16, s10
	v_add_co_ci_u32_e64 v19, null, s11, v17, vcc_lo
	s_add_u32 s10, s10, 1
	s_addc_u32 s11, s11, 0
	v_cmp_eq_u32_e32 vcc_lo, s10, v6
	global_load_ubyte v18, v[18:19], off
	v_mov_b32_e32 v19, s16
	s_waitcnt vmcnt(0)
	v_and_b32_e32 v18, 0xffff, v18
	v_lshlrev_b64 v[18:19], s4, v[18:19]
	s_add_u32 s4, s4, 8
	s_addc_u32 s5, s5, 0
	s_or_b32 s17, vcc_lo, s17
	v_or_b32_e32 v15, v19, v15
	v_or_b32_e32 v14, v18, v14
	s_andn2_b32 exec_lo, exec_lo, s17
	s_cbranch_execnz .LBB1_307
; %bb.308:                              ;   in Loop: Header=BB1_280 Depth=1
	s_or_b32 exec_lo, exec_lo, s17
.LBB1_309:                              ;   in Loop: Header=BB1_280 Depth=1
	s_or_b32 exec_lo, exec_lo, s13
	v_mov_b32_e32 v19, v17
	v_mov_b32_e32 v18, v16
                                        ; implicit-def: $vgpr6
.LBB1_310:                              ;   in Loop: Header=BB1_280 Depth=1
	s_or_saveexec_b32 s4, s12
	v_mov_b32_e32 v22, 0
	s_xor_b32 exec_lo, exec_lo, s4
	s_cbranch_execz .LBB1_312
; %bb.311:                              ;   in Loop: Header=BB1_280 Depth=1
	global_load_dwordx2 v[14:15], v[16:17], off
	v_add_nc_u32_e32 v22, -8, v6
.LBB1_312:                              ;   in Loop: Header=BB1_280 Depth=1
	s_or_b32 exec_lo, exec_lo, s4
	v_add_co_u32 v20, s4, v18, 8
	v_add_co_ci_u32_e64 v21, null, 0, v19, s4
	s_mov_b32 s4, exec_lo
	v_cmpx_gt_u32_e32 8, v22
	s_xor_b32 s12, exec_lo, s4
	s_cbranch_execz .LBB1_318
; %bb.313:                              ;   in Loop: Header=BB1_280 Depth=1
	v_mov_b32_e32 v16, 0
	v_mov_b32_e32 v17, 0
	s_mov_b32 s13, exec_lo
	v_cmpx_ne_u32_e32 0, v22
	s_cbranch_execz .LBB1_317
; %bb.314:                              ;   in Loop: Header=BB1_280 Depth=1
	v_mov_b32_e32 v16, 0
	v_mov_b32_e32 v17, 0
	s_mov_b64 s[4:5], 0
	s_mov_b32 s17, 0
	s_mov_b64 s[10:11], 0
	.p2align	6
.LBB1_315:                              ;   Parent Loop BB1_280 Depth=1
                                        ; =>  This Inner Loop Header: Depth=2
	v_add_co_u32 v20, vcc_lo, v18, s10
	v_add_co_ci_u32_e64 v21, null, s11, v19, vcc_lo
	s_add_u32 s10, s10, 1
	s_addc_u32 s11, s11, 0
	v_cmp_eq_u32_e32 vcc_lo, s10, v22
	global_load_ubyte v6, v[20:21], off
	v_mov_b32_e32 v21, s16
	s_waitcnt vmcnt(0)
	v_and_b32_e32 v20, 0xffff, v6
	v_lshlrev_b64 v[20:21], s4, v[20:21]
	s_add_u32 s4, s4, 8
	s_addc_u32 s5, s5, 0
	s_or_b32 s17, vcc_lo, s17
	v_or_b32_e32 v17, v21, v17
	v_or_b32_e32 v16, v20, v16
	s_andn2_b32 exec_lo, exec_lo, s17
	s_cbranch_execnz .LBB1_315
; %bb.316:                              ;   in Loop: Header=BB1_280 Depth=1
	s_or_b32 exec_lo, exec_lo, s17
.LBB1_317:                              ;   in Loop: Header=BB1_280 Depth=1
	s_or_b32 exec_lo, exec_lo, s13
	v_mov_b32_e32 v21, v19
	v_mov_b32_e32 v20, v18
                                        ; implicit-def: $vgpr22
.LBB1_318:                              ;   in Loop: Header=BB1_280 Depth=1
	s_or_saveexec_b32 s4, s12
	v_mov_b32_e32 v6, 0
	s_xor_b32 exec_lo, exec_lo, s4
	s_cbranch_execz .LBB1_320
; %bb.319:                              ;   in Loop: Header=BB1_280 Depth=1
	global_load_dwordx2 v[16:17], v[18:19], off
	v_add_nc_u32_e32 v6, -8, v22
.LBB1_320:                              ;   in Loop: Header=BB1_280 Depth=1
	s_or_b32 exec_lo, exec_lo, s4
	v_add_co_u32 v22, s4, v20, 8
	v_add_co_ci_u32_e64 v23, null, 0, v21, s4
                                        ; implicit-def: $vgpr18_vgpr19
	s_mov_b32 s4, exec_lo
	v_cmpx_gt_u32_e32 8, v6
	s_xor_b32 s12, exec_lo, s4
	s_cbranch_execz .LBB1_326
; %bb.321:                              ;   in Loop: Header=BB1_280 Depth=1
	v_mov_b32_e32 v18, 0
	v_mov_b32_e32 v19, 0
	s_mov_b32 s13, exec_lo
	v_cmpx_ne_u32_e32 0, v6
	s_cbranch_execz .LBB1_325
; %bb.322:                              ;   in Loop: Header=BB1_280 Depth=1
	v_mov_b32_e32 v18, 0
	v_mov_b32_e32 v19, 0
	s_mov_b64 s[4:5], 0
	s_mov_b32 s17, 0
	s_mov_b64 s[10:11], 0
	.p2align	6
.LBB1_323:                              ;   Parent Loop BB1_280 Depth=1
                                        ; =>  This Inner Loop Header: Depth=2
	v_add_co_u32 v22, vcc_lo, v20, s10
	v_add_co_ci_u32_e64 v23, null, s11, v21, vcc_lo
	s_add_u32 s10, s10, 1
	s_addc_u32 s11, s11, 0
	v_cmp_eq_u32_e32 vcc_lo, s10, v6
	global_load_ubyte v22, v[22:23], off
	v_mov_b32_e32 v23, s16
	s_waitcnt vmcnt(0)
	v_and_b32_e32 v22, 0xffff, v22
	v_lshlrev_b64 v[22:23], s4, v[22:23]
	s_add_u32 s4, s4, 8
	s_addc_u32 s5, s5, 0
	s_or_b32 s17, vcc_lo, s17
	v_or_b32_e32 v19, v23, v19
	v_or_b32_e32 v18, v22, v18
	s_andn2_b32 exec_lo, exec_lo, s17
	s_cbranch_execnz .LBB1_323
; %bb.324:                              ;   in Loop: Header=BB1_280 Depth=1
	s_or_b32 exec_lo, exec_lo, s17
.LBB1_325:                              ;   in Loop: Header=BB1_280 Depth=1
	s_or_b32 exec_lo, exec_lo, s13
	v_mov_b32_e32 v23, v21
	v_mov_b32_e32 v22, v20
                                        ; implicit-def: $vgpr6
.LBB1_326:                              ;   in Loop: Header=BB1_280 Depth=1
	s_or_saveexec_b32 s4, s12
	v_mov_b32_e32 v24, 0
	s_xor_b32 exec_lo, exec_lo, s4
	s_cbranch_execz .LBB1_328
; %bb.327:                              ;   in Loop: Header=BB1_280 Depth=1
	global_load_dwordx2 v[18:19], v[20:21], off
	v_add_nc_u32_e32 v24, -8, v6
.LBB1_328:                              ;   in Loop: Header=BB1_280 Depth=1
	s_or_b32 exec_lo, exec_lo, s4
	s_mov_b32 s4, exec_lo
	v_cmpx_gt_u32_e32 8, v24
	s_xor_b32 s10, exec_lo, s4
	s_cbranch_execz .LBB1_334
; %bb.329:                              ;   in Loop: Header=BB1_280 Depth=1
	v_mov_b32_e32 v20, 0
	v_mov_b32_e32 v21, 0
	s_mov_b32 s11, exec_lo
	v_cmpx_ne_u32_e32 0, v24
	s_cbranch_execz .LBB1_333
; %bb.330:                              ;   in Loop: Header=BB1_280 Depth=1
	v_mov_b32_e32 v20, 0
	v_mov_b32_e32 v21, 0
	s_mov_b64 s[4:5], 0
	s_mov_b32 s12, 0
	.p2align	6
.LBB1_331:                              ;   Parent Loop BB1_280 Depth=1
                                        ; =>  This Inner Loop Header: Depth=2
	global_load_ubyte v6, v[22:23], off
	v_mov_b32_e32 v31, s16
	v_add_nc_u32_e32 v24, -1, v24
	v_add_co_u32 v22, vcc_lo, v22, 1
	v_add_co_ci_u32_e64 v23, null, 0, v23, vcc_lo
	v_cmp_eq_u32_e32 vcc_lo, 0, v24
	s_waitcnt vmcnt(0)
	v_and_b32_e32 v30, 0xffff, v6
	v_lshlrev_b64 v[30:31], s4, v[30:31]
	s_add_u32 s4, s4, 8
	s_addc_u32 s5, s5, 0
	s_or_b32 s12, vcc_lo, s12
	v_or_b32_e32 v21, v31, v21
	v_or_b32_e32 v20, v30, v20
	s_andn2_b32 exec_lo, exec_lo, s12
	s_cbranch_execnz .LBB1_331
; %bb.332:                              ;   in Loop: Header=BB1_280 Depth=1
	s_or_b32 exec_lo, exec_lo, s12
.LBB1_333:                              ;   in Loop: Header=BB1_280 Depth=1
	s_or_b32 exec_lo, exec_lo, s11
                                        ; implicit-def: $vgpr22_vgpr23
.LBB1_334:                              ;   in Loop: Header=BB1_280 Depth=1
	s_andn2_saveexec_b32 s4, s10
	s_cbranch_execz .LBB1_336
; %bb.335:                              ;   in Loop: Header=BB1_280 Depth=1
	global_load_dwordx2 v[20:21], v[22:23], off
.LBB1_336:                              ;   in Loop: Header=BB1_280 Depth=1
	s_or_b32 exec_lo, exec_lo, s4
	v_readfirstlane_b32 s4, v32
	v_mov_b32_e32 v30, 0
	v_mov_b32_e32 v31, 0
	v_cmp_eq_u32_e64 s4, s4, v32
	s_and_saveexec_b32 s5, s4
	s_cbranch_execz .LBB1_342
; %bb.337:                              ;   in Loop: Header=BB1_280 Depth=1
	global_load_dwordx2 v[24:25], v7, s[6:7] offset:24 glc dlc
	s_waitcnt vmcnt(0)
	buffer_gl1_inv
	buffer_gl0_inv
	s_clause 0x1
	global_load_dwordx2 v[22:23], v7, s[6:7] offset:40
	global_load_dwordx2 v[30:31], v7, s[6:7]
	s_mov_b32 s10, exec_lo
	s_waitcnt vmcnt(1)
	v_and_b32_e32 v6, v23, v25
	v_and_b32_e32 v22, v22, v24
	v_mul_lo_u32 v6, v6, 24
	v_mul_hi_u32 v23, v22, 24
	v_mul_lo_u32 v22, v22, 24
	v_add_nc_u32_e32 v6, v23, v6
	s_waitcnt vmcnt(0)
	v_add_co_u32 v22, vcc_lo, v30, v22
	v_add_co_ci_u32_e64 v23, null, v31, v6, vcc_lo
	global_load_dwordx2 v[22:23], v[22:23], off glc dlc
	s_waitcnt vmcnt(0)
	global_atomic_cmpswap_x2 v[30:31], v7, v[22:25], s[6:7] offset:24 glc
	s_waitcnt vmcnt(0)
	buffer_gl1_inv
	buffer_gl0_inv
	v_cmpx_ne_u64_e64 v[30:31], v[24:25]
	s_cbranch_execz .LBB1_341
; %bb.338:                              ;   in Loop: Header=BB1_280 Depth=1
	s_mov_b32 s11, 0
	.p2align	6
.LBB1_339:                              ;   Parent Loop BB1_280 Depth=1
                                        ; =>  This Inner Loop Header: Depth=2
	s_sleep 1
	s_clause 0x1
	global_load_dwordx2 v[22:23], v7, s[6:7] offset:40
	global_load_dwordx2 v[35:36], v7, s[6:7]
	v_mov_b32_e32 v24, v30
	v_mov_b32_e32 v25, v31
	s_waitcnt vmcnt(1)
	v_and_b32_e32 v6, v22, v24
	v_and_b32_e32 v22, v23, v25
	s_waitcnt vmcnt(0)
	v_mad_u64_u32 v[30:31], null, v6, 24, v[35:36]
	v_mov_b32_e32 v6, v31
	v_mad_u64_u32 v[22:23], null, v22, 24, v[6:7]
	v_mov_b32_e32 v31, v22
	global_load_dwordx2 v[22:23], v[30:31], off glc dlc
	s_waitcnt vmcnt(0)
	global_atomic_cmpswap_x2 v[30:31], v7, v[22:25], s[6:7] offset:24 glc
	s_waitcnt vmcnt(0)
	buffer_gl1_inv
	buffer_gl0_inv
	v_cmp_eq_u64_e32 vcc_lo, v[30:31], v[24:25]
	s_or_b32 s11, vcc_lo, s11
	s_andn2_b32 exec_lo, exec_lo, s11
	s_cbranch_execnz .LBB1_339
; %bb.340:                              ;   in Loop: Header=BB1_280 Depth=1
	s_or_b32 exec_lo, exec_lo, s11
.LBB1_341:                              ;   in Loop: Header=BB1_280 Depth=1
	s_or_b32 exec_lo, exec_lo, s10
.LBB1_342:                              ;   in Loop: Header=BB1_280 Depth=1
	s_or_b32 exec_lo, exec_lo, s5
	s_clause 0x1
	global_load_dwordx2 v[35:36], v7, s[6:7] offset:40
	global_load_dwordx4 v[22:25], v7, s[6:7]
	v_readfirstlane_b32 s11, v31
	v_readfirstlane_b32 s10, v30
	s_mov_b32 s5, exec_lo
	s_waitcnt vmcnt(1)
	v_readfirstlane_b32 s12, v35
	v_readfirstlane_b32 s13, v36
	s_and_b64 s[12:13], s[12:13], s[10:11]
	s_mul_i32 s17, s13, 24
	s_mul_hi_u32 s18, s12, 24
	s_mul_i32 s19, s12, 24
	s_add_i32 s18, s18, s17
	s_waitcnt vmcnt(0)
	v_add_co_u32 v30, vcc_lo, v22, s19
	v_add_co_ci_u32_e64 v31, null, s18, v23, vcc_lo
	s_and_saveexec_b32 s17, s4
	s_cbranch_execz .LBB1_344
; %bb.343:                              ;   in Loop: Header=BB1_280 Depth=1
	v_mov_b32_e32 v6, s5
	global_store_dwordx4 v[30:31], v[6:9], off offset:8
.LBB1_344:                              ;   in Loop: Header=BB1_280 Depth=1
	s_or_b32 exec_lo, exec_lo, s17
	v_cmp_gt_u64_e32 vcc_lo, 57, v[26:27]
	s_lshl_b64 s[12:13], s[12:13], 12
	v_and_b32_e32 v0, 0xffffff1f, v0
	v_lshl_add_u32 v35, v28, 2, 28
	v_cndmask_b32_e32 v6, 0, v34, vcc_lo
	v_add_co_u32 v24, vcc_lo, v24, s12
	v_add_co_ci_u32_e64 v25, null, s13, v25, vcc_lo
	v_or_b32_e32 v0, v0, v6
	v_readfirstlane_b32 s12, v24
	v_readfirstlane_b32 s13, v25
	v_and_or_b32 v0, 0x1e0, v35, v0
	global_store_dwordx4 v33, v[10:13], s[12:13] offset:16
	global_store_dwordx4 v33, v[14:17], s[12:13] offset:32
	global_store_dwordx4 v33, v[0:3], s[12:13]
	global_store_dwordx4 v33, v[18:21], s[12:13] offset:48
	s_and_saveexec_b32 s5, s4
	s_cbranch_execz .LBB1_352
; %bb.345:                              ;   in Loop: Header=BB1_280 Depth=1
	s_clause 0x1
	global_load_dwordx2 v[14:15], v7, s[6:7] offset:32 glc dlc
	global_load_dwordx2 v[0:1], v7, s[6:7] offset:40
	v_mov_b32_e32 v12, s10
	v_mov_b32_e32 v13, s11
	s_waitcnt vmcnt(0)
	v_readfirstlane_b32 s12, v0
	v_readfirstlane_b32 s13, v1
	s_and_b64 s[12:13], s[12:13], s[10:11]
	s_mul_i32 s13, s13, 24
	s_mul_hi_u32 s17, s12, 24
	s_mul_i32 s12, s12, 24
	s_add_i32 s17, s17, s13
	v_add_co_u32 v10, vcc_lo, v22, s12
	v_add_co_ci_u32_e64 v11, null, s17, v23, vcc_lo
	s_mov_b32 s12, exec_lo
	global_store_dwordx2 v[10:11], v[14:15], off
	s_waitcnt_vscnt null, 0x0
	global_atomic_cmpswap_x2 v[2:3], v7, v[12:15], s[6:7] offset:32 glc
	s_waitcnt vmcnt(0)
	v_cmpx_ne_u64_e64 v[2:3], v[14:15]
	s_cbranch_execz .LBB1_348
; %bb.346:                              ;   in Loop: Header=BB1_280 Depth=1
	s_mov_b32 s13, 0
.LBB1_347:                              ;   Parent Loop BB1_280 Depth=1
                                        ; =>  This Inner Loop Header: Depth=2
	v_mov_b32_e32 v0, s10
	v_mov_b32_e32 v1, s11
	s_sleep 1
	global_store_dwordx2 v[10:11], v[2:3], off
	s_waitcnt_vscnt null, 0x0
	global_atomic_cmpswap_x2 v[0:1], v7, v[0:3], s[6:7] offset:32 glc
	s_waitcnt vmcnt(0)
	v_cmp_eq_u64_e32 vcc_lo, v[0:1], v[2:3]
	v_mov_b32_e32 v3, v1
	v_mov_b32_e32 v2, v0
	s_or_b32 s13, vcc_lo, s13
	s_andn2_b32 exec_lo, exec_lo, s13
	s_cbranch_execnz .LBB1_347
.LBB1_348:                              ;   in Loop: Header=BB1_280 Depth=1
	s_or_b32 exec_lo, exec_lo, s12
	global_load_dwordx2 v[0:1], v7, s[6:7] offset:16
	s_mov_b32 s13, exec_lo
	s_mov_b32 s12, exec_lo
	v_mbcnt_lo_u32_b32 v2, s13, 0
	v_cmpx_eq_u32_e32 0, v2
	s_cbranch_execz .LBB1_350
; %bb.349:                              ;   in Loop: Header=BB1_280 Depth=1
	s_bcnt1_i32_b32 s13, s13
	v_mov_b32_e32 v6, s13
	s_waitcnt vmcnt(0)
	global_atomic_add_x2 v[0:1], v[6:7], off offset:8
.LBB1_350:                              ;   in Loop: Header=BB1_280 Depth=1
	s_or_b32 exec_lo, exec_lo, s12
	s_waitcnt vmcnt(0)
	global_load_dwordx2 v[2:3], v[0:1], off offset:16
	s_waitcnt vmcnt(0)
	v_cmp_eq_u64_e32 vcc_lo, 0, v[2:3]
	s_cbranch_vccnz .LBB1_352
; %bb.351:                              ;   in Loop: Header=BB1_280 Depth=1
	global_load_dword v6, v[0:1], off offset:24
	s_waitcnt vmcnt(0)
	v_readfirstlane_b32 s12, v6
	s_waitcnt_vscnt null, 0x0
	global_store_dwordx2 v[2:3], v[6:7], off
	s_and_b32 m0, s12, 0x7fffff
	s_sendmsg sendmsg(MSG_INTERRUPT)
.LBB1_352:                              ;   in Loop: Header=BB1_280 Depth=1
	s_or_b32 exec_lo, exec_lo, s5
	v_add_co_u32 v0, vcc_lo, v24, v33
	v_add_co_ci_u32_e64 v1, null, 0, v25, vcc_lo
	s_branch .LBB1_356
	.p2align	6
.LBB1_353:                              ;   in Loop: Header=BB1_356 Depth=2
	s_or_b32 exec_lo, exec_lo, s5
	v_readfirstlane_b32 s5, v2
	s_cmp_eq_u32 s5, 0
	s_cbranch_scc1 .LBB1_355
; %bb.354:                              ;   in Loop: Header=BB1_356 Depth=2
	s_sleep 1
	s_cbranch_execnz .LBB1_356
	s_branch .LBB1_358
	.p2align	6
.LBB1_355:                              ;   in Loop: Header=BB1_280 Depth=1
	s_branch .LBB1_358
.LBB1_356:                              ;   Parent Loop BB1_280 Depth=1
                                        ; =>  This Inner Loop Header: Depth=2
	v_mov_b32_e32 v2, 1
	s_and_saveexec_b32 s5, s4
	s_cbranch_execz .LBB1_353
; %bb.357:                              ;   in Loop: Header=BB1_356 Depth=2
	global_load_dword v2, v[30:31], off offset:20 glc dlc
	s_waitcnt vmcnt(0)
	buffer_gl1_inv
	buffer_gl0_inv
	v_and_b32_e32 v2, 1, v2
	s_branch .LBB1_353
.LBB1_358:                              ;   in Loop: Header=BB1_280 Depth=1
	global_load_dwordx2 v[0:1], v[0:1], off
	s_and_saveexec_b32 s12, s4
	s_cbranch_execz .LBB1_279
; %bb.359:                              ;   in Loop: Header=BB1_280 Depth=1
	s_clause 0x2
	global_load_dwordx2 v[2:3], v7, s[6:7] offset:40
	global_load_dwordx2 v[14:15], v7, s[6:7] offset:24 glc dlc
	global_load_dwordx2 v[10:11], v7, s[6:7]
	s_waitcnt vmcnt(2)
	v_readfirstlane_b32 s18, v2
	v_readfirstlane_b32 s19, v3
	s_add_u32 s13, s18, 1
	s_addc_u32 s17, s19, 0
	s_add_u32 s4, s13, s10
	s_addc_u32 s5, s17, s11
	s_cmp_eq_u64 s[4:5], 0
	s_cselect_b32 s5, s17, s5
	s_cselect_b32 s4, s13, s4
	v_mov_b32_e32 v13, s5
	s_and_b64 s[10:11], s[4:5], s[18:19]
	v_mov_b32_e32 v12, s4
	s_mul_i32 s11, s11, 24
	s_mul_hi_u32 s13, s10, 24
	s_mul_i32 s10, s10, 24
	s_add_i32 s13, s13, s11
	s_waitcnt vmcnt(0)
	v_add_co_u32 v2, vcc_lo, v10, s10
	v_add_co_ci_u32_e64 v3, null, s13, v11, vcc_lo
	global_store_dwordx2 v[2:3], v[14:15], off
	s_waitcnt_vscnt null, 0x0
	global_atomic_cmpswap_x2 v[12:13], v7, v[12:15], s[6:7] offset:24 glc
	s_waitcnt vmcnt(0)
	v_cmp_ne_u64_e32 vcc_lo, v[12:13], v[14:15]
	s_and_b32 exec_lo, exec_lo, vcc_lo
	s_cbranch_execz .LBB1_279
; %bb.360:                              ;   in Loop: Header=BB1_280 Depth=1
	s_mov_b32 s10, 0
.LBB1_361:                              ;   Parent Loop BB1_280 Depth=1
                                        ; =>  This Inner Loop Header: Depth=2
	v_mov_b32_e32 v10, s4
	v_mov_b32_e32 v11, s5
	s_sleep 1
	global_store_dwordx2 v[2:3], v[12:13], off
	s_waitcnt_vscnt null, 0x0
	global_atomic_cmpswap_x2 v[10:11], v7, v[10:13], s[6:7] offset:24 glc
	s_waitcnt vmcnt(0)
	v_cmp_eq_u64_e32 vcc_lo, v[10:11], v[12:13]
	v_mov_b32_e32 v13, v11
	v_mov_b32_e32 v12, v10
	s_or_b32 s10, vcc_lo, s10
	s_andn2_b32 exec_lo, exec_lo, s10
	s_cbranch_execnz .LBB1_361
	s_branch .LBB1_279
.LBB1_362:
	s_or_b32 exec_lo, exec_lo, s15
                                        ; implicit-def: $vgpr33
                                        ; implicit-def: $vgpr32
.LBB1_363:
	s_andn2_saveexec_b32 s14, s14
	s_cbranch_execz .LBB1_391
; %bb.364:
	v_readfirstlane_b32 s4, v32
	v_mov_b32_e32 v8, 0
	v_mov_b32_e32 v9, 0
	v_cmp_eq_u32_e64 s4, s4, v32
	s_and_saveexec_b32 s5, s4
	s_cbranch_execz .LBB1_370
; %bb.365:
	v_mov_b32_e32 v2, 0
	s_mov_b32 s10, exec_lo
	global_load_dwordx2 v[5:6], v2, s[6:7] offset:24 glc dlc
	s_waitcnt vmcnt(0)
	buffer_gl1_inv
	buffer_gl0_inv
	s_clause 0x1
	global_load_dwordx2 v[3:4], v2, s[6:7] offset:40
	global_load_dwordx2 v[7:8], v2, s[6:7]
	s_waitcnt vmcnt(1)
	v_and_b32_e32 v4, v4, v6
	v_and_b32_e32 v3, v3, v5
	v_mul_lo_u32 v4, v4, 24
	v_mul_hi_u32 v9, v3, 24
	v_mul_lo_u32 v3, v3, 24
	v_add_nc_u32_e32 v4, v9, v4
	s_waitcnt vmcnt(0)
	v_add_co_u32 v3, vcc_lo, v7, v3
	v_add_co_ci_u32_e64 v4, null, v8, v4, vcc_lo
	global_load_dwordx2 v[3:4], v[3:4], off glc dlc
	s_waitcnt vmcnt(0)
	global_atomic_cmpswap_x2 v[8:9], v2, v[3:6], s[6:7] offset:24 glc
	s_waitcnt vmcnt(0)
	buffer_gl1_inv
	buffer_gl0_inv
	v_cmpx_ne_u64_e64 v[8:9], v[5:6]
	s_cbranch_execz .LBB1_369
; %bb.366:
	s_mov_b32 s11, 0
	.p2align	6
.LBB1_367:                              ; =>This Inner Loop Header: Depth=1
	s_sleep 1
	s_clause 0x1
	global_load_dwordx2 v[3:4], v2, s[6:7] offset:40
	global_load_dwordx2 v[10:11], v2, s[6:7]
	v_mov_b32_e32 v5, v8
	v_mov_b32_e32 v6, v9
	s_waitcnt vmcnt(1)
	v_and_b32_e32 v3, v3, v5
	v_and_b32_e32 v4, v4, v6
	s_waitcnt vmcnt(0)
	v_mad_u64_u32 v[7:8], null, v3, 24, v[10:11]
	v_mov_b32_e32 v3, v8
	v_mad_u64_u32 v[3:4], null, v4, 24, v[3:4]
	v_mov_b32_e32 v8, v3
	global_load_dwordx2 v[3:4], v[7:8], off glc dlc
	s_waitcnt vmcnt(0)
	global_atomic_cmpswap_x2 v[8:9], v2, v[3:6], s[6:7] offset:24 glc
	s_waitcnt vmcnt(0)
	buffer_gl1_inv
	buffer_gl0_inv
	v_cmp_eq_u64_e32 vcc_lo, v[8:9], v[5:6]
	s_or_b32 s11, vcc_lo, s11
	s_andn2_b32 exec_lo, exec_lo, s11
	s_cbranch_execnz .LBB1_367
; %bb.368:
	s_or_b32 exec_lo, exec_lo, s11
.LBB1_369:
	s_or_b32 exec_lo, exec_lo, s10
.LBB1_370:
	s_or_b32 exec_lo, exec_lo, s5
	v_mov_b32_e32 v2, 0
	v_readfirstlane_b32 s11, v9
	v_readfirstlane_b32 s10, v8
	s_mov_b32 s5, exec_lo
	s_clause 0x1
	global_load_dwordx2 v[10:11], v2, s[6:7] offset:40
	global_load_dwordx4 v[4:7], v2, s[6:7]
	s_waitcnt vmcnt(1)
	v_readfirstlane_b32 s12, v10
	v_readfirstlane_b32 s13, v11
	s_and_b64 s[12:13], s[12:13], s[10:11]
	s_mul_i32 s15, s13, 24
	s_mul_hi_u32 s16, s12, 24
	s_mul_i32 s17, s12, 24
	s_add_i32 s16, s16, s15
	s_waitcnt vmcnt(0)
	v_add_co_u32 v8, vcc_lo, v4, s17
	v_add_co_ci_u32_e64 v9, null, s16, v5, vcc_lo
	s_and_saveexec_b32 s15, s4
	s_cbranch_execz .LBB1_372
; %bb.371:
	v_mov_b32_e32 v10, s5
	v_mov_b32_e32 v11, v2
	;; [unrolled: 1-line block ×4, first 2 shown]
	global_store_dwordx4 v[8:9], v[10:13], off offset:8
.LBB1_372:
	s_or_b32 exec_lo, exec_lo, s15
	s_lshl_b64 s[12:13], s[12:13], 12
	s_mov_b32 s16, 0
	v_add_co_u32 v6, vcc_lo, v6, s12
	v_add_co_ci_u32_e64 v7, null, s13, v7, vcc_lo
	s_mov_b32 s17, s16
	v_readfirstlane_b32 s12, v6
	v_add_co_u32 v6, vcc_lo, v6, v33
	s_mov_b32 s18, s16
	s_mov_b32 s19, s16
	v_and_or_b32 v0, 0xffffff1f, v0, 32
	v_mov_b32_e32 v3, v2
	v_readfirstlane_b32 s13, v7
	v_mov_b32_e32 v10, s16
	v_add_co_ci_u32_e64 v7, null, 0, v7, vcc_lo
	v_mov_b32_e32 v11, s17
	v_mov_b32_e32 v12, s18
	;; [unrolled: 1-line block ×3, first 2 shown]
	global_store_dwordx4 v33, v[0:3], s[12:13]
	global_store_dwordx4 v33, v[10:13], s[12:13] offset:16
	global_store_dwordx4 v33, v[10:13], s[12:13] offset:32
	;; [unrolled: 1-line block ×3, first 2 shown]
	s_and_saveexec_b32 s5, s4
	s_cbranch_execz .LBB1_380
; %bb.373:
	v_mov_b32_e32 v10, 0
	v_mov_b32_e32 v11, s10
	;; [unrolled: 1-line block ×3, first 2 shown]
	s_clause 0x1
	global_load_dwordx2 v[13:14], v10, s[6:7] offset:32 glc dlc
	global_load_dwordx2 v[0:1], v10, s[6:7] offset:40
	s_waitcnt vmcnt(0)
	v_readfirstlane_b32 s12, v0
	v_readfirstlane_b32 s13, v1
	s_and_b64 s[12:13], s[12:13], s[10:11]
	s_mul_i32 s13, s13, 24
	s_mul_hi_u32 s15, s12, 24
	s_mul_i32 s12, s12, 24
	s_add_i32 s15, s15, s13
	v_add_co_u32 v4, vcc_lo, v4, s12
	v_add_co_ci_u32_e64 v5, null, s15, v5, vcc_lo
	s_mov_b32 s12, exec_lo
	global_store_dwordx2 v[4:5], v[13:14], off
	s_waitcnt_vscnt null, 0x0
	global_atomic_cmpswap_x2 v[2:3], v10, v[11:14], s[6:7] offset:32 glc
	s_waitcnt vmcnt(0)
	v_cmpx_ne_u64_e64 v[2:3], v[13:14]
	s_cbranch_execz .LBB1_376
; %bb.374:
	s_mov_b32 s13, 0
.LBB1_375:                              ; =>This Inner Loop Header: Depth=1
	v_mov_b32_e32 v0, s10
	v_mov_b32_e32 v1, s11
	s_sleep 1
	global_store_dwordx2 v[4:5], v[2:3], off
	s_waitcnt_vscnt null, 0x0
	global_atomic_cmpswap_x2 v[0:1], v10, v[0:3], s[6:7] offset:32 glc
	s_waitcnt vmcnt(0)
	v_cmp_eq_u64_e32 vcc_lo, v[0:1], v[2:3]
	v_mov_b32_e32 v3, v1
	v_mov_b32_e32 v2, v0
	s_or_b32 s13, vcc_lo, s13
	s_andn2_b32 exec_lo, exec_lo, s13
	s_cbranch_execnz .LBB1_375
.LBB1_376:
	s_or_b32 exec_lo, exec_lo, s12
	v_mov_b32_e32 v3, 0
	s_mov_b32 s13, exec_lo
	s_mov_b32 s12, exec_lo
	v_mbcnt_lo_u32_b32 v2, s13, 0
	global_load_dwordx2 v[0:1], v3, s[6:7] offset:16
	v_cmpx_eq_u32_e32 0, v2
	s_cbranch_execz .LBB1_378
; %bb.377:
	s_bcnt1_i32_b32 s13, s13
	v_mov_b32_e32 v2, s13
	s_waitcnt vmcnt(0)
	global_atomic_add_x2 v[0:1], v[2:3], off offset:8
.LBB1_378:
	s_or_b32 exec_lo, exec_lo, s12
	s_waitcnt vmcnt(0)
	global_load_dwordx2 v[2:3], v[0:1], off offset:16
	s_waitcnt vmcnt(0)
	v_cmp_eq_u64_e32 vcc_lo, 0, v[2:3]
	s_cbranch_vccnz .LBB1_380
; %bb.379:
	global_load_dword v0, v[0:1], off offset:24
	v_mov_b32_e32 v1, 0
	s_waitcnt vmcnt(0)
	v_readfirstlane_b32 s12, v0
	s_waitcnt_vscnt null, 0x0
	global_store_dwordx2 v[2:3], v[0:1], off
	s_and_b32 m0, s12, 0x7fffff
	s_sendmsg sendmsg(MSG_INTERRUPT)
.LBB1_380:
	s_or_b32 exec_lo, exec_lo, s5
	s_branch .LBB1_384
	.p2align	6
.LBB1_381:                              ;   in Loop: Header=BB1_384 Depth=1
	s_or_b32 exec_lo, exec_lo, s5
	v_readfirstlane_b32 s5, v0
	s_cmp_eq_u32 s5, 0
	s_cbranch_scc1 .LBB1_383
; %bb.382:                              ;   in Loop: Header=BB1_384 Depth=1
	s_sleep 1
	s_cbranch_execnz .LBB1_384
	s_branch .LBB1_386
	.p2align	6
.LBB1_383:
	s_branch .LBB1_386
.LBB1_384:                              ; =>This Inner Loop Header: Depth=1
	v_mov_b32_e32 v0, 1
	s_and_saveexec_b32 s5, s4
	s_cbranch_execz .LBB1_381
; %bb.385:                              ;   in Loop: Header=BB1_384 Depth=1
	global_load_dword v0, v[8:9], off offset:20 glc dlc
	s_waitcnt vmcnt(0)
	buffer_gl1_inv
	buffer_gl0_inv
	v_and_b32_e32 v0, 1, v0
	s_branch .LBB1_381
.LBB1_386:
	global_load_dwordx2 v[0:1], v[6:7], off
	s_and_saveexec_b32 s12, s4
	s_cbranch_execz .LBB1_390
; %bb.387:
	v_mov_b32_e32 v8, 0
	s_clause 0x2
	global_load_dwordx2 v[2:3], v8, s[6:7] offset:40
	global_load_dwordx2 v[11:12], v8, s[6:7] offset:24 glc dlc
	global_load_dwordx2 v[4:5], v8, s[6:7]
	s_waitcnt vmcnt(2)
	v_readfirstlane_b32 s16, v2
	v_readfirstlane_b32 s17, v3
	s_add_u32 s13, s16, 1
	s_addc_u32 s15, s17, 0
	s_add_u32 s4, s13, s10
	s_addc_u32 s5, s15, s11
	s_cmp_eq_u64 s[4:5], 0
	s_cselect_b32 s5, s15, s5
	s_cselect_b32 s4, s13, s4
	v_mov_b32_e32 v10, s5
	s_and_b64 s[10:11], s[4:5], s[16:17]
	v_mov_b32_e32 v9, s4
	s_mul_i32 s11, s11, 24
	s_mul_hi_u32 s13, s10, 24
	s_mul_i32 s10, s10, 24
	s_add_i32 s13, s13, s11
	s_waitcnt vmcnt(0)
	v_add_co_u32 v6, vcc_lo, v4, s10
	v_add_co_ci_u32_e64 v7, null, s13, v5, vcc_lo
	global_store_dwordx2 v[6:7], v[11:12], off
	s_waitcnt_vscnt null, 0x0
	global_atomic_cmpswap_x2 v[4:5], v8, v[9:12], s[6:7] offset:24 glc
	s_waitcnt vmcnt(0)
	v_cmp_ne_u64_e32 vcc_lo, v[4:5], v[11:12]
	s_and_b32 exec_lo, exec_lo, vcc_lo
	s_cbranch_execz .LBB1_390
; %bb.388:
	s_mov_b32 s10, 0
.LBB1_389:                              ; =>This Inner Loop Header: Depth=1
	v_mov_b32_e32 v2, s4
	v_mov_b32_e32 v3, s5
	s_sleep 1
	global_store_dwordx2 v[6:7], v[4:5], off
	s_waitcnt_vscnt null, 0x0
	global_atomic_cmpswap_x2 v[2:3], v8, v[2:5], s[6:7] offset:24 glc
	s_waitcnt vmcnt(0)
	v_cmp_eq_u64_e32 vcc_lo, v[2:3], v[4:5]
	v_mov_b32_e32 v5, v3
	v_mov_b32_e32 v4, v2
	s_or_b32 s10, vcc_lo, s10
	s_andn2_b32 exec_lo, exec_lo, s10
	s_cbranch_execnz .LBB1_389
.LBB1_390:
	s_or_b32 exec_lo, exec_lo, s12
.LBB1_391:
	s_or_b32 exec_lo, exec_lo, s14
	s_getpc_b64 s[4:5]
	s_add_u32 s4, s4, .str.3@rel32@lo+4
	s_addc_u32 s5, s5, .str.3@rel32@hi+12
	s_getpc_b64 s[6:7]
	s_add_u32 s6, s6, .str.3@rel32@lo+32
	s_addc_u32 s7, s7, .str.3@rel32@hi+40
	s_sub_i32 s10, s6, s4
	s_getpc_b64 s[6:7]
	s_add_u32 s6, s6, __ockl_fprintf_append_string_n@rel32@lo+4
	s_addc_u32 s7, s7, __ockl_fprintf_append_string_n@rel32@hi+12
	s_ashr_i32 s11, s10, 31
	v_mov_b32_e32 v2, s4
	v_mov_b32_e32 v3, s5
	;; [unrolled: 1-line block ×5, first 2 shown]
	s_swappc_b64 s[30:31], s[6:7]
	s_trap 2
.Lfunc_end1:
	.size	__assert_fail, .Lfunc_end1-__assert_fail
                                        ; -- End function
	.set .L__assert_fail.num_vgpr, max(40, .L__ockl_fprintf_append_string_n.num_vgpr)
	.set .L__assert_fail.num_agpr, max(0, .L__ockl_fprintf_append_string_n.num_agpr)
	.set .L__assert_fail.numbered_sgpr, max(34, .L__ockl_fprintf_append_string_n.numbered_sgpr)
	.set .L__assert_fail.num_named_barrier, max(0, .L__ockl_fprintf_append_string_n.num_named_barrier)
	.set .L__assert_fail.private_seg_size, 64+max(.L__ockl_fprintf_append_string_n.private_seg_size)
	.set .L__assert_fail.uses_vcc, or(1, .L__ockl_fprintf_append_string_n.uses_vcc)
	.set .L__assert_fail.uses_flat_scratch, or(0, .L__ockl_fprintf_append_string_n.uses_flat_scratch)
	.set .L__assert_fail.has_dyn_sized_stack, or(0, .L__ockl_fprintf_append_string_n.has_dyn_sized_stack)
	.set .L__assert_fail.has_recursion, or(0, .L__ockl_fprintf_append_string_n.has_recursion)
	.set .L__assert_fail.has_indirect_call, or(0, .L__ockl_fprintf_append_string_n.has_indirect_call)
	.section	.AMDGPU.csdata,"",@progbits
; Function info:
; codeLenInByte = 15432
; TotalNumSgprs: 36
; NumVgprs: 40
; ScratchSize: 64
; MemoryBound: 0
	.text
	.p2align	2                               ; -- Begin function _ZN12_GLOBAL__N_17runRingI11rccl_float813FuncPreMulSumIS1_E11ProtoSimpleILi1ELi1ELi0ELi1ELi0ELi0EELi0ELi1ELi0EEEviiP15ncclDevWorkColl
	.type	_ZN12_GLOBAL__N_17runRingI11rccl_float813FuncPreMulSumIS1_E11ProtoSimpleILi1ELi1ELi0ELi1ELi0ELi0EELi0ELi1ELi0EEEviiP15ncclDevWorkColl,@function
_ZN12_GLOBAL__N_17runRingI11rccl_float813FuncPreMulSumIS1_E11ProtoSimpleILi1ELi1ELi0ELi1ELi0ELi0EELi0ELi1ELi0EEEviiP15ncclDevWorkColl: ; @_ZN12_GLOBAL__N_17runRingI11rccl_float813FuncPreMulSumIS1_E11ProtoSimpleILi1ELi1ELi0ELi1ELi0ELi0EELi0ELi1ELi0EEEviiP15ncclDevWorkColl
; %bb.0:
	s_waitcnt vmcnt(0) expcnt(0) lgkmcnt(0)
	s_mov_b32 s47, s33
	s_mov_b32 s33, s32
	s_or_saveexec_b32 s4, -1
	buffer_store_dword v73, off, s[0:3], s33 offset:68 ; 4-byte Folded Spill
	s_mov_b32 exec_lo, s4
	s_addk_i32 s32, 0xa00
	buffer_store_dword v40, off, s[0:3], s33 offset:64 ; 4-byte Folded Spill
	buffer_store_dword v41, off, s[0:3], s33 offset:60 ; 4-byte Folded Spill
	;; [unrolled: 1-line block ×16, first 2 shown]
	buffer_store_dword v72, off, s[0:3], s33 ; 4-byte Folded Spill
	v_writelane_b32 v73, s30, 0
	v_writelane_b32 v73, s31, 1
	s_trap 2
	ds_read_b64 v[32:33], v0
	ds_read_b32 v6, v0
	flat_load_dwordx2 v[8:9], v[2:3]
                                        ; implicit-def: $vgpr26_vgpr27
                                        ; implicit-def: $vgpr14_vgpr15
	s_waitcnt lgkmcnt(2)
	v_ashrrev_i32_e32 v5, 31, v33
	v_mov_b32_e32 v4, v33
	v_lshlrev_b64 v[4:5], 2, v[4:5]
	v_add_co_u32 v4, vcc_lo, v32, v4
	v_add_co_ci_u32_e64 v5, null, v33, v5, vcc_lo
	v_add_co_u32 v4, vcc_lo, -4, v4
	v_add_co_ci_u32_e64 v5, null, -1, v5, vcc_lo
	flat_load_ushort v23, v[2:3] offset:8
	flat_load_dword v38, v[4:5]
                                        ; implicit-def: $vgpr4_vgpr5
	s_waitcnt vmcnt(2) lgkmcnt(2)
	v_mov_b32_e32 v22, v9
	v_cmp_ne_u32_sdwa s4, v6, v8 src0_sel:DWORD src1_sel:BYTE_0
	s_and_saveexec_b32 s5, s4
	s_xor_b32 s4, exec_lo, s5
	s_cbranch_execz .LBB2_6
; %bb.1:
	v_not_b32_sdwa v9, v8 dst_sel:DWORD dst_unused:UNUSED_PAD src0_sel:BYTE_0
	v_cmp_ne_u32_sdwa s5, v6, v8 src0_sel:DWORD src1_sel:BYTE_1
                                        ; implicit-def: $vgpr26_vgpr27
                                        ; implicit-def: $vgpr4_vgpr5
                                        ; implicit-def: $vgpr14_vgpr15
	s_and_saveexec_b32 s6, s5
	s_xor_b32 s5, exec_lo, s6
	s_cbranch_execz .LBB2_3
; %bb.2:
	s_clause 0x1
	flat_load_dwordx4 v[10:13], v[2:3] offset:72
	flat_load_dwordx2 v[4:5], v[2:3] offset:96
	v_add_nc_u32_e32 v6, v6, v9
                                        ; implicit-def: $vgpr8
                                        ; implicit-def: $vgpr9
	v_ashrrev_i32_e32 v7, 31, v6
	s_waitcnt vmcnt(1) lgkmcnt(1)
	v_mul_lo_u32 v7, v12, v7
	v_mad_u64_u32 v[14:15], null, v12, v6, v[10:11]
	v_mul_lo_u32 v6, v13, v6
	s_waitcnt vmcnt(0) lgkmcnt(0)
	v_lshrrev_b64 v[26:27], 12, v[4:5]
	v_mov_b32_e32 v4, v12
	v_mov_b32_e32 v5, v13
	v_add3_u32 v15, v6, v15, v7
.LBB2_3:
	s_andn2_saveexec_b32 s5, s5
	s_cbranch_execz .LBB2_5
; %bb.4:
	s_clause 0x1
	flat_load_dwordx4 v[10:13], v[2:3] offset:72
	flat_load_dwordx4 v[4:7], v[2:3] offset:88
	s_waitcnt vmcnt(0) lgkmcnt(0)
	v_add_nc_u32_sdwa v6, v8, v9 dst_sel:DWORD dst_unused:UNUSED_PAD src0_sel:BYTE_1 src1_sel:DWORD
	v_ashrrev_i32_e32 v8, 31, v6
	v_mul_lo_u32 v8, v12, v8
	v_mad_u64_u32 v[14:15], null, v12, v6, v[10:11]
	v_mul_lo_u32 v6, v13, v6
	v_lshrrev_b32_e32 v26, 1, v7
	v_add3_u32 v15, v6, v15, v8
.LBB2_5:
	s_or_b32 exec_lo, exec_lo, s5
.LBB2_6:
	s_andn2_saveexec_b32 s4, s4
	s_cbranch_execz .LBB2_8
; %bb.7:
	s_clause 0x1
	flat_load_dwordx2 v[6:7], v[2:3] offset:96
	flat_load_dwordx2 v[4:5], v[2:3] offset:72
	v_mov_b32_e32 v14, 0
	v_mov_b32_e32 v15, 0
	s_waitcnt vmcnt(1) lgkmcnt(1)
	v_lshlrev_b64 v[26:27], 9, v[6:7]
.LBB2_8:
	s_or_b32 exec_lo, exec_lo, s4
	s_trap 2
	ds_read_b64 v[6:7], v0
	s_mov_b32 s5, exec_lo
	s_waitcnt lgkmcnt(0)
	v_cmp_ne_u32_e32 vcc_lo, -1, v6
	v_cndmask_b32_e64 v37, 0, 1, vcc_lo
	v_cmp_ne_u32_e32 vcc_lo, -1, v7
	v_add_co_ci_u32_e64 v6, null, 0, v37, vcc_lo
	v_lshlrev_b32_e32 v7, 1, v6
	v_cmpx_le_u32_e64 v7, v1
	s_xor_b32 s15, exec_lo, s5
	s_cbranch_execnz .LBB2_9
; %bb.4890:
	s_getpc_b64 s[34:35]
.Lpost_getpc0:
	s_add_u32 s34, s34, (.LBB2_4887-.Lpost_getpc0)&4294967295
	s_addc_u32 s35, s35, (.LBB2_4887-.Lpost_getpc0)>>32
	s_setpc_b64 s[34:35]
.LBB2_9:
	s_clause 0x1
	flat_load_dwordx4 v[10:13], v[2:3] offset:16
	flat_load_dwordx2 v[33:34], v[2:3] offset:104
	s_trap 2
	s_load_dword s4, s[8:9], 0x0
	v_mov_b32_e32 v2, 0
	v_mov_b32_e32 v64, 4
	s_waitcnt lgkmcnt(0)
	s_cmp_lt_u32 s12, s4
	s_cselect_b32 s4, 12, 18
	s_add_u32 s4, s8, s4
	s_addc_u32 s5, s9, 0
	global_load_ushort v30, v2, s[4:5]
	ds_read_b32 v2, v0
	s_mov_b32 s5, exec_lo
	s_waitcnt lgkmcnt(0)
	v_readfirstlane_b32 s16, v2
	v_cmpx_ge_u32_e64 v0, v37
	s_cbranch_execz .LBB2_19
; %bb.10:
	v_cmp_ge_u32_e64 s4, v0, v6
                                        ; implicit-def: $vgpr64
	s_and_saveexec_b32 s6, s4
	s_xor_b32 s4, exec_lo, s6
	s_cbranch_execz .LBB2_16
; %bb.11:
	v_cndmask_b32_e64 v2, 0, 1, vcc_lo
	s_mov_b32 s6, exec_lo
	v_sub_nc_u32_e32 v2, v1, v2
	v_cmpx_ge_u32_e64 v0, v2
	s_xor_b32 s6, exec_lo, s6
; %bb.12:
                                        ; implicit-def: $vgpr6
; %bb.13:
	s_or_saveexec_b32 s6, s6
	v_mov_b32_e32 v64, 16
	s_xor_b32 exec_lo, exec_lo, s6
; %bb.14:
	v_sub_nc_u32_e32 v2, v1, v6
	v_cmp_lt_i32_e32 vcc_lo, v0, v2
	v_cndmask_b32_e64 v64, 32, 0, vcc_lo
; %bb.15:
	s_or_b32 exec_lo, exec_lo, s6
.LBB2_16:
	s_andn2_saveexec_b32 s4, s4
; %bb.17:
	v_mov_b32_e32 v64, 8
; %bb.18:
	s_or_b32 exec_lo, exec_lo, s4
.LBB2_19:
	s_or_b32 exec_lo, exec_lo, s5
	v_and_b32_e32 v2, 36, v64
	v_mov_b32_e32 v35, -1
	v_cmp_ne_u32_e32 vcc_lo, 0, v2
	s_and_saveexec_b32 s4, vcc_lo
	s_cbranch_execz .LBB2_21
; %bb.20:
	s_trap 2
	ds_read_b32 v35, v0
.LBB2_21:
	s_or_b32 exec_lo, exec_lo, s4
	v_and_b32_e32 v2, 24, v64
	s_mov_b32 s5, exec_lo
	v_cmpx_ne_u32_e32 0, v2
	s_cbranch_execz .LBB2_23
; %bb.22:
	s_trap 2
	s_waitcnt lgkmcnt(0)
	ds_read_b32 v35, v0
.LBB2_23:
	s_or_b32 exec_lo, exec_lo, s5
	s_waitcnt vmcnt(4)
	v_lshrrev_b64 v[2:3], 31, v[22:23]
	v_mov_b32_e32 v16, 0
	v_mov_b32_e32 v6, 0
	;; [unrolled: 1-line block ×3, first 2 shown]
	s_waitcnt lgkmcnt(0)
	v_ashrrev_i32_e32 v36, 31, v35
	v_mov_b32_e32 v7, 0
	v_and_b32_e32 v2, 3, v2
                                        ; implicit-def: $vgpr65
                                        ; implicit-def: $vgpr24_vgpr25
                                        ; implicit-def: $vgpr20_vgpr21
                                        ; implicit-def: $vgpr18_vgpr19
	v_and_b32_e32 v23, 0xffff, v2
                                        ; implicit-def: $vgpr2_vgpr3
	s_and_saveexec_b32 s4, vcc_lo
	s_cbranch_execz .LBB2_33
; %bb.24:
	s_trap 2
	ds_read_b64 v[2:3], v0
	v_lshlrev_b64 v[6:7], 3, v[35:36]
	s_waitcnt lgkmcnt(0)
	v_add_co_u32 v2, vcc_lo, v2, v6
	v_add_co_ci_u32_e64 v3, null, v3, v7, vcc_lo
	flat_load_dwordx2 v[2:3], v[2:3]
	s_waitcnt vmcnt(0) lgkmcnt(0)
	v_mad_u64_u32 v[27:28], null, 0xa8, v23, v[2:3]
	flat_load_dword v2, v[27:28] offset:640
	s_waitcnt vmcnt(0) lgkmcnt(0)
	v_cmp_eq_u32_e32 vcc_lo, 1, v2
                                        ; implicit-def: $vgpr2_vgpr3
	s_and_saveexec_b32 s5, vcc_lo
	s_cbranch_execz .LBB2_26
; %bb.25:
	flat_load_dwordx2 v[2:3], v[27:28] offset:648
	v_or_b32_e32 v64, 0x2000, v64
	s_waitcnt vmcnt(0) lgkmcnt(0)
	flat_load_dwordx2 v[6:7], v[2:3]
	s_trap 2
	s_waitcnt vmcnt(0) lgkmcnt(0)
	ds_write_b64 v0, v[6:7]
	flat_load_dwordx2 v[6:7], v[2:3] offset:8
	s_waitcnt vmcnt(0) lgkmcnt(0)
	ds_write_b64 v0, v[6:7]
	flat_load_dwordx2 v[6:7], v[2:3] offset:16
	s_waitcnt vmcnt(0) lgkmcnt(0)
	ds_write_b64 v0, v[6:7]
.LBB2_26:
	s_or_b32 exec_lo, exec_lo, s5
	flat_load_dwordx2 v[8:9], v[27:28] offset:608
	v_and_b32_e32 v6, 32, v64
	s_mov_b32 s5, exec_lo
                                        ; implicit-def: $vgpr18_vgpr19
	v_cmpx_ne_u32_e32 0, v6
	s_cbranch_execz .LBB2_28
; %bb.27:
	flat_load_dwordx2 v[18:19], v[27:28] offset:560
	s_waitcnt vmcnt(0) lgkmcnt(0)
	s_waitcnt_vscnt null, 0x0
	flat_store_dwordx2 v[18:19], v[8:9]
.LBB2_28:
	s_or_b32 exec_lo, exec_lo, s5
	v_and_b32_e32 v20, 4, v64
	v_add_co_u32 v16, vcc_lo, 0x1f8, v27
	v_mov_b32_e32 v6, 0
	v_add_co_ci_u32_e64 v17, null, 0, v28, vcc_lo
	v_mov_b32_e32 v7, 0
	v_cmp_ne_u32_e32 vcc_lo, 0, v20
                                        ; implicit-def: $vgpr65
                                        ; implicit-def: $vgpr24_vgpr25
                                        ; implicit-def: $vgpr20_vgpr21
	s_and_saveexec_b32 s5, vcc_lo
	s_cbranch_execz .LBB2_32
; %bb.29:
	v_and_b32_e32 v6, 0x800, v64
	s_mov_b32 s6, exec_lo
	v_cmpx_eq_u32_e32 0, v6
	s_cbranch_execz .LBB2_31
; %bb.30:
	s_trap 2
	ds_write_b64 v0, v[16:17]
.LBB2_31:
	s_or_b32 exec_lo, exec_lo, s6
	flat_load_dwordx2 v[18:19], v[27:28] offset:552
	s_waitcnt vmcnt(0) lgkmcnt(0)
	flat_load_dwordx2 v[24:25], v[18:19] glc dlc
	s_clause 0x2
	flat_load_dwordx2 v[6:7], v[27:28] offset:600
	flat_load_dword v65, v[27:28] offset:576
	flat_load_dwordx2 v[20:21], v[27:28] offset:520
	v_or_b32_e32 v27, 0x100, v64
	s_waitcnt vmcnt(2) lgkmcnt(2)
	v_cmp_eq_u64_e32 vcc_lo, 0, v[6:7]
	v_cndmask_b32_e32 v64, v27, v64, vcc_lo
.LBB2_32:
	s_or_b32 exec_lo, exec_lo, s5
.LBB2_33:
	s_or_b32 exec_lo, exec_lo, s4
	v_and_b32_e32 v27, 24, v64
	s_mov_b32 s4, exec_lo
                                        ; implicit-def: $vgpr28_vgpr29
	v_cmpx_ne_u32_e32 0, v27
	s_cbranch_execz .LBB2_41
; %bb.34:
	s_trap 2
	ds_read_b64 v[6:7], v0
	s_waitcnt vmcnt(0) lgkmcnt(1)
	v_lshlrev_b64 v[8:9], 3, v[35:36]
	s_mov_b32 s5, exec_lo
                                        ; implicit-def: $vgpr28_vgpr29
	s_waitcnt lgkmcnt(0)
	v_add_co_u32 v6, vcc_lo, v6, v8
	v_add_co_ci_u32_e64 v7, null, v7, v9, vcc_lo
	flat_load_dwordx2 v[6:7], v[6:7]
	s_waitcnt vmcnt(0) lgkmcnt(0)
	v_mad_u64_u32 v[16:17], null, 0xa8, v23, v[6:7]
	v_or_b32_e32 v23, 0x100, v64
	flat_load_dwordx4 v[6:9], v[16:17] offset:96
	s_waitcnt vmcnt(0) lgkmcnt(0)
	v_cmp_eq_u64_e32 vcc_lo, 0, v[6:7]
	v_cndmask_b32_e32 v64, v23, v64, vcc_lo
	v_and_b32_e32 v23, 16, v64
	v_cmpx_ne_u32_e32 0, v23
	s_cbranch_execz .LBB2_36
; %bb.35:
	s_clause 0x2
	flat_load_dwordx2 v[18:19], v[16:17] offset:48
	flat_load_dwordx2 v[28:29], v[16:17] offset:120
	;; [unrolled: 1-line block ×3, first 2 shown]
.LBB2_36:
	s_or_b32 exec_lo, exec_lo, s5
	v_and_b32_e32 v23, 8, v64
	s_mov_b32 s5, exec_lo
	v_cmpx_ne_u32_e32 0, v23
	s_cbranch_execz .LBB2_40
; %bb.37:
	s_waitcnt vmcnt(2) lgkmcnt(2)
	v_and_b32_e32 v18, 0x800, v64
	s_mov_b32 s6, exec_lo
	v_cmpx_eq_u32_e32 0, v18
	s_cbranch_execz .LBB2_39
; %bb.38:
	s_trap 2
	ds_write_b64 v0, v[16:17]
.LBB2_39:
	s_or_b32 exec_lo, exec_lo, s6
	flat_load_dwordx2 v[18:19], v[16:17] offset:56
	s_waitcnt vmcnt(0) lgkmcnt(0)
	flat_load_dwordx2 v[24:25], v[18:19] glc dlc
	s_clause 0x1
	flat_load_dword v65, v[16:17] offset:72
	flat_load_dwordx2 v[20:21], v[16:17] offset:16
.LBB2_40:
	s_or_b32 exec_lo, exec_lo, s5
.LBB2_41:
	s_or_b32 exec_lo, exec_lo, s4
	v_cmp_eq_u32_e64 s4, 0, v0
	s_and_saveexec_b32 s5, s4
	s_cbranch_execz .LBB2_43
; %bb.42:
	v_mov_b32_e32 v35, 0
	s_waitcnt vmcnt(2)
	ds_write2_b64 v0, v[12:13], v[10:11] offset1:1
	s_trap 2
	v_mov_b32_e32 v36, v35
	ds_write_b64 v0, v[35:36]
	s_waitcnt vmcnt(1)
	ds_write_b64 v0, v[33:34]
.LBB2_43:
	s_or_b32 exec_lo, exec_lo, s5
	s_waitcnt vmcnt(2)
	v_bfe_u32 v10, v22, 1, 30
	v_and_b32_e32 v26, 0x3ffffe00, v26
	v_mov_b32_e32 v27, 0
                                        ; implicit-def: $vgpr22_vgpr23
	s_mov_b32 s5, exec_lo
	v_cmpx_ne_u32_e64 v38, v10
	s_xor_b32 s17, exec_lo, s5
	s_cbranch_execnz .LBB2_44
; %bb.4892:
	s_getpc_b64 s[34:35]
.Lpost_getpc1:
	s_add_u32 s34, s34, (.LBB2_3737-.Lpost_getpc1)&4294967295
	s_addc_u32 s35, s35, (.LBB2_3737-.Lpost_getpc1)>>32
	s_setpc_b64 s[34:35]
.LBB2_44:
                                        ; implicit-def: $vgpr22_vgpr23
	s_mov_b32 s5, exec_lo
	v_cmpx_ne_u32_e64 v32, v10
	s_xor_b32 s18, exec_lo, s5
	s_cbranch_execz .LBB2_1896
; %bb.45:
	v_mov_b32_e32 v22, 0
	v_mov_b32_e32 v23, 0
	s_mov_b32 s19, exec_lo
	v_cmpx_ne_u64_e32 0, v[4:5]
	s_cbranch_execz .LBB2_1895
; %bb.46:
	v_and_b32_e32 v10, 31, v31
	v_and_b32_e32 v67, 31, v0
	v_lshrrev_b32_e32 v68, 5, v1
	s_ashr_i32 s6, s16, 31
	v_cmp_eq_u32_e32 vcc_lo, 32, v1
	s_lshr_b32 s6, s6, 24
	s_waitcnt vmcnt(1)
	v_mov_b32_e32 v34, 0
	s_waitcnt lgkmcnt(1)
	v_cmp_eq_u64_e64 s12, 0, v[28:29]
	v_mov_b32_e32 v22, 0
	v_cmp_ge_u32_e64 s5, v0, v1
	v_ashrrev_i32_e32 v66, 31, v65
	s_add_i32 s13, s16, s6
	v_cmp_ne_u32_e64 s6, 32, v1
	s_waitcnt vmcnt(0)
	v_cmp_ne_u32_sdwa s20, v1, v30 src0_sel:DWORD src1_sel:WORD_0
	v_cmp_eq_u32_e64 s7, 0, v10
	v_mov_b32_e32 v32, 0
	v_cmp_le_u32_e64 s10, v67, v37
	v_cmp_lt_u32_e64 s11, v67, v37
	v_lshrrev_b32_e32 v69, 5, v0
	v_lshlrev_b32_e32 v70, 4, v0
	v_lshlrev_b32_e32 v71, 9, v68
	;; [unrolled: 1-line block ×3, first 2 shown]
	v_and_b32_e32 v81, 0x1fe0, v1
	v_mov_b32_e32 v35, 0
	v_mov_b32_e32 v82, 1
	;; [unrolled: 1-line block ×10, first 2 shown]
	s_ashr_i32 s22, s13, 8
	s_mov_b32 s21, 0
	s_xor_b32 s23, vcc_lo, -1
	s_trap 2
	s_branch .LBB2_49
.LBB2_47:                               ;   in Loop: Header=BB2_49 Depth=1
	s_or_b32 exec_lo, exec_lo, s13
.LBB2_48:                               ;   in Loop: Header=BB2_49 Depth=1
	s_or_b32 exec_lo, exec_lo, s14
	v_add_co_u32 v34, vcc_lo, v34, v26
	v_add_co_ci_u32_e64 v35, null, 0, v35, vcc_lo
	v_cmp_ge_u64_e32 vcc_lo, v[34:35], v[4:5]
	s_or_b32 s21, vcc_lo, s21
	s_andn2_b32 exec_lo, exec_lo, s21
	s_cbranch_execz .LBB2_1894
.LBB2_49:                               ; =>This Loop Header: Depth=1
                                        ;     Child Loop BB2_58 Depth 2
                                        ;     Child Loop BB2_86 Depth 2
	;; [unrolled: 1-line block ×10, first 2 shown]
	v_sub_co_u32 v10, vcc_lo, v4, v34
	v_sub_co_ci_u32_e64 v11, null, v5, v35, vcc_lo
	v_cmp_lt_u64_e32 vcc_lo, v[26:27], v[10:11]
	v_cndmask_b32_e32 v36, v10, v26, vcc_lo
	v_cndmask_b32_e64 v37, v11, 0, vcc_lo
	v_add_nc_u32_e32 v10, 15, v36
	v_cmp_eq_u64_e32 vcc_lo, 0, v[36:37]
	v_and_b32_e32 v10, 0x7ffffff0, v10
	s_or_b32 s24, s5, vcc_lo
	s_xor_b32 s13, s24, -1
	v_max_i32_e32 v37, s22, v10
	v_mov_b32_e32 v10, 0
	s_and_saveexec_b32 s25, s13
	s_cbranch_execz .LBB2_1842
; %bb.50:                               ;   in Loop: Header=BB2_49 Depth=1
	s_and_saveexec_b32 s13, s4
	s_cbranch_execz .LBB2_52
; %bb.51:                               ;   in Loop: Header=BB2_49 Depth=1
	s_trap 2
	ds_read_b64 v[10:11], v0
	v_mov_b32_e32 v33, v32
	s_waitcnt lgkmcnt(0)
	v_add_co_u32 v10, vcc_lo, v10, v14
	v_add_co_ci_u32_e64 v11, null, v11, v15, vcc_lo
	v_add_co_u32 v10, vcc_lo, v10, v34
	v_add_co_ci_u32_e64 v11, null, v11, v35, vcc_lo
	ds_write_b64 v0, v[10:11]
	ds_write_b64 v0, v[32:33]
.LBB2_52:                               ;   in Loop: Header=BB2_49 Depth=1
	s_or_b32 exec_lo, exec_lo, s13
	v_and_b32_e32 v10, 12, v64
	v_min_u32_e32 v37, v37, v36
	s_mov_b32 s14, exec_lo
	v_cmpx_ne_u32_e32 0, v10
	s_cbranch_execz .LBB2_78
; %bb.53:                               ;   in Loop: Header=BB2_49 Depth=1
	v_and_b32_e32 v33, 8, v64
	s_mov_b32 s26, exec_lo
	s_waitcnt vmcnt(0)
	v_add_co_u32 v12, vcc_lo, v24, v33
	v_add_co_ci_u32_e64 v13, null, 0, v25, vcc_lo
	s_waitcnt lgkmcnt(0)
	v_add_co_u32 v10, vcc_lo, v8, 1
	v_add_co_ci_u32_e64 v11, null, 0, v9, vcc_lo
	v_cmpx_lt_u64_e64 v[12:13], v[10:11]
	s_cbranch_execz .LBB2_65
; %bb.54:                               ;   in Loop: Header=BB2_49 Depth=1
	v_and_b32_e32 v9, 64, v64
	s_mov_b32 s27, 0
	s_mov_b32 s41, 0
                                        ; implicit-def: $sgpr28
                                        ; implicit-def: $sgpr29
                                        ; implicit-def: $sgpr40
	v_cmp_eq_u32_e32 vcc_lo, 0, v9
	s_branch .LBB2_58
.LBB2_55:                               ;   in Loop: Header=BB2_58 Depth=2
	s_waitcnt vmcnt(0) lgkmcnt(0)
	v_add_co_u32 v12, s13, v24, v33
	v_add_co_ci_u32_e64 v13, null, 0, v25, s13
	s_or_b32 s44, s44, exec_lo
	v_cmp_ge_u64_e64 s13, v[12:13], v[10:11]
	s_orn2_b32 s43, s13, exec_lo
.LBB2_56:                               ;   in Loop: Header=BB2_58 Depth=2
	s_or_b32 exec_lo, exec_lo, s46
	s_andn2_b32 s13, s40, exec_lo
	s_and_b32 s40, s44, exec_lo
	s_andn2_b32 s29, s29, exec_lo
	s_and_b32 s43, s43, exec_lo
	s_or_b32 s40, s13, s40
	s_or_b32 s29, s29, s43
.LBB2_57:                               ;   in Loop: Header=BB2_58 Depth=2
	s_or_b32 exec_lo, exec_lo, s42
	s_and_b32 s13, exec_lo, s29
	s_or_b32 s27, s13, s27
	s_andn2_b32 s13, s28, exec_lo
	s_and_b32 s28, s40, exec_lo
	s_or_b32 s28, s13, s28
	s_andn2_b32 exec_lo, exec_lo, s27
	s_cbranch_execz .LBB2_62
.LBB2_58:                               ;   Parent Loop BB2_49 Depth=1
                                        ; =>  This Inner Loop Header: Depth=2
	s_sleep 1
	s_waitcnt vmcnt(0) lgkmcnt(0)
	flat_load_dwordx2 v[24:25], v[18:19] glc dlc
	s_or_b32 s40, s40, exec_lo
	s_or_b32 s29, s29, exec_lo
                                        ; implicit-def: $vgpr9
	s_and_saveexec_b32 s42, vcc_lo
	s_cbranch_execz .LBB2_57
; %bb.59:                               ;   in Loop: Header=BB2_58 Depth=2
	s_cmpk_lt_i32 s41, 0x270f
	s_mov_b32 s43, -1
	s_cselect_b32 s45, -1, 0
	s_cmpk_gt_i32 s41, 0x270e
	s_cbranch_scc0 .LBB2_61
; %bb.60:                               ;   in Loop: Header=BB2_58 Depth=2
	s_trap 2
	ds_read_b64 v[12:13], v0
	s_andn2_b32 s41, s45, exec_lo
	s_mov_b32 s44, 0
	s_waitcnt vmcnt(0) lgkmcnt(0)
	s_waitcnt_vscnt null, 0x0
	flat_load_dword v9, v[12:13] glc dlc
	s_waitcnt vmcnt(0) lgkmcnt(0)
	buffer_gl1_inv
	buffer_gl0_inv
	v_cmp_eq_u32_e64 s13, 0, v9
	s_and_b32 s13, s13, exec_lo
	s_or_b32 s45, s41, s13
	s_mov_b32 s41, 0
	s_and_saveexec_b32 s46, s45
	s_cbranch_execz .LBB2_56
	s_branch .LBB2_55
.LBB2_61:                               ;   in Loop: Header=BB2_58 Depth=2
	s_add_i32 s41, s41, 1
	s_mov_b32 s44, -1
                                        ; implicit-def: $vgpr9
	s_and_saveexec_b32 s46, s45
	s_cbranch_execz .LBB2_56
	s_branch .LBB2_55
.LBB2_62:                               ;   in Loop: Header=BB2_49 Depth=1
	s_or_b32 exec_lo, exec_lo, s27
	s_xor_b32 s13, s28, -1
	s_and_saveexec_b32 s27, s13
	s_xor_b32 s13, exec_lo, s27
	s_cbranch_execz .LBB2_64
; %bb.63:                               ;   in Loop: Header=BB2_49 Depth=1
	v_or_b32_e32 v64, 64, v64
	s_waitcnt vmcnt(0) lgkmcnt(0)
	s_waitcnt_vscnt null, 0x0
	ds_write_b32 v0, v9
	s_trap 2
.LBB2_64:                               ;   in Loop: Header=BB2_49 Depth=1
	s_or_b32 exec_lo, exec_lo, s13
.LBB2_65:                               ;   in Loop: Header=BB2_49 Depth=1
	s_or_b32 exec_lo, exec_lo, s26
	v_and_b32_e32 v9, 0x108, v64
	v_and_b32_e32 v39, 7, v8
	s_mov_b32 s13, exec_lo
	;;#ASMSTART
	s_wakeup
	;;#ASMEND
	v_cmpx_ne_u32_e32 0x108, v9
	s_xor_b32 s13, exec_lo, s13
                                        ; implicit-def: $vgpr48
; %bb.66:                               ;   in Loop: Header=BB2_49 Depth=1
	v_mov_b32_e32 v48, v32
; %bb.67:                               ;   in Loop: Header=BB2_49 Depth=1
	s_andn2_saveexec_b32 s13, s13
	s_cbranch_execz .LBB2_69
; %bb.68:                               ;   in Loop: Header=BB2_49 Depth=1
	v_mad_u64_u32 v[8:9], null, v39, 24, v[6:7]
	v_mov_b32_e32 v38, v32
	v_mov_b32_e32 v48, v32
	flat_store_dwordx2 v[8:9], v[37:38] offset:8
.LBB2_69:                               ;   in Loop: Header=BB2_49 Depth=1
	s_or_b32 exec_lo, exec_lo, s13
	v_and_b32_e32 v8, 0x100, v64
	s_mov_b32 s13, -1
	v_cmp_ne_u32_e32 vcc_lo, 0, v8
                                        ; implicit-def: $vgpr8_vgpr9
	s_and_saveexec_b32 s26, vcc_lo
	s_cbranch_execz .LBB2_73
; %bb.70:                               ;   in Loop: Header=BB2_49 Depth=1
	v_mad_u64_u32 v[12:13], null, v39, 24, v[6:7]
	v_mov_b32_e32 v8, v13
	v_mad_u64_u32 v[8:9], null, v48, 24, v[8:9]
	v_mov_b32_e32 v13, v8
	flat_load_dword v8, v[12:13]
	s_waitcnt vmcnt(0) lgkmcnt(0)
	v_cmp_eq_u32_e64 s13, 1, v8
	v_cmp_ne_u32_e32 vcc_lo, 1, v8
                                        ; implicit-def: $vgpr8_vgpr9
	s_and_saveexec_b32 s27, s13
	s_cbranch_execz .LBB2_72
; %bb.71:                               ;   in Loop: Header=BB2_49 Depth=1
	flat_load_dword v8, v[12:13] offset:4 glc dlc
	s_waitcnt vmcnt(0) lgkmcnt(0)
	v_ashrrev_i32_e32 v9, 31, v8
.LBB2_72:                               ;   in Loop: Header=BB2_49 Depth=1
	s_or_b32 exec_lo, exec_lo, s27
	s_orn2_b32 s13, vcc_lo, exec_lo
.LBB2_73:                               ;   in Loop: Header=BB2_49 Depth=1
	s_or_b32 exec_lo, exec_lo, s26
	s_and_saveexec_b32 s26, s13
; %bb.74:                               ;   in Loop: Header=BB2_49 Depth=1
	v_mul_lo_u32 v12, v48, v65
	v_mul_lo_u32 v13, v39, v66
	v_mad_u64_u32 v[8:9], null, v39, v65, 0
	v_add3_u32 v9, v9, v13, v12
; %bb.75:                               ;   in Loop: Header=BB2_49 Depth=1
	s_or_b32 exec_lo, exec_lo, s26
	v_cmp_eq_u32_e32 vcc_lo, 0, v33
	v_and_b32_e32 v13, 0x2000, v64
	s_mov_b32 s13, exec_lo
	v_cndmask_b32_e32 v12, 0xc8, v83, vcc_lo
	v_add_co_u32 v8, vcc_lo, v20, v8
	v_add_co_ci_u32_e64 v9, null, v21, v9, vcc_lo
	v_add_nc_u32_e32 v12, v0, v12
	ds_write_b64 v12, v[8:9] offset:584
	v_cmpx_ne_u32_e32 0, v13
	s_cbranch_execz .LBB2_77
; %bb.76:                               ;   in Loop: Header=BB2_49 Depth=1
	ds_read_b64 v[8:9], v0 offset:872
	s_waitcnt lgkmcnt(0)
	v_add_co_u32 v8, vcc_lo, v8, 1
	v_add_co_ci_u32_e64 v9, null, 0, v9, vcc_lo
	ds_write_b64 v0, v[8:9] offset:872
.LBB2_77:                               ;   in Loop: Header=BB2_49 Depth=1
	s_or_b32 exec_lo, exec_lo, s13
	v_mov_b32_e32 v8, v10
	v_mov_b32_e32 v9, v11
.LBB2_78:                               ;   in Loop: Header=BB2_49 Depth=1
	s_or_b32 exec_lo, exec_lo, s14
	s_and_saveexec_b32 s13, s6
	s_cbranch_execz .LBB2_97
; %bb.79:                               ;   in Loop: Header=BB2_49 Depth=1
	s_and_saveexec_b32 s14, s20
	s_xor_b32 s14, exec_lo, s14
	s_cbranch_execz .LBB2_94
; %bb.80:                               ;   in Loop: Header=BB2_49 Depth=1
	s_and_saveexec_b32 s26, s7
	s_cbranch_execz .LBB2_93
; %bb.81:                               ;   in Loop: Header=BB2_49 Depth=1
	s_mov_b32 s28, exec_lo
	s_mov_b32 s27, exec_lo
	v_mbcnt_lo_u32_b32 v10, s28, 0
	s_waitcnt vmcnt(0) lgkmcnt(0)
	s_waitcnt_vscnt null, 0x0
	buffer_gl1_inv
	buffer_gl0_inv
	v_cmpx_eq_u32_e32 0, v10
	s_cbranch_execz .LBB2_83
; %bb.82:                               ;   in Loop: Header=BB2_49 Depth=1
	s_bcnt1_i32_b32 s28, s28
	v_mov_b32_e32 v11, v32
	v_mov_b32_e32 v10, s28
	ds_add_u64 v0, v[10:11]
	s_trap 2
.LBB2_83:                               ;   in Loop: Header=BB2_49 Depth=1
	s_or_b32 exec_lo, exec_lo, s27
	s_trap 2
	ds_read_b64 v[10:11], v0
	s_waitcnt lgkmcnt(0)
	buffer_gl0_inv
	v_add_co_u32 v22, vcc_lo, v22, v68
	v_add_co_ci_u32_e64 v23, null, 0, v23, vcc_lo
	s_mov_b32 s27, exec_lo
	v_cmpx_lt_u64_e64 v[10:11], v[22:23]
	s_cbranch_execz .LBB2_92
; %bb.84:                               ;   in Loop: Header=BB2_49 Depth=1
	s_mov_b32 s28, 0
	s_mov_b32 s41, 0
                                        ; implicit-def: $sgpr29
                                        ; implicit-def: $sgpr40
	s_inst_prefetch 0x1
	s_branch .LBB2_86
	.p2align	6
.LBB2_85:                               ;   in Loop: Header=BB2_86 Depth=2
	s_or_b32 exec_lo, exec_lo, s43
	s_and_b32 s42, exec_lo, s44
	s_or_b32 s28, s42, s28
	s_andn2_b32 s29, s29, exec_lo
	s_and_b32 s42, s40, exec_lo
	s_or_b32 s29, s29, s42
	s_andn2_b32 exec_lo, exec_lo, s28
	s_cbranch_execz .LBB2_90
.LBB2_86:                               ;   Parent Loop BB2_49 Depth=1
                                        ; =>  This Inner Loop Header: Depth=2
	s_add_i32 s41, s41, 1
	s_cmpk_lg_i32 s41, 0x2710
	s_cselect_b32 s42, -1, 0
	s_and_b32 vcc_lo, exec_lo, s42
	s_cbranch_vccz .LBB2_88
; %bb.87:                               ;   in Loop: Header=BB2_86 Depth=2
	s_mov_b32 s44, -1
	s_or_b32 s40, s40, exec_lo
	s_and_saveexec_b32 s43, s42
	s_cbranch_execz .LBB2_85
	s_branch .LBB2_89
	.p2align	6
.LBB2_88:                               ;   in Loop: Header=BB2_86 Depth=2
	s_trap 2
	ds_read_b64 v[10:11], v0
	s_andn2_b32 s42, s42, exec_lo
	s_mov_b32 s41, 0
	s_waitcnt lgkmcnt(0)
	flat_load_dword v10, v[10:11] glc dlc
	s_waitcnt vmcnt(0) lgkmcnt(0)
	buffer_gl1_inv
	buffer_gl0_inv
	v_cmp_eq_u32_e32 vcc_lo, 0, v10
	s_and_b32 s43, vcc_lo, exec_lo
	s_or_b32 s42, s42, s43
	s_mov_b32 s44, -1
	s_or_b32 s40, s40, exec_lo
	s_and_saveexec_b32 s43, s42
	s_cbranch_execz .LBB2_85
.LBB2_89:                               ;   in Loop: Header=BB2_86 Depth=2
	s_sleep 1
	s_trap 2
	ds_read_b64 v[10:11], v0
	s_waitcnt lgkmcnt(0)
	buffer_gl0_inv
	s_andn2_b32 s40, s40, exec_lo
	v_cmp_ge_u64_e32 vcc_lo, v[10:11], v[22:23]
	s_orn2_b32 s44, vcc_lo, exec_lo
	s_branch .LBB2_85
.LBB2_90:                               ;   in Loop: Header=BB2_49 Depth=1
	s_inst_prefetch 0x2
	s_or_b32 exec_lo, exec_lo, s28
	s_and_saveexec_b32 s28, s29
	s_xor_b32 s28, exec_lo, s28
	s_cbranch_execz .LBB2_92
; %bb.91:                               ;   in Loop: Header=BB2_49 Depth=1
	ds_write_b32 v0, v82
	s_trap 2
.LBB2_92:                               ;   in Loop: Header=BB2_49 Depth=1
	s_or_b32 exec_lo, exec_lo, s27
	;;#ASMSTART
	s_wakeup
	;;#ASMEND
.LBB2_93:                               ;   in Loop: Header=BB2_49 Depth=1
	s_or_b32 exec_lo, exec_lo, s26
.LBB2_94:                               ;   in Loop: Header=BB2_49 Depth=1
	s_andn2_saveexec_b32 s14, s14
	s_cbranch_execz .LBB2_96
; %bb.95:                               ;   in Loop: Header=BB2_49 Depth=1
	s_waitcnt vmcnt(0) lgkmcnt(0)
	s_waitcnt_vscnt null, 0x0
	buffer_gl1_inv
	buffer_gl0_inv
	s_barrier
.LBB2_96:                               ;   in Loop: Header=BB2_49 Depth=1
	s_or_b32 exec_lo, exec_lo, s14
.LBB2_97:                               ;   in Loop: Header=BB2_49 Depth=1
	s_or_b32 exec_lo, exec_lo, s13
	s_trap 2
	ds_read_b32 v10, v0
	v_and_b32_e32 v11, 0x4000, v64
	v_cmp_ne_u32_e32 vcc_lo, 0, v11
	s_and_b32 s14, s23, vcc_lo
	s_and_saveexec_b32 s13, s14
	s_cbranch_execz .LBB2_116
; %bb.98:                               ;   in Loop: Header=BB2_49 Depth=1
	s_and_saveexec_b32 s14, s20
	s_xor_b32 s14, exec_lo, s14
	s_cbranch_execz .LBB2_113
; %bb.99:                               ;   in Loop: Header=BB2_49 Depth=1
	s_and_saveexec_b32 s26, s7
	s_cbranch_execz .LBB2_112
; %bb.100:                              ;   in Loop: Header=BB2_49 Depth=1
	s_mov_b32 s28, exec_lo
	s_mov_b32 s27, exec_lo
	v_mbcnt_lo_u32_b32 v11, s28, 0
	s_waitcnt vmcnt(0) lgkmcnt(0)
	s_waitcnt_vscnt null, 0x0
	buffer_gl1_inv
	buffer_gl0_inv
	v_cmpx_eq_u32_e32 0, v11
	s_cbranch_execz .LBB2_102
; %bb.101:                              ;   in Loop: Header=BB2_49 Depth=1
	s_bcnt1_i32_b32 s28, s28
	v_mov_b32_e32 v12, v32
	v_mov_b32_e32 v11, s28
	ds_add_u64 v0, v[11:12]
	s_trap 2
.LBB2_102:                              ;   in Loop: Header=BB2_49 Depth=1
	s_or_b32 exec_lo, exec_lo, s27
	s_trap 2
	ds_read_b64 v[11:12], v0
	s_waitcnt lgkmcnt(0)
	buffer_gl0_inv
	v_add_co_u32 v22, vcc_lo, v22, v68
	v_add_co_ci_u32_e64 v23, null, 0, v23, vcc_lo
	s_mov_b32 s27, exec_lo
	v_cmpx_lt_u64_e64 v[11:12], v[22:23]
	s_cbranch_execz .LBB2_111
; %bb.103:                              ;   in Loop: Header=BB2_49 Depth=1
	s_mov_b32 s28, 0
	s_mov_b32 s41, 0
                                        ; implicit-def: $sgpr29
                                        ; implicit-def: $sgpr40
	s_inst_prefetch 0x1
	s_branch .LBB2_105
	.p2align	6
.LBB2_104:                              ;   in Loop: Header=BB2_105 Depth=2
	s_or_b32 exec_lo, exec_lo, s43
	s_and_b32 s42, exec_lo, s44
	s_or_b32 s28, s42, s28
	s_andn2_b32 s29, s29, exec_lo
	s_and_b32 s42, s40, exec_lo
	s_or_b32 s29, s29, s42
	s_andn2_b32 exec_lo, exec_lo, s28
	s_cbranch_execz .LBB2_109
.LBB2_105:                              ;   Parent Loop BB2_49 Depth=1
                                        ; =>  This Inner Loop Header: Depth=2
	s_add_i32 s41, s41, 1
	s_cmpk_lg_i32 s41, 0x2710
	s_cselect_b32 s42, -1, 0
	s_and_b32 vcc_lo, exec_lo, s42
	s_cbranch_vccz .LBB2_107
; %bb.106:                              ;   in Loop: Header=BB2_105 Depth=2
	s_mov_b32 s44, -1
	s_or_b32 s40, s40, exec_lo
	s_and_saveexec_b32 s43, s42
	s_cbranch_execz .LBB2_104
	s_branch .LBB2_108
	.p2align	6
.LBB2_107:                              ;   in Loop: Header=BB2_105 Depth=2
	s_trap 2
	ds_read_b64 v[11:12], v0
	s_andn2_b32 s42, s42, exec_lo
	s_mov_b32 s41, 0
	s_waitcnt lgkmcnt(0)
	flat_load_dword v11, v[11:12] glc dlc
	s_waitcnt vmcnt(0) lgkmcnt(0)
	buffer_gl1_inv
	buffer_gl0_inv
	v_cmp_eq_u32_e32 vcc_lo, 0, v11
	s_and_b32 s43, vcc_lo, exec_lo
	s_or_b32 s42, s42, s43
	s_mov_b32 s44, -1
	s_or_b32 s40, s40, exec_lo
	s_and_saveexec_b32 s43, s42
	s_cbranch_execz .LBB2_104
.LBB2_108:                              ;   in Loop: Header=BB2_105 Depth=2
	s_sleep 1
	s_trap 2
	ds_read_b64 v[11:12], v0
	s_waitcnt lgkmcnt(0)
	buffer_gl0_inv
	s_andn2_b32 s40, s40, exec_lo
	v_cmp_ge_u64_e32 vcc_lo, v[11:12], v[22:23]
	s_orn2_b32 s44, vcc_lo, exec_lo
	s_branch .LBB2_104
.LBB2_109:                              ;   in Loop: Header=BB2_49 Depth=1
	s_inst_prefetch 0x2
	s_or_b32 exec_lo, exec_lo, s28
	s_and_saveexec_b32 s28, s29
	s_xor_b32 s28, exec_lo, s28
	s_cbranch_execz .LBB2_111
; %bb.110:                              ;   in Loop: Header=BB2_49 Depth=1
	ds_write_b32 v0, v82
	s_trap 2
.LBB2_111:                              ;   in Loop: Header=BB2_49 Depth=1
	s_or_b32 exec_lo, exec_lo, s27
	;;#ASMSTART
	s_wakeup
	;;#ASMEND
.LBB2_112:                              ;   in Loop: Header=BB2_49 Depth=1
	s_or_b32 exec_lo, exec_lo, s26
.LBB2_113:                              ;   in Loop: Header=BB2_49 Depth=1
	s_andn2_saveexec_b32 s14, s14
	s_cbranch_execz .LBB2_115
; %bb.114:                              ;   in Loop: Header=BB2_49 Depth=1
	s_waitcnt vmcnt(0) lgkmcnt(0)
	s_waitcnt_vscnt null, 0x0
	buffer_gl1_inv
	buffer_gl0_inv
	s_barrier
.LBB2_115:                              ;   in Loop: Header=BB2_49 Depth=1
	s_or_b32 exec_lo, exec_lo, s14
.LBB2_116:                              ;   in Loop: Header=BB2_49 Depth=1
	s_or_b32 exec_lo, exec_lo, s13
	s_trap 2
	ds_read_b64 v[38:39], v0
	s_waitcnt lgkmcnt(0)
	v_cmp_eq_u64_e32 vcc_lo, 0, v[38:39]
	s_cbranch_vccnz .LBB2_124
; %bb.117:                              ;   in Loop: Header=BB2_49 Depth=1
	s_trap 2
	ds_read_b64 v[48:49], v0
	s_waitcnt lgkmcnt(0)
	v_cmp_eq_u64_e32 vcc_lo, 0, v[48:49]
	s_cbranch_vccnz .LBB2_124
; %bb.118:                              ;   in Loop: Header=BB2_49 Depth=1
	s_mov_b32 s13, -1
	s_and_saveexec_b32 s14, s10
	s_cbranch_execz .LBB2_120
; %bb.119:                              ;   in Loop: Header=BB2_49 Depth=1
	ds_read_b32 v11, v0 offset:720
	s_waitcnt lgkmcnt(0)
	v_and_b32_e32 v11, 15, v11
	v_cmp_eq_u32_e32 vcc_lo, 0, v11
	s_orn2_b32 s13, vcc_lo, exec_lo
.LBB2_120:                              ;   in Loop: Header=BB2_49 Depth=1
	s_or_b32 exec_lo, exec_lo, s14
	s_and_saveexec_b32 s14, s11
	s_cbranch_execz .LBB2_122
; %bb.121:                              ;   in Loop: Header=BB2_49 Depth=1
	ds_read_b32 v11, v0 offset:784
	s_waitcnt lgkmcnt(0)
	v_and_b32_e32 v11, 15, v11
	v_cmp_eq_u32_e32 vcc_lo, 0, v11
	s_and_b32 s26, s13, vcc_lo
	s_andn2_b32 s13, s13, exec_lo
	s_and_b32 s26, s26, exec_lo
	s_or_b32 s13, s13, s26
.LBB2_122:                              ;   in Loop: Header=BB2_49 Depth=1
	s_or_b32 exec_lo, exec_lo, s14
	v_cmp_eq_u32_e32 vcc_lo, 0, v10
	s_xor_b32 s13, s13, -1
	v_mov_b32_e32 v98, 0
	v_cndmask_b32_e64 v11, 0, 1, s13
	v_mov_b32_e32 v50, v0
	v_cndmask_b32_e32 v33, 0, v37, vcc_lo
	s_mov_b32 s26, -1
	v_cmp_ne_u32_e32 vcc_lo, 0, v11
	v_mov_b32_e32 v99, v33
	s_cbranch_vccz .LBB2_125
; %bb.123:                              ;   in Loop: Header=BB2_49 Depth=1
	s_and_saveexec_b32 s14, s26
	s_cbranch_execnz .LBB2_1432
	s_branch .LBB2_1816
.LBB2_124:                              ;   in Loop: Header=BB2_49 Depth=1
	s_mov_b32 s13, 0
	s_and_saveexec_b32 s14, s6
	s_cbranch_execnz .LBB2_1817
	s_branch .LBB2_1835
.LBB2_125:                              ;   in Loop: Header=BB2_49 Depth=1
	v_lshrrev_b32_e32 v10, 9, v33
	v_and_b32_e32 v98, 0x1ff, v33
	v_sub_nc_u32_e32 v99, v33, v70
	s_mov_b32 s26, exec_lo
	v_sub_nc_u32_e32 v10, v10, v69
	v_cmp_lt_u32_e64 s13, 15, v98
	v_add_co_ci_u32_e64 v100, null, 0, v10, s13
	v_cmpx_lt_i32_e32 15, v99
	s_cbranch_execz .LBB2_777
; %bb.126:                              ;   in Loop: Header=BB2_49 Depth=1
	s_trap 2
	ds_read_b64 v[10:11], v0
	v_add_co_u32 v50, vcc_lo, v38, v70
	v_add_co_ci_u32_e64 v51, null, 0, v39, vcc_lo
	v_add_co_u32 v52, vcc_lo, v48, v70
	v_add_co_ci_u32_e64 v53, null, 0, v49, vcc_lo
	s_waitcnt lgkmcnt(0)
	v_readfirstlane_b32 s14, v10
	v_add_co_u32 v54, vcc_lo, v10, v70
	v_add_co_ci_u32_e64 v55, null, 0, v11, vcc_lo
	s_and_b32 s28, s14, 7
	s_bfe_u32 s41, s14, 0x40003
	s_flbit_i32_b32 s27, s28
	s_min_u32 s29, s27, 32
	s_mov_b32 s27, 0
	s_sub_i32 s40, s29, 28
	s_sub_i32 s29, 29, s29
	s_lshl_b32 s40, s14, s40
	s_and_b32 s40, s40, 7
	s_cmp_eq_u32 s41, 0
	s_cselect_b32 s29, s29, s41
	s_cselect_b32 s28, s40, s28
	s_lshl_b32 s40, s14, 24
	s_lshl_b32 s29, s29, 23
	s_and_b32 s40, s40, 0x80000000
	s_add_i32 s29, s29, 0x3b800000
	s_lshl_b32 s41, s28, 20
	s_or_b32 s29, s40, s29
	s_and_b32 s28, s14, 0xff
	s_or_b32 s29, s29, s41
	s_and_b32 s40, 0xffff, s28
	s_branch .LBB2_130
.LBB2_127:                              ;   in Loop: Header=BB2_130 Depth=2
	s_or_b32 exec_lo, exec_lo, s14
	v_lshrrev_b32_e32 v115, 20, v115
	v_min_i32_e32 v42, 15, v113
	v_cmp_gt_i32_e32 vcc_lo, 16, v113
	v_and_b32_sdwa v13, v13, v85 dst_sel:DWORD dst_unused:UNUSED_PAD src0_sel:BYTE_3 src1_sel:DWORD
	v_lshlrev_b32_e32 v42, 3, v42
	v_cndmask_b32_e32 v115, 7, v115, vcc_lo
	v_and_b32_e32 v42, 0xf8, v42
	v_and_b32_e32 v44, 7, v115
	v_or_b32_e32 v113, v113, v115
	v_or3_b32 v13, v13, v42, v44
	v_cmp_ne_u32_e32 vcc_lo, 0, v113
	v_lshlrev_b32_e32 v13, 8, v13
	v_cndmask_b32_e32 v113, 0, v13, vcc_lo
.LBB2_128:                              ;   in Loop: Header=BB2_130 Depth=2
	s_or_b32 exec_lo, exec_lo, s42
.LBB2_129:                              ;   in Loop: Header=BB2_130 Depth=2
	s_or_b32 exec_lo, exec_lo, s41
	v_or_b32_sdwa v11, v11, v119 dst_sel:WORD_1 dst_unused:UNUSED_PAD src0_sel:DWORD src1_sel:DWORD
	v_or_b32_sdwa v10, v10, v117 dst_sel:WORD_1 dst_unused:UNUSED_PAD src0_sel:DWORD src1_sel:DWORD
	;; [unrolled: 1-line block ×4, first 2 shown]
	v_sub_nc_u32_e32 v99, v99, v71
	v_or3_b32 v11, v43, v41, v11
	v_or3_b32 v10, v112, v101, v10
	;; [unrolled: 1-line block ×4, first 2 shown]
	v_add_co_u32 v50, vcc_lo, v50, v71
	v_add_co_ci_u32_e64 v51, null, 0, v51, vcc_lo
	v_add_co_u32 v54, vcc_lo, v54, v71
	global_store_dwordx4 v[52:53], v[10:13], off glc slc
	v_add_co_ci_u32_e64 v55, null, 0, v55, vcc_lo
	v_cmp_gt_i32_e32 vcc_lo, 16, v99
	v_add_co_u32 v52, s14, v52, v71
	v_add_co_ci_u32_e64 v53, null, 0, v53, s14
	v_sub_nc_u32_e32 v100, v100, v68
	s_or_b32 s27, vcc_lo, s27
	s_andn2_b32 exec_lo, exec_lo, s27
	s_cbranch_execz .LBB2_776
.LBB2_130:                              ;   Parent Loop BB2_49 Depth=1
                                        ; =>  This Inner Loop Header: Depth=2
	s_cmpk_lt_i32 s28, 0x80
	s_cbranch_scc1 .LBB2_134
; %bb.131:                              ;   in Loop: Header=BB2_130 Depth=2
	s_cmpk_eq_i32 s40, 0x80
	s_mov_b32 s14, -1
	s_cbranch_scc0 .LBB2_133
; %bb.132:                              ;   in Loop: Header=BB2_130 Depth=2
	s_mov_b32 s14, 0
.LBB2_133:                              ;   in Loop: Header=BB2_130 Depth=2
	s_mov_b32 s41, 0x7f800001
	s_branch .LBB2_136
.LBB2_134:                              ;   in Loop: Header=BB2_130 Depth=2
	s_mov_b32 s14, 0
	s_mov_b32 s41, 0x7f800001
	s_cbranch_execz .LBB2_136
; %bb.135:                              ;   in Loop: Header=BB2_130 Depth=2
	s_cmp_lg_u32 s40, 0
	s_mov_b32 s41, 0
	s_cselect_b32 s14, -1, 0
.LBB2_136:                              ;   in Loop: Header=BB2_130 Depth=2
	s_andn2_b32 vcc_lo, exec_lo, s14
	s_cbranch_vccnz .LBB2_138
; %bb.137:                              ;   in Loop: Header=BB2_130 Depth=2
	s_mov_b32 s41, s29
.LBB2_138:                              ;   in Loop: Header=BB2_130 Depth=2
	global_load_dwordx4 v[10:13], v[50:51], off slc
	s_mov_b32 s14, 0
	s_waitcnt vmcnt(0)
	v_cmp_gt_i16_sdwa s42, v10, v84 src0_sel:BYTE_0 src1_sel:DWORD
	s_and_saveexec_b32 s43, s42
	s_xor_b32 s42, exec_lo, s43
	s_cbranch_execz .LBB2_680
; %bb.139:                              ;   in Loop: Header=BB2_130 Depth=2
	v_cmp_eq_u16_sdwa s44, v10, v85 src0_sel:BYTE_0 src1_sel:DWORD
	s_mov_b32 s14, -1
	s_and_saveexec_b32 s43, s44
; %bb.140:                              ;   in Loop: Header=BB2_130 Depth=2
	s_xor_b32 s14, exec_lo, -1
; %bb.141:                              ;   in Loop: Header=BB2_130 Depth=2
	s_or_b32 exec_lo, exec_lo, s43
	s_and_b32 s14, s14, exec_lo
	s_or_saveexec_b32 s42, s42
	v_mov_b32_e32 v101, 0x7f800001
	s_xor_b32 exec_lo, exec_lo, s42
	s_cbranch_execnz .LBB2_681
.LBB2_142:                              ;   in Loop: Header=BB2_130 Depth=2
	s_or_b32 exec_lo, exec_lo, s42
	s_and_saveexec_b32 s42, s14
	s_cbranch_execz .LBB2_144
.LBB2_143:                              ;   in Loop: Header=BB2_130 Depth=2
	v_and_b32_e32 v101, 7, v10
	v_bfe_u32 v112, v10, 3, 4
	v_lshlrev_b32_e32 v113, 24, v10
	v_ffbh_u32_e32 v102, v101
	v_cmp_eq_u32_e32 vcc_lo, 0, v112
	v_min_u32_e32 v102, 32, v102
	v_subrev_nc_u32_e32 v103, 28, v102
	v_sub_nc_u32_e32 v102, 29, v102
	v_lshlrev_b32_e32 v103, v103, v10
	v_cndmask_b32_e32 v102, v112, v102, vcc_lo
	v_and_b32_e32 v103, 7, v103
	v_lshl_add_u32 v102, v102, 23, 0x3b800000
	v_cndmask_b32_e32 v101, v101, v103, vcc_lo
	v_and_b32_e32 v103, 0x80000000, v113
	v_lshlrev_b32_e32 v101, 20, v101
	v_or3_b32 v101, v103, v102, v101
.LBB2_144:                              ;   in Loop: Header=BB2_130 Depth=2
	s_or_b32 exec_lo, exec_lo, s42
	v_mul_f32_e32 v102, s41, v101
	v_and_b32_e32 v101, 0x7f800000, v102
	v_cmp_ne_u32_e32 vcc_lo, 0x7f800000, v101
	v_mov_b32_e32 v101, 0x80
	s_and_saveexec_b32 s42, vcc_lo
	s_cbranch_execz .LBB2_152
; %bb.145:                              ;   in Loop: Header=BB2_130 Depth=2
	v_mov_b32_e32 v101, 0
	s_mov_b32 s43, exec_lo
	v_cmpx_ne_u32_e32 0, v102
	s_cbranch_execz .LBB2_151
; %bb.146:                              ;   in Loop: Header=BB2_130 Depth=2
	v_bfe_u32 v101, v102, 23, 8
	v_and_b32_e32 v103, 0x7fffff, v102
	v_sub_nc_u32_e32 v112, 0x78, v101
	v_cmp_gt_u32_e32 vcc_lo, 0x79, v101
	v_or_b32_e32 v113, 0x800000, v103
	v_cndmask_b32_e32 v112, 0, v112, vcc_lo
	v_cmp_eq_u32_e32 vcc_lo, 0, v101
	v_add_nc_u32_e32 v101, 0xffffff89, v101
	v_cndmask_b32_e64 v112, v112, 0x77, vcc_lo
	v_cndmask_b32_e32 v103, v113, v103, vcc_lo
	v_cndmask_b32_e64 v101, v101, 0xffffff8a, vcc_lo
	v_lshl_add_u32 v113, 0x100000, v112, -1
	v_lshrrev_b32_e32 v114, v112, v103
	v_lshlrev_b32_e64 v116, v112, 0x80000
	v_add_nc_u32_e32 v112, v112, v101
	v_and_b32_e32 v103, v113, v103
	v_bfe_u32 v115, v114, 20, 1
	v_cmp_eq_u32_e64 s14, v103, v116
	v_add_nc_u32_e32 v113, -1, v115
	v_cndmask_b32_e64 v103, 0, v113, s14
	v_lshrrev_b32_e32 v113, 23, v114
	s_mov_b32 s14, exec_lo
	v_add_nc_u32_e32 v103, v103, v114
	v_xor_b32_e32 v113, 1, v113
	v_and_b32_e32 v101, 0xfffff, v103
	v_add_nc_u32_e32 v103, v101, v114
                                        ; implicit-def: $vgpr101
	v_cmpx_ne_u32_e64 v112, v113
	s_xor_b32 s14, exec_lo, s14
; %bb.147:                              ;   in Loop: Header=BB2_130 Depth=2
	v_cmp_lt_u32_e32 vcc_lo, 0xffffff, v103
	v_sub_nc_u32_e32 v101, v112, v113
	v_cndmask_b32_e64 v112, 0, 1, vcc_lo
	v_add_co_ci_u32_e64 v101, null, 0, v101, vcc_lo
	v_lshrrev_b32_e32 v103, v112, v103
; %bb.148:                              ;   in Loop: Header=BB2_130 Depth=2
	s_andn2_saveexec_b32 s14, s14
; %bb.149:                              ;   in Loop: Header=BB2_130 Depth=2
	v_bfe_u32 v101, v103, 23, 1
; %bb.150:                              ;   in Loop: Header=BB2_130 Depth=2
	s_or_b32 exec_lo, exec_lo, s14
	v_lshrrev_b32_e32 v103, 20, v103
	v_min_i32_e32 v112, 15, v101
	v_cmp_gt_i32_e32 vcc_lo, 16, v101
	v_and_b32_sdwa v102, v102, v85 dst_sel:DWORD dst_unused:UNUSED_PAD src0_sel:BYTE_3 src1_sel:DWORD
	v_lshlrev_b32_e32 v112, 3, v112
	v_cndmask_b32_e32 v103, 7, v103, vcc_lo
	v_and_b32_e32 v112, 0xf8, v112
	v_and_b32_e32 v113, 7, v103
	v_or_b32_e32 v101, v101, v103
	v_or3_b32 v102, v112, v102, v113
	v_cmp_ne_u32_e32 vcc_lo, 0, v101
	v_cndmask_b32_e32 v101, 0, v102, vcc_lo
.LBB2_151:                              ;   in Loop: Header=BB2_130 Depth=2
	s_or_b32 exec_lo, exec_lo, s43
.LBB2_152:                              ;   in Loop: Header=BB2_130 Depth=2
	s_or_b32 exec_lo, exec_lo, s42
	v_cmp_gt_i16_sdwa s42, v10, v84 src0_sel:BYTE_1 src1_sel:DWORD
	s_mov_b32 s14, 0
	s_and_saveexec_b32 s43, s42
	s_xor_b32 s42, exec_lo, s43
	s_cbranch_execz .LBB2_682
; %bb.153:                              ;   in Loop: Header=BB2_130 Depth=2
	v_cmp_eq_u16_sdwa s44, v10, v85 src0_sel:BYTE_1 src1_sel:DWORD
	s_mov_b32 s14, -1
	s_and_saveexec_b32 s43, s44
; %bb.154:                              ;   in Loop: Header=BB2_130 Depth=2
	s_xor_b32 s14, exec_lo, -1
; %bb.155:                              ;   in Loop: Header=BB2_130 Depth=2
	s_or_b32 exec_lo, exec_lo, s43
	s_and_b32 s14, s14, exec_lo
	s_or_saveexec_b32 s42, s42
	v_mov_b32_e32 v102, 0x7f800001
	s_xor_b32 exec_lo, exec_lo, s42
	s_cbranch_execnz .LBB2_683
.LBB2_156:                              ;   in Loop: Header=BB2_130 Depth=2
	s_or_b32 exec_lo, exec_lo, s42
	s_and_saveexec_b32 s42, s14
	s_cbranch_execz .LBB2_158
.LBB2_157:                              ;   in Loop: Header=BB2_130 Depth=2
	v_and_b32_sdwa v102, v86, v10 dst_sel:DWORD dst_unused:UNUSED_PAD src0_sel:DWORD src1_sel:BYTE_1
	v_and_b32_e32 v103, 7, v102
	v_bfe_u32 v114, v102, 3, 4
	v_ffbh_u32_e32 v112, v103
	v_cmp_eq_u32_e32 vcc_lo, 0, v114
	v_min_u32_e32 v112, 32, v112
	v_subrev_nc_u32_e32 v113, 28, v112
	v_sub_nc_u32_e32 v112, 29, v112
	v_lshlrev_b32_e32 v102, v113, v102
	v_lshlrev_b32_sdwa v113, v87, v10 dst_sel:DWORD dst_unused:UNUSED_PAD src0_sel:DWORD src1_sel:BYTE_1
	v_cndmask_b32_e32 v112, v114, v112, vcc_lo
	v_and_b32_e32 v102, 7, v102
	v_lshl_add_u32 v112, v112, 23, 0x3b800000
	v_cndmask_b32_e32 v102, v103, v102, vcc_lo
	v_and_b32_e32 v103, 0x80000000, v113
	v_lshlrev_b32_e32 v102, 20, v102
	v_or3_b32 v102, v103, v112, v102
.LBB2_158:                              ;   in Loop: Header=BB2_130 Depth=2
	s_or_b32 exec_lo, exec_lo, s42
	v_mul_f32_e32 v102, s41, v102
	v_mov_b32_e32 v112, 0x8000
	s_mov_b32 s42, exec_lo
	v_and_b32_e32 v103, 0x7f800000, v102
	v_cmpx_ne_u32_e32 0x7f800000, v103
	s_cbranch_execz .LBB2_166
; %bb.159:                              ;   in Loop: Header=BB2_130 Depth=2
	v_mov_b32_e32 v112, 0
	s_mov_b32 s43, exec_lo
	v_cmpx_ne_u32_e32 0, v102
	s_cbranch_execz .LBB2_165
; %bb.160:                              ;   in Loop: Header=BB2_130 Depth=2
	v_bfe_u32 v103, v102, 23, 8
	v_and_b32_e32 v112, 0x7fffff, v102
	v_sub_nc_u32_e32 v113, 0x78, v103
	v_cmp_gt_u32_e32 vcc_lo, 0x79, v103
	v_or_b32_e32 v114, 0x800000, v112
	v_cndmask_b32_e32 v113, 0, v113, vcc_lo
	v_cmp_eq_u32_e32 vcc_lo, 0, v103
	v_add_nc_u32_e32 v103, 0xffffff89, v103
	v_cndmask_b32_e64 v113, v113, 0x77, vcc_lo
	v_cndmask_b32_e32 v112, v114, v112, vcc_lo
	v_cndmask_b32_e64 v103, v103, 0xffffff8a, vcc_lo
	v_lshl_add_u32 v114, 0x100000, v113, -1
	v_lshrrev_b32_e32 v115, v113, v112
	v_lshlrev_b32_e64 v117, v113, 0x80000
	v_add_nc_u32_e32 v113, v113, v103
	v_and_b32_e32 v112, v114, v112
	v_bfe_u32 v116, v115, 20, 1
	v_cmp_eq_u32_e64 s14, v112, v117
	v_add_nc_u32_e32 v114, -1, v116
	v_cndmask_b32_e64 v112, 0, v114, s14
	v_lshrrev_b32_e32 v114, 23, v115
	s_mov_b32 s14, exec_lo
	v_add_nc_u32_e32 v112, v112, v115
	v_xor_b32_e32 v114, 1, v114
	v_and_b32_e32 v103, 0xfffff, v112
	v_add_nc_u32_e32 v112, v103, v115
                                        ; implicit-def: $vgpr103
	v_cmpx_ne_u32_e64 v113, v114
	s_xor_b32 s14, exec_lo, s14
; %bb.161:                              ;   in Loop: Header=BB2_130 Depth=2
	v_cmp_lt_u32_e32 vcc_lo, 0xffffff, v112
	v_sub_nc_u32_e32 v103, v113, v114
	v_cndmask_b32_e64 v113, 0, 1, vcc_lo
	v_add_co_ci_u32_e64 v103, null, 0, v103, vcc_lo
	v_lshrrev_b32_e32 v112, v113, v112
; %bb.162:                              ;   in Loop: Header=BB2_130 Depth=2
	s_andn2_saveexec_b32 s14, s14
; %bb.163:                              ;   in Loop: Header=BB2_130 Depth=2
	v_bfe_u32 v103, v112, 23, 1
; %bb.164:                              ;   in Loop: Header=BB2_130 Depth=2
	s_or_b32 exec_lo, exec_lo, s14
	v_lshrrev_b32_e32 v112, 20, v112
	v_min_i32_e32 v113, 15, v103
	v_cmp_gt_i32_e32 vcc_lo, 16, v103
	v_and_b32_sdwa v102, v102, v85 dst_sel:DWORD dst_unused:UNUSED_PAD src0_sel:BYTE_3 src1_sel:DWORD
	v_lshlrev_b32_e32 v113, 3, v113
	v_cndmask_b32_e32 v112, 7, v112, vcc_lo
	v_and_b32_e32 v113, 0xf8, v113
	v_and_b32_e32 v114, 7, v112
	v_or_b32_e32 v103, v103, v112
	v_or3_b32 v102, v102, v113, v114
	v_cmp_ne_u32_e32 vcc_lo, 0, v103
	v_lshlrev_b32_e32 v102, 8, v102
	v_cndmask_b32_e32 v112, 0, v102, vcc_lo
.LBB2_165:                              ;   in Loop: Header=BB2_130 Depth=2
	s_or_b32 exec_lo, exec_lo, s43
.LBB2_166:                              ;   in Loop: Header=BB2_130 Depth=2
	s_or_b32 exec_lo, exec_lo, s42
	v_and_b32_sdwa v103, v10, v96 dst_sel:DWORD dst_unused:UNUSED_PAD src0_sel:WORD_1 src1_sel:DWORD
	s_mov_b32 s14, 0
	s_mov_b32 s42, exec_lo
	v_cmpx_lt_i16_e32 0x7f, v103
	s_xor_b32 s42, exec_lo, s42
	s_cbranch_execz .LBB2_684
; %bb.167:                              ;   in Loop: Header=BB2_130 Depth=2
	s_mov_b32 s14, -1
	s_mov_b32 s43, exec_lo
	v_cmpx_eq_u16_e32 0x80, v103
; %bb.168:                              ;   in Loop: Header=BB2_130 Depth=2
	s_xor_b32 s14, exec_lo, -1
; %bb.169:                              ;   in Loop: Header=BB2_130 Depth=2
	s_or_b32 exec_lo, exec_lo, s43
	s_and_b32 s14, s14, exec_lo
                                        ; implicit-def: $vgpr103
	s_or_saveexec_b32 s42, s42
	v_mov_b32_e32 v102, 0x7f800001
	s_xor_b32 exec_lo, exec_lo, s42
	s_cbranch_execnz .LBB2_685
.LBB2_170:                              ;   in Loop: Header=BB2_130 Depth=2
	s_or_b32 exec_lo, exec_lo, s42
	s_and_saveexec_b32 s42, s14
	s_cbranch_execz .LBB2_172
.LBB2_171:                              ;   in Loop: Header=BB2_130 Depth=2
	v_bfe_u32 v102, v10, 16, 3
	v_bfe_u32 v114, v10, 19, 4
	v_lshlrev_b32_e32 v115, 8, v10
	v_ffbh_u32_e32 v103, v102
	v_cmp_eq_u32_e32 vcc_lo, 0, v114
	v_min_u32_e32 v103, 32, v103
	v_subrev_nc_u32_e32 v113, 28, v103
	v_sub_nc_u32_e32 v103, 29, v103
	v_lshlrev_b32_sdwa v113, v113, v10 dst_sel:DWORD dst_unused:UNUSED_PAD src0_sel:DWORD src1_sel:WORD_1
	v_cndmask_b32_e32 v103, v114, v103, vcc_lo
	v_and_b32_e32 v113, 7, v113
	v_lshl_add_u32 v103, v103, 23, 0x3b800000
	v_cndmask_b32_e32 v102, v102, v113, vcc_lo
	v_and_b32_e32 v113, 0x80000000, v115
	v_lshlrev_b32_e32 v102, 20, v102
	v_or3_b32 v102, v113, v103, v102
.LBB2_172:                              ;   in Loop: Header=BB2_130 Depth=2
	s_or_b32 exec_lo, exec_lo, s42
	v_mul_f32_e32 v102, s41, v102
	v_mov_b32_e32 v117, 0x80
	s_mov_b32 s42, exec_lo
	v_and_b32_e32 v103, 0x7f800000, v102
	v_cmpx_ne_u32_e32 0x7f800000, v103
	s_cbranch_execz .LBB2_180
; %bb.173:                              ;   in Loop: Header=BB2_130 Depth=2
	v_mov_b32_e32 v117, 0
	s_mov_b32 s43, exec_lo
	v_cmpx_ne_u32_e32 0, v102
	s_cbranch_execz .LBB2_179
; %bb.174:                              ;   in Loop: Header=BB2_130 Depth=2
	v_bfe_u32 v103, v102, 23, 8
	v_and_b32_e32 v113, 0x7fffff, v102
	v_sub_nc_u32_e32 v114, 0x78, v103
	v_cmp_gt_u32_e32 vcc_lo, 0x79, v103
	v_or_b32_e32 v115, 0x800000, v113
	v_cndmask_b32_e32 v114, 0, v114, vcc_lo
	v_cmp_eq_u32_e32 vcc_lo, 0, v103
	v_add_nc_u32_e32 v103, 0xffffff89, v103
	v_cndmask_b32_e64 v114, v114, 0x77, vcc_lo
	v_cndmask_b32_e32 v113, v115, v113, vcc_lo
	v_cndmask_b32_e64 v103, v103, 0xffffff8a, vcc_lo
	v_lshl_add_u32 v115, 0x100000, v114, -1
	v_lshrrev_b32_e32 v116, v114, v113
	v_lshlrev_b32_e64 v118, v114, 0x80000
	v_add_nc_u32_e32 v114, v114, v103
	v_and_b32_e32 v113, v115, v113
	v_bfe_u32 v117, v116, 20, 1
	v_cmp_eq_u32_e64 s14, v113, v118
	v_add_nc_u32_e32 v115, -1, v117
	v_cndmask_b32_e64 v113, 0, v115, s14
	v_lshrrev_b32_e32 v115, 23, v116
	s_mov_b32 s14, exec_lo
	v_add_nc_u32_e32 v113, v113, v116
	v_xor_b32_e32 v115, 1, v115
	v_and_b32_e32 v103, 0xfffff, v113
	v_add_nc_u32_e32 v113, v103, v116
                                        ; implicit-def: $vgpr103
	v_cmpx_ne_u32_e64 v114, v115
	s_xor_b32 s14, exec_lo, s14
; %bb.175:                              ;   in Loop: Header=BB2_130 Depth=2
	v_cmp_lt_u32_e32 vcc_lo, 0xffffff, v113
	v_sub_nc_u32_e32 v103, v114, v115
	v_cndmask_b32_e64 v114, 0, 1, vcc_lo
	v_add_co_ci_u32_e64 v103, null, 0, v103, vcc_lo
	v_lshrrev_b32_e32 v113, v114, v113
; %bb.176:                              ;   in Loop: Header=BB2_130 Depth=2
	s_andn2_saveexec_b32 s14, s14
; %bb.177:                              ;   in Loop: Header=BB2_130 Depth=2
	v_bfe_u32 v103, v113, 23, 1
; %bb.178:                              ;   in Loop: Header=BB2_130 Depth=2
	s_or_b32 exec_lo, exec_lo, s14
	v_lshrrev_b32_e32 v113, 20, v113
	v_min_i32_e32 v114, 15, v103
	v_cmp_gt_i32_e32 vcc_lo, 16, v103
	v_and_b32_sdwa v102, v102, v85 dst_sel:DWORD dst_unused:UNUSED_PAD src0_sel:BYTE_3 src1_sel:DWORD
	v_lshlrev_b32_e32 v114, 3, v114
	v_cndmask_b32_e32 v113, 7, v113, vcc_lo
	v_and_b32_e32 v114, 0xf8, v114
	v_and_b32_e32 v115, 7, v113
	v_or_b32_e32 v103, v103, v113
	v_or3_b32 v102, v114, v102, v115
	v_cmp_ne_u32_e32 vcc_lo, 0, v103
	v_cndmask_b32_e32 v117, 0, v102, vcc_lo
.LBB2_179:                              ;   in Loop: Header=BB2_130 Depth=2
	s_or_b32 exec_lo, exec_lo, s43
.LBB2_180:                              ;   in Loop: Header=BB2_130 Depth=2
	s_or_b32 exec_lo, exec_lo, s42
	v_cmp_gt_i16_sdwa s42, v10, v84 src0_sel:BYTE_3 src1_sel:DWORD
	s_mov_b32 s14, 0
	s_and_saveexec_b32 s43, s42
	s_xor_b32 s42, exec_lo, s43
	s_cbranch_execz .LBB2_686
; %bb.181:                              ;   in Loop: Header=BB2_130 Depth=2
	v_cmp_eq_u16_sdwa s44, v10, v85 src0_sel:BYTE_3 src1_sel:DWORD
	s_mov_b32 s14, -1
	s_and_saveexec_b32 s43, s44
; %bb.182:                              ;   in Loop: Header=BB2_130 Depth=2
	s_xor_b32 s14, exec_lo, -1
; %bb.183:                              ;   in Loop: Header=BB2_130 Depth=2
	s_or_b32 exec_lo, exec_lo, s43
	s_and_b32 s14, s14, exec_lo
	s_or_saveexec_b32 s42, s42
	v_mov_b32_e32 v102, 0x7f800001
	s_xor_b32 exec_lo, exec_lo, s42
	s_cbranch_execnz .LBB2_687
.LBB2_184:                              ;   in Loop: Header=BB2_130 Depth=2
	s_or_b32 exec_lo, exec_lo, s42
	s_and_saveexec_b32 s42, s14
	s_cbranch_execz .LBB2_186
.LBB2_185:                              ;   in Loop: Header=BB2_130 Depth=2
	v_bfe_u32 v102, v10, 24, 3
	v_bfe_u32 v114, v10, 27, 4
	v_ffbh_u32_e32 v103, v102
	v_cmp_eq_u32_e32 vcc_lo, 0, v114
	v_min_u32_e32 v103, 32, v103
	v_subrev_nc_u32_e32 v113, 28, v103
	v_sub_nc_u32_e32 v103, 29, v103
	v_lshlrev_b32_sdwa v113, v113, v10 dst_sel:DWORD dst_unused:UNUSED_PAD src0_sel:DWORD src1_sel:BYTE_3
	v_cndmask_b32_e32 v103, v114, v103, vcc_lo
	v_and_b32_e32 v10, 0x80000000, v10
	v_and_b32_e32 v113, 7, v113
	v_lshl_add_u32 v103, v103, 23, 0x3b800000
	v_cndmask_b32_e32 v102, v102, v113, vcc_lo
	v_lshlrev_b32_e32 v102, 20, v102
	v_or3_b32 v102, v10, v103, v102
.LBB2_186:                              ;   in Loop: Header=BB2_130 Depth=2
	s_or_b32 exec_lo, exec_lo, s42
	v_mul_f32_e32 v10, s41, v102
	v_mov_b32_e32 v44, 0x8000
	s_mov_b32 s42, exec_lo
	v_and_b32_e32 v102, 0x7f800000, v10
	v_cmpx_ne_u32_e32 0x7f800000, v102
	s_cbranch_execz .LBB2_194
; %bb.187:                              ;   in Loop: Header=BB2_130 Depth=2
	v_mov_b32_e32 v44, 0
	s_mov_b32 s43, exec_lo
	v_cmpx_ne_u32_e32 0, v10
	s_cbranch_execz .LBB2_193
; %bb.188:                              ;   in Loop: Header=BB2_130 Depth=2
	v_bfe_u32 v102, v10, 23, 8
	v_and_b32_e32 v103, 0x7fffff, v10
	v_sub_nc_u32_e32 v113, 0x78, v102
	v_cmp_gt_u32_e32 vcc_lo, 0x79, v102
	v_or_b32_e32 v114, 0x800000, v103
	v_cndmask_b32_e32 v113, 0, v113, vcc_lo
	v_cmp_eq_u32_e32 vcc_lo, 0, v102
	v_add_nc_u32_e32 v102, 0xffffff89, v102
	v_cndmask_b32_e64 v113, v113, 0x77, vcc_lo
	v_cndmask_b32_e32 v103, v114, v103, vcc_lo
	v_cndmask_b32_e64 v102, v102, 0xffffff8a, vcc_lo
	v_lshl_add_u32 v114, 0x100000, v113, -1
	v_lshrrev_b32_e32 v115, v113, v103
	v_lshlrev_b32_e64 v118, v113, 0x80000
	v_add_nc_u32_e32 v113, v113, v102
	v_and_b32_e32 v103, v114, v103
	v_bfe_u32 v116, v115, 20, 1
	v_cmp_eq_u32_e64 s14, v103, v118
	v_add_nc_u32_e32 v114, -1, v116
	v_cndmask_b32_e64 v103, 0, v114, s14
	v_lshrrev_b32_e32 v114, 23, v115
	s_mov_b32 s14, exec_lo
	v_add_nc_u32_e32 v103, v103, v115
	v_xor_b32_e32 v114, 1, v114
	v_and_b32_e32 v102, 0xfffff, v103
	v_add_nc_u32_e32 v103, v102, v115
                                        ; implicit-def: $vgpr102
	v_cmpx_ne_u32_e64 v113, v114
	s_xor_b32 s14, exec_lo, s14
; %bb.189:                              ;   in Loop: Header=BB2_130 Depth=2
	v_cmp_lt_u32_e32 vcc_lo, 0xffffff, v103
	v_sub_nc_u32_e32 v102, v113, v114
	v_cndmask_b32_e64 v113, 0, 1, vcc_lo
	v_add_co_ci_u32_e64 v102, null, 0, v102, vcc_lo
	v_lshrrev_b32_e32 v103, v113, v103
; %bb.190:                              ;   in Loop: Header=BB2_130 Depth=2
	s_andn2_saveexec_b32 s14, s14
; %bb.191:                              ;   in Loop: Header=BB2_130 Depth=2
	v_bfe_u32 v102, v103, 23, 1
; %bb.192:                              ;   in Loop: Header=BB2_130 Depth=2
	s_or_b32 exec_lo, exec_lo, s14
	v_lshrrev_b32_e32 v103, 20, v103
	v_min_i32_e32 v113, 15, v102
	v_cmp_gt_i32_e32 vcc_lo, 16, v102
	v_and_b32_sdwa v10, v10, v85 dst_sel:DWORD dst_unused:UNUSED_PAD src0_sel:BYTE_3 src1_sel:DWORD
	v_lshlrev_b32_e32 v113, 3, v113
	v_cndmask_b32_e32 v103, 7, v103, vcc_lo
	v_and_b32_e32 v113, 0xf8, v113
	v_and_b32_e32 v114, 7, v103
	v_or_b32_e32 v102, v102, v103
	v_or3_b32 v10, v10, v113, v114
	v_cmp_ne_u32_e32 vcc_lo, 0, v102
	v_lshlrev_b32_e32 v10, 8, v10
	v_cndmask_b32_e32 v44, 0, v10, vcc_lo
.LBB2_193:                              ;   in Loop: Header=BB2_130 Depth=2
	s_or_b32 exec_lo, exec_lo, s43
.LBB2_194:                              ;   in Loop: Header=BB2_130 Depth=2
	s_or_b32 exec_lo, exec_lo, s42
	v_cmp_gt_i16_sdwa s42, v11, v84 src0_sel:BYTE_0 src1_sel:DWORD
	s_mov_b32 s14, 0
	s_and_saveexec_b32 s43, s42
	s_xor_b32 s42, exec_lo, s43
	s_cbranch_execz .LBB2_688
; %bb.195:                              ;   in Loop: Header=BB2_130 Depth=2
	v_cmp_eq_u16_sdwa s44, v11, v85 src0_sel:BYTE_0 src1_sel:DWORD
	s_mov_b32 s14, -1
	s_and_saveexec_b32 s43, s44
; %bb.196:                              ;   in Loop: Header=BB2_130 Depth=2
	s_xor_b32 s14, exec_lo, -1
; %bb.197:                              ;   in Loop: Header=BB2_130 Depth=2
	s_or_b32 exec_lo, exec_lo, s43
	s_and_b32 s14, s14, exec_lo
	s_or_saveexec_b32 s42, s42
	v_mov_b32_e32 v10, 0x7f800001
	s_xor_b32 exec_lo, exec_lo, s42
	s_cbranch_execnz .LBB2_689
.LBB2_198:                              ;   in Loop: Header=BB2_130 Depth=2
	s_or_b32 exec_lo, exec_lo, s42
	s_and_saveexec_b32 s42, s14
	s_cbranch_execz .LBB2_200
.LBB2_199:                              ;   in Loop: Header=BB2_130 Depth=2
	v_and_b32_e32 v10, 7, v11
	v_bfe_u32 v113, v11, 3, 4
	v_lshlrev_b32_e32 v114, 24, v11
	v_ffbh_u32_e32 v102, v10
	v_cmp_eq_u32_e32 vcc_lo, 0, v113
	v_min_u32_e32 v102, 32, v102
	v_subrev_nc_u32_e32 v103, 28, v102
	v_sub_nc_u32_e32 v102, 29, v102
	v_lshlrev_b32_e32 v103, v103, v11
	v_cndmask_b32_e32 v102, v113, v102, vcc_lo
	v_and_b32_e32 v103, 7, v103
	v_lshl_add_u32 v102, v102, 23, 0x3b800000
	v_cndmask_b32_e32 v10, v10, v103, vcc_lo
	v_and_b32_e32 v103, 0x80000000, v114
	v_lshlrev_b32_e32 v10, 20, v10
	v_or3_b32 v10, v103, v102, v10
.LBB2_200:                              ;   in Loop: Header=BB2_130 Depth=2
	s_or_b32 exec_lo, exec_lo, s42
	v_mul_f32_e32 v10, s41, v10
	v_mov_b32_e32 v41, 0x80
	s_mov_b32 s42, exec_lo
	v_and_b32_e32 v102, 0x7f800000, v10
	v_cmpx_ne_u32_e32 0x7f800000, v102
	s_cbranch_execz .LBB2_208
; %bb.201:                              ;   in Loop: Header=BB2_130 Depth=2
	v_mov_b32_e32 v41, 0
	s_mov_b32 s43, exec_lo
	v_cmpx_ne_u32_e32 0, v10
	s_cbranch_execz .LBB2_207
; %bb.202:                              ;   in Loop: Header=BB2_130 Depth=2
	v_bfe_u32 v102, v10, 23, 8
	v_and_b32_e32 v103, 0x7fffff, v10
	v_sub_nc_u32_e32 v113, 0x78, v102
	v_cmp_gt_u32_e32 vcc_lo, 0x79, v102
	v_or_b32_e32 v114, 0x800000, v103
	v_cndmask_b32_e32 v113, 0, v113, vcc_lo
	v_cmp_eq_u32_e32 vcc_lo, 0, v102
	v_add_nc_u32_e32 v102, 0xffffff89, v102
	v_cndmask_b32_e64 v113, v113, 0x77, vcc_lo
	v_cndmask_b32_e32 v103, v114, v103, vcc_lo
	v_cndmask_b32_e64 v102, v102, 0xffffff8a, vcc_lo
	v_lshl_add_u32 v114, 0x100000, v113, -1
	v_lshrrev_b32_e32 v115, v113, v103
	v_lshlrev_b32_e64 v118, v113, 0x80000
	v_add_nc_u32_e32 v113, v113, v102
	v_and_b32_e32 v103, v114, v103
	v_bfe_u32 v116, v115, 20, 1
	v_cmp_eq_u32_e64 s14, v103, v118
	v_add_nc_u32_e32 v114, -1, v116
	v_cndmask_b32_e64 v103, 0, v114, s14
	v_lshrrev_b32_e32 v114, 23, v115
	s_mov_b32 s14, exec_lo
	v_add_nc_u32_e32 v103, v103, v115
	v_xor_b32_e32 v114, 1, v114
	v_and_b32_e32 v102, 0xfffff, v103
	v_add_nc_u32_e32 v103, v102, v115
                                        ; implicit-def: $vgpr102
	v_cmpx_ne_u32_e64 v113, v114
	s_xor_b32 s14, exec_lo, s14
; %bb.203:                              ;   in Loop: Header=BB2_130 Depth=2
	v_cmp_lt_u32_e32 vcc_lo, 0xffffff, v103
	v_sub_nc_u32_e32 v102, v113, v114
	v_cndmask_b32_e64 v113, 0, 1, vcc_lo
	v_add_co_ci_u32_e64 v102, null, 0, v102, vcc_lo
	v_lshrrev_b32_e32 v103, v113, v103
; %bb.204:                              ;   in Loop: Header=BB2_130 Depth=2
	s_andn2_saveexec_b32 s14, s14
; %bb.205:                              ;   in Loop: Header=BB2_130 Depth=2
	v_bfe_u32 v102, v103, 23, 1
; %bb.206:                              ;   in Loop: Header=BB2_130 Depth=2
	s_or_b32 exec_lo, exec_lo, s14
	v_lshrrev_b32_e32 v103, 20, v103
	v_min_i32_e32 v113, 15, v102
	v_cmp_gt_i32_e32 vcc_lo, 16, v102
	v_and_b32_sdwa v10, v10, v85 dst_sel:DWORD dst_unused:UNUSED_PAD src0_sel:BYTE_3 src1_sel:DWORD
	v_lshlrev_b32_e32 v113, 3, v113
	v_cndmask_b32_e32 v103, 7, v103, vcc_lo
	v_and_b32_e32 v113, 0xf8, v113
	v_and_b32_e32 v114, 7, v103
	v_or_b32_e32 v102, v102, v103
	v_or3_b32 v10, v113, v10, v114
	v_cmp_ne_u32_e32 vcc_lo, 0, v102
	v_cndmask_b32_e32 v41, 0, v10, vcc_lo
.LBB2_207:                              ;   in Loop: Header=BB2_130 Depth=2
	s_or_b32 exec_lo, exec_lo, s43
.LBB2_208:                              ;   in Loop: Header=BB2_130 Depth=2
	s_or_b32 exec_lo, exec_lo, s42
	v_cmp_gt_i16_sdwa s42, v11, v84 src0_sel:BYTE_1 src1_sel:DWORD
	s_mov_b32 s14, 0
	s_and_saveexec_b32 s43, s42
	s_xor_b32 s42, exec_lo, s43
	s_cbranch_execz .LBB2_690
; %bb.209:                              ;   in Loop: Header=BB2_130 Depth=2
	v_cmp_eq_u16_sdwa s44, v11, v85 src0_sel:BYTE_1 src1_sel:DWORD
	s_mov_b32 s14, -1
	s_and_saveexec_b32 s43, s44
; %bb.210:                              ;   in Loop: Header=BB2_130 Depth=2
	s_xor_b32 s14, exec_lo, -1
; %bb.211:                              ;   in Loop: Header=BB2_130 Depth=2
	s_or_b32 exec_lo, exec_lo, s43
	s_and_b32 s14, s14, exec_lo
	s_or_saveexec_b32 s42, s42
	v_mov_b32_e32 v10, 0x7f800001
	s_xor_b32 exec_lo, exec_lo, s42
	s_cbranch_execnz .LBB2_691
.LBB2_212:                              ;   in Loop: Header=BB2_130 Depth=2
	s_or_b32 exec_lo, exec_lo, s42
	s_and_saveexec_b32 s42, s14
	s_cbranch_execz .LBB2_214
.LBB2_213:                              ;   in Loop: Header=BB2_130 Depth=2
	v_and_b32_sdwa v10, v86, v11 dst_sel:DWORD dst_unused:UNUSED_PAD src0_sel:DWORD src1_sel:BYTE_1
	v_and_b32_e32 v102, 7, v10
	v_bfe_u32 v114, v10, 3, 4
	v_ffbh_u32_e32 v103, v102
	v_cmp_eq_u32_e32 vcc_lo, 0, v114
	v_min_u32_e32 v103, 32, v103
	v_subrev_nc_u32_e32 v113, 28, v103
	v_sub_nc_u32_e32 v103, 29, v103
	v_lshlrev_b32_e32 v10, v113, v10
	v_lshlrev_b32_sdwa v113, v87, v11 dst_sel:DWORD dst_unused:UNUSED_PAD src0_sel:DWORD src1_sel:BYTE_1
	v_cndmask_b32_e32 v103, v114, v103, vcc_lo
	v_and_b32_e32 v10, 7, v10
	v_lshl_add_u32 v103, v103, 23, 0x3b800000
	v_cndmask_b32_e32 v10, v102, v10, vcc_lo
	v_and_b32_e32 v102, 0x80000000, v113
	v_lshlrev_b32_e32 v10, 20, v10
	v_or3_b32 v10, v102, v103, v10
.LBB2_214:                              ;   in Loop: Header=BB2_130 Depth=2
	s_or_b32 exec_lo, exec_lo, s42
	v_mul_f32_e32 v10, s41, v10
	v_mov_b32_e32 v43, 0x8000
	s_mov_b32 s42, exec_lo
	v_and_b32_e32 v102, 0x7f800000, v10
	v_cmpx_ne_u32_e32 0x7f800000, v102
	s_cbranch_execz .LBB2_222
; %bb.215:                              ;   in Loop: Header=BB2_130 Depth=2
	v_mov_b32_e32 v43, 0
	s_mov_b32 s43, exec_lo
	v_cmpx_ne_u32_e32 0, v10
	s_cbranch_execz .LBB2_221
; %bb.216:                              ;   in Loop: Header=BB2_130 Depth=2
	v_bfe_u32 v102, v10, 23, 8
	v_and_b32_e32 v103, 0x7fffff, v10
	v_sub_nc_u32_e32 v113, 0x78, v102
	v_cmp_gt_u32_e32 vcc_lo, 0x79, v102
	v_or_b32_e32 v114, 0x800000, v103
	v_cndmask_b32_e32 v113, 0, v113, vcc_lo
	v_cmp_eq_u32_e32 vcc_lo, 0, v102
	v_add_nc_u32_e32 v102, 0xffffff89, v102
	v_cndmask_b32_e64 v113, v113, 0x77, vcc_lo
	v_cndmask_b32_e32 v103, v114, v103, vcc_lo
	v_cndmask_b32_e64 v102, v102, 0xffffff8a, vcc_lo
	v_lshl_add_u32 v114, 0x100000, v113, -1
	v_lshrrev_b32_e32 v115, v113, v103
	v_lshlrev_b32_e64 v118, v113, 0x80000
	v_add_nc_u32_e32 v113, v113, v102
	v_and_b32_e32 v103, v114, v103
	v_bfe_u32 v116, v115, 20, 1
	v_cmp_eq_u32_e64 s14, v103, v118
	v_add_nc_u32_e32 v114, -1, v116
	v_cndmask_b32_e64 v103, 0, v114, s14
	v_lshrrev_b32_e32 v114, 23, v115
	s_mov_b32 s14, exec_lo
	v_add_nc_u32_e32 v103, v103, v115
	v_xor_b32_e32 v114, 1, v114
	v_and_b32_e32 v102, 0xfffff, v103
	v_add_nc_u32_e32 v103, v102, v115
                                        ; implicit-def: $vgpr102
	v_cmpx_ne_u32_e64 v113, v114
	s_xor_b32 s14, exec_lo, s14
; %bb.217:                              ;   in Loop: Header=BB2_130 Depth=2
	v_cmp_lt_u32_e32 vcc_lo, 0xffffff, v103
	v_sub_nc_u32_e32 v102, v113, v114
	v_cndmask_b32_e64 v113, 0, 1, vcc_lo
	v_add_co_ci_u32_e64 v102, null, 0, v102, vcc_lo
	v_lshrrev_b32_e32 v103, v113, v103
; %bb.218:                              ;   in Loop: Header=BB2_130 Depth=2
	s_andn2_saveexec_b32 s14, s14
; %bb.219:                              ;   in Loop: Header=BB2_130 Depth=2
	v_bfe_u32 v102, v103, 23, 1
; %bb.220:                              ;   in Loop: Header=BB2_130 Depth=2
	s_or_b32 exec_lo, exec_lo, s14
	v_lshrrev_b32_e32 v103, 20, v103
	v_min_i32_e32 v113, 15, v102
	v_cmp_gt_i32_e32 vcc_lo, 16, v102
	v_and_b32_sdwa v10, v10, v85 dst_sel:DWORD dst_unused:UNUSED_PAD src0_sel:BYTE_3 src1_sel:DWORD
	v_lshlrev_b32_e32 v113, 3, v113
	v_cndmask_b32_e32 v103, 7, v103, vcc_lo
	v_and_b32_e32 v113, 0xf8, v113
	v_and_b32_e32 v114, 7, v103
	v_or_b32_e32 v102, v102, v103
	v_or3_b32 v10, v10, v113, v114
	v_cmp_ne_u32_e32 vcc_lo, 0, v102
	v_lshlrev_b32_e32 v10, 8, v10
	v_cndmask_b32_e32 v43, 0, v10, vcc_lo
.LBB2_221:                              ;   in Loop: Header=BB2_130 Depth=2
	s_or_b32 exec_lo, exec_lo, s43
.LBB2_222:                              ;   in Loop: Header=BB2_130 Depth=2
	s_or_b32 exec_lo, exec_lo, s42
	v_and_b32_sdwa v102, v11, v96 dst_sel:DWORD dst_unused:UNUSED_PAD src0_sel:WORD_1 src1_sel:DWORD
	s_mov_b32 s14, 0
	s_mov_b32 s42, exec_lo
	v_cmpx_lt_i16_e32 0x7f, v102
	s_xor_b32 s42, exec_lo, s42
	s_cbranch_execz .LBB2_692
; %bb.223:                              ;   in Loop: Header=BB2_130 Depth=2
	s_mov_b32 s14, -1
	s_mov_b32 s43, exec_lo
	v_cmpx_eq_u16_e32 0x80, v102
; %bb.224:                              ;   in Loop: Header=BB2_130 Depth=2
	s_xor_b32 s14, exec_lo, -1
; %bb.225:                              ;   in Loop: Header=BB2_130 Depth=2
	s_or_b32 exec_lo, exec_lo, s43
	s_and_b32 s14, s14, exec_lo
                                        ; implicit-def: $vgpr102
	s_or_saveexec_b32 s42, s42
	v_mov_b32_e32 v10, 0x7f800001
	s_xor_b32 exec_lo, exec_lo, s42
	s_cbranch_execnz .LBB2_693
.LBB2_226:                              ;   in Loop: Header=BB2_130 Depth=2
	s_or_b32 exec_lo, exec_lo, s42
	s_and_saveexec_b32 s42, s14
	s_cbranch_execz .LBB2_228
.LBB2_227:                              ;   in Loop: Header=BB2_130 Depth=2
	v_bfe_u32 v10, v11, 16, 3
	v_bfe_u32 v113, v11, 19, 4
	v_lshlrev_b32_e32 v114, 8, v11
	v_ffbh_u32_e32 v102, v10
	v_cmp_eq_u32_e32 vcc_lo, 0, v113
	v_min_u32_e32 v102, 32, v102
	v_subrev_nc_u32_e32 v103, 28, v102
	v_sub_nc_u32_e32 v102, 29, v102
	v_lshlrev_b32_sdwa v103, v103, v11 dst_sel:DWORD dst_unused:UNUSED_PAD src0_sel:DWORD src1_sel:WORD_1
	v_cndmask_b32_e32 v102, v113, v102, vcc_lo
	v_and_b32_e32 v103, 7, v103
	v_lshl_add_u32 v102, v102, 23, 0x3b800000
	v_cndmask_b32_e32 v10, v10, v103, vcc_lo
	v_and_b32_e32 v103, 0x80000000, v114
	v_lshlrev_b32_e32 v10, 20, v10
	v_or3_b32 v10, v103, v102, v10
.LBB2_228:                              ;   in Loop: Header=BB2_130 Depth=2
	s_or_b32 exec_lo, exec_lo, s42
	v_mul_f32_e32 v10, s41, v10
	v_mov_b32_e32 v119, 0x80
	s_mov_b32 s42, exec_lo
	v_and_b32_e32 v102, 0x7f800000, v10
	v_cmpx_ne_u32_e32 0x7f800000, v102
	s_cbranch_execz .LBB2_236
; %bb.229:                              ;   in Loop: Header=BB2_130 Depth=2
	v_mov_b32_e32 v119, 0
	s_mov_b32 s43, exec_lo
	v_cmpx_ne_u32_e32 0, v10
	s_cbranch_execz .LBB2_235
; %bb.230:                              ;   in Loop: Header=BB2_130 Depth=2
	v_bfe_u32 v102, v10, 23, 8
	v_and_b32_e32 v103, 0x7fffff, v10
	v_sub_nc_u32_e32 v113, 0x78, v102
	v_cmp_gt_u32_e32 vcc_lo, 0x79, v102
	v_or_b32_e32 v114, 0x800000, v103
	v_cndmask_b32_e32 v113, 0, v113, vcc_lo
	v_cmp_eq_u32_e32 vcc_lo, 0, v102
	v_add_nc_u32_e32 v102, 0xffffff89, v102
	v_cndmask_b32_e64 v113, v113, 0x77, vcc_lo
	v_cndmask_b32_e32 v103, v114, v103, vcc_lo
	v_cndmask_b32_e64 v102, v102, 0xffffff8a, vcc_lo
	v_lshl_add_u32 v114, 0x100000, v113, -1
	v_lshrrev_b32_e32 v115, v113, v103
	v_lshlrev_b32_e64 v118, v113, 0x80000
	v_add_nc_u32_e32 v113, v113, v102
	v_and_b32_e32 v103, v114, v103
	v_bfe_u32 v116, v115, 20, 1
	v_cmp_eq_u32_e64 s14, v103, v118
	v_add_nc_u32_e32 v114, -1, v116
	v_cndmask_b32_e64 v103, 0, v114, s14
	v_lshrrev_b32_e32 v114, 23, v115
	s_mov_b32 s14, exec_lo
	v_add_nc_u32_e32 v103, v103, v115
	v_xor_b32_e32 v114, 1, v114
	v_and_b32_e32 v102, 0xfffff, v103
	v_add_nc_u32_e32 v103, v102, v115
                                        ; implicit-def: $vgpr102
	v_cmpx_ne_u32_e64 v113, v114
	s_xor_b32 s14, exec_lo, s14
; %bb.231:                              ;   in Loop: Header=BB2_130 Depth=2
	v_cmp_lt_u32_e32 vcc_lo, 0xffffff, v103
	v_sub_nc_u32_e32 v102, v113, v114
	v_cndmask_b32_e64 v113, 0, 1, vcc_lo
	v_add_co_ci_u32_e64 v102, null, 0, v102, vcc_lo
	v_lshrrev_b32_e32 v103, v113, v103
; %bb.232:                              ;   in Loop: Header=BB2_130 Depth=2
	s_andn2_saveexec_b32 s14, s14
; %bb.233:                              ;   in Loop: Header=BB2_130 Depth=2
	v_bfe_u32 v102, v103, 23, 1
; %bb.234:                              ;   in Loop: Header=BB2_130 Depth=2
	s_or_b32 exec_lo, exec_lo, s14
	v_lshrrev_b32_e32 v103, 20, v103
	v_min_i32_e32 v113, 15, v102
	v_cmp_gt_i32_e32 vcc_lo, 16, v102
	v_and_b32_sdwa v10, v10, v85 dst_sel:DWORD dst_unused:UNUSED_PAD src0_sel:BYTE_3 src1_sel:DWORD
	v_lshlrev_b32_e32 v113, 3, v113
	v_cndmask_b32_e32 v103, 7, v103, vcc_lo
	v_and_b32_e32 v113, 0xf8, v113
	v_and_b32_e32 v114, 7, v103
	v_or_b32_e32 v102, v102, v103
	v_or3_b32 v10, v113, v10, v114
	v_cmp_ne_u32_e32 vcc_lo, 0, v102
	v_cndmask_b32_e32 v119, 0, v10, vcc_lo
.LBB2_235:                              ;   in Loop: Header=BB2_130 Depth=2
	s_or_b32 exec_lo, exec_lo, s43
.LBB2_236:                              ;   in Loop: Header=BB2_130 Depth=2
	s_or_b32 exec_lo, exec_lo, s42
	v_cmp_gt_i16_sdwa s42, v11, v84 src0_sel:BYTE_3 src1_sel:DWORD
	s_mov_b32 s14, 0
	s_and_saveexec_b32 s43, s42
	s_xor_b32 s42, exec_lo, s43
	s_cbranch_execz .LBB2_694
; %bb.237:                              ;   in Loop: Header=BB2_130 Depth=2
	v_cmp_eq_u16_sdwa s44, v11, v85 src0_sel:BYTE_3 src1_sel:DWORD
	s_mov_b32 s14, -1
	s_and_saveexec_b32 s43, s44
; %bb.238:                              ;   in Loop: Header=BB2_130 Depth=2
	s_xor_b32 s14, exec_lo, -1
; %bb.239:                              ;   in Loop: Header=BB2_130 Depth=2
	s_or_b32 exec_lo, exec_lo, s43
	s_and_b32 s14, s14, exec_lo
	s_or_saveexec_b32 s42, s42
	v_mov_b32_e32 v10, 0x7f800001
	s_xor_b32 exec_lo, exec_lo, s42
	s_cbranch_execnz .LBB2_695
.LBB2_240:                              ;   in Loop: Header=BB2_130 Depth=2
	s_or_b32 exec_lo, exec_lo, s42
	s_and_saveexec_b32 s42, s14
	s_cbranch_execz .LBB2_242
.LBB2_241:                              ;   in Loop: Header=BB2_130 Depth=2
	v_bfe_u32 v10, v11, 24, 3
	v_bfe_u32 v113, v11, 27, 4
	v_ffbh_u32_e32 v102, v10
	v_cmp_eq_u32_e32 vcc_lo, 0, v113
	v_min_u32_e32 v102, 32, v102
	v_subrev_nc_u32_e32 v103, 28, v102
	v_sub_nc_u32_e32 v102, 29, v102
	v_lshlrev_b32_sdwa v103, v103, v11 dst_sel:DWORD dst_unused:UNUSED_PAD src0_sel:DWORD src1_sel:BYTE_3
	v_cndmask_b32_e32 v102, v113, v102, vcc_lo
	v_and_b32_e32 v11, 0x80000000, v11
	v_and_b32_e32 v103, 7, v103
	v_lshl_add_u32 v102, v102, 23, 0x3b800000
	v_cndmask_b32_e32 v10, v10, v103, vcc_lo
	v_lshlrev_b32_e32 v10, 20, v10
	v_or3_b32 v10, v11, v102, v10
.LBB2_242:                              ;   in Loop: Header=BB2_130 Depth=2
	s_or_b32 exec_lo, exec_lo, s42
	v_mul_f32_e32 v10, s41, v10
	v_mov_b32_e32 v42, 0x8000
	s_mov_b32 s42, exec_lo
	v_and_b32_e32 v11, 0x7f800000, v10
	v_cmpx_ne_u32_e32 0x7f800000, v11
	s_cbranch_execz .LBB2_250
; %bb.243:                              ;   in Loop: Header=BB2_130 Depth=2
	v_mov_b32_e32 v42, 0
	s_mov_b32 s43, exec_lo
	v_cmpx_ne_u32_e32 0, v10
	s_cbranch_execz .LBB2_249
; %bb.244:                              ;   in Loop: Header=BB2_130 Depth=2
	v_bfe_u32 v11, v10, 23, 8
	v_and_b32_e32 v102, 0x7fffff, v10
	v_sub_nc_u32_e32 v103, 0x78, v11
	v_cmp_gt_u32_e32 vcc_lo, 0x79, v11
	v_or_b32_e32 v113, 0x800000, v102
	v_cndmask_b32_e32 v103, 0, v103, vcc_lo
	v_cmp_eq_u32_e32 vcc_lo, 0, v11
	v_add_nc_u32_e32 v11, 0xffffff89, v11
	v_cndmask_b32_e64 v103, v103, 0x77, vcc_lo
	v_cndmask_b32_e32 v102, v113, v102, vcc_lo
	v_cndmask_b32_e64 v11, v11, 0xffffff8a, vcc_lo
	v_lshl_add_u32 v113, 0x100000, v103, -1
	v_lshrrev_b32_e32 v114, v103, v102
	v_lshlrev_b32_e64 v116, v103, 0x80000
	v_add_nc_u32_e32 v103, v103, v11
	v_and_b32_e32 v102, v113, v102
	v_bfe_u32 v115, v114, 20, 1
	v_cmp_eq_u32_e64 s14, v102, v116
	v_add_nc_u32_e32 v113, -1, v115
	v_cndmask_b32_e64 v102, 0, v113, s14
	v_lshrrev_b32_e32 v113, 23, v114
	s_mov_b32 s14, exec_lo
	v_add_nc_u32_e32 v102, v102, v114
	v_xor_b32_e32 v113, 1, v113
	v_and_b32_e32 v11, 0xfffff, v102
	v_add_nc_u32_e32 v102, v11, v114
                                        ; implicit-def: $vgpr11
	v_cmpx_ne_u32_e64 v103, v113
	s_xor_b32 s14, exec_lo, s14
; %bb.245:                              ;   in Loop: Header=BB2_130 Depth=2
	v_cmp_lt_u32_e32 vcc_lo, 0xffffff, v102
	v_sub_nc_u32_e32 v11, v103, v113
	v_cndmask_b32_e64 v103, 0, 1, vcc_lo
	v_add_co_ci_u32_e64 v11, null, 0, v11, vcc_lo
	v_lshrrev_b32_e32 v102, v103, v102
; %bb.246:                              ;   in Loop: Header=BB2_130 Depth=2
	s_andn2_saveexec_b32 s14, s14
; %bb.247:                              ;   in Loop: Header=BB2_130 Depth=2
	v_bfe_u32 v11, v102, 23, 1
; %bb.248:                              ;   in Loop: Header=BB2_130 Depth=2
	s_or_b32 exec_lo, exec_lo, s14
	v_lshrrev_b32_e32 v102, 20, v102
	v_min_i32_e32 v103, 15, v11
	v_cmp_gt_i32_e32 vcc_lo, 16, v11
	v_and_b32_sdwa v10, v10, v85 dst_sel:DWORD dst_unused:UNUSED_PAD src0_sel:BYTE_3 src1_sel:DWORD
	v_lshlrev_b32_e32 v103, 3, v103
	v_cndmask_b32_e32 v102, 7, v102, vcc_lo
	v_and_b32_e32 v103, 0xf8, v103
	v_and_b32_e32 v113, 7, v102
	v_or_b32_e32 v11, v11, v102
	v_or3_b32 v10, v10, v103, v113
	v_cmp_ne_u32_e32 vcc_lo, 0, v11
	v_lshlrev_b32_e32 v10, 8, v10
	v_cndmask_b32_e32 v42, 0, v10, vcc_lo
.LBB2_249:                              ;   in Loop: Header=BB2_130 Depth=2
	s_or_b32 exec_lo, exec_lo, s43
.LBB2_250:                              ;   in Loop: Header=BB2_130 Depth=2
	s_or_b32 exec_lo, exec_lo, s42
	v_cmp_gt_i16_sdwa s42, v12, v84 src0_sel:BYTE_0 src1_sel:DWORD
	s_mov_b32 s14, 0
	s_and_saveexec_b32 s43, s42
	s_xor_b32 s42, exec_lo, s43
	s_cbranch_execz .LBB2_696
; %bb.251:                              ;   in Loop: Header=BB2_130 Depth=2
	v_cmp_eq_u16_sdwa s44, v12, v85 src0_sel:BYTE_0 src1_sel:DWORD
	s_mov_b32 s14, -1
	s_and_saveexec_b32 s43, s44
; %bb.252:                              ;   in Loop: Header=BB2_130 Depth=2
	s_xor_b32 s14, exec_lo, -1
; %bb.253:                              ;   in Loop: Header=BB2_130 Depth=2
	s_or_b32 exec_lo, exec_lo, s43
	s_and_b32 s14, s14, exec_lo
	s_or_saveexec_b32 s42, s42
	v_mov_b32_e32 v10, 0x7f800001
	s_xor_b32 exec_lo, exec_lo, s42
	s_cbranch_execnz .LBB2_697
.LBB2_254:                              ;   in Loop: Header=BB2_130 Depth=2
	s_or_b32 exec_lo, exec_lo, s42
	s_and_saveexec_b32 s42, s14
	s_cbranch_execz .LBB2_256
.LBB2_255:                              ;   in Loop: Header=BB2_130 Depth=2
	v_and_b32_e32 v10, 7, v12
	v_bfe_u32 v103, v12, 3, 4
	v_lshlrev_b32_e32 v113, 24, v12
	v_ffbh_u32_e32 v11, v10
	v_cmp_eq_u32_e32 vcc_lo, 0, v103
	v_min_u32_e32 v11, 32, v11
	v_subrev_nc_u32_e32 v102, 28, v11
	v_sub_nc_u32_e32 v11, 29, v11
	v_lshlrev_b32_e32 v102, v102, v12
	v_cndmask_b32_e32 v11, v103, v11, vcc_lo
	v_and_b32_e32 v102, 7, v102
	v_lshl_add_u32 v11, v11, 23, 0x3b800000
	v_cndmask_b32_e32 v10, v10, v102, vcc_lo
	v_and_b32_e32 v102, 0x80000000, v113
	v_lshlrev_b32_e32 v10, 20, v10
	v_or3_b32 v10, v102, v11, v10
.LBB2_256:                              ;   in Loop: Header=BB2_130 Depth=2
	s_or_b32 exec_lo, exec_lo, s42
	v_mul_f32_e32 v10, s41, v10
	v_mov_b32_e32 v116, 0x80
	s_mov_b32 s42, exec_lo
	v_and_b32_e32 v11, 0x7f800000, v10
	v_cmpx_ne_u32_e32 0x7f800000, v11
	s_cbranch_execz .LBB2_264
; %bb.257:                              ;   in Loop: Header=BB2_130 Depth=2
	v_mov_b32_e32 v116, 0
	s_mov_b32 s43, exec_lo
	v_cmpx_ne_u32_e32 0, v10
	s_cbranch_execz .LBB2_263
; %bb.258:                              ;   in Loop: Header=BB2_130 Depth=2
	v_bfe_u32 v11, v10, 23, 8
	v_and_b32_e32 v102, 0x7fffff, v10
	v_sub_nc_u32_e32 v103, 0x78, v11
	v_cmp_gt_u32_e32 vcc_lo, 0x79, v11
	v_or_b32_e32 v113, 0x800000, v102
	v_cndmask_b32_e32 v103, 0, v103, vcc_lo
	v_cmp_eq_u32_e32 vcc_lo, 0, v11
	v_add_nc_u32_e32 v11, 0xffffff89, v11
	v_cndmask_b32_e64 v103, v103, 0x77, vcc_lo
	v_cndmask_b32_e32 v102, v113, v102, vcc_lo
	v_cndmask_b32_e64 v11, v11, 0xffffff8a, vcc_lo
	v_lshl_add_u32 v113, 0x100000, v103, -1
	v_lshrrev_b32_e32 v114, v103, v102
	v_lshlrev_b32_e64 v116, v103, 0x80000
	v_add_nc_u32_e32 v103, v103, v11
	v_and_b32_e32 v102, v113, v102
	v_bfe_u32 v115, v114, 20, 1
	v_cmp_eq_u32_e64 s14, v102, v116
	v_add_nc_u32_e32 v113, -1, v115
	v_cndmask_b32_e64 v102, 0, v113, s14
	v_lshrrev_b32_e32 v113, 23, v114
	s_mov_b32 s14, exec_lo
	v_add_nc_u32_e32 v102, v102, v114
	v_xor_b32_e32 v113, 1, v113
	v_and_b32_e32 v11, 0xfffff, v102
	v_add_nc_u32_e32 v102, v11, v114
                                        ; implicit-def: $vgpr11
	v_cmpx_ne_u32_e64 v103, v113
	s_xor_b32 s14, exec_lo, s14
; %bb.259:                              ;   in Loop: Header=BB2_130 Depth=2
	v_cmp_lt_u32_e32 vcc_lo, 0xffffff, v102
	v_sub_nc_u32_e32 v11, v103, v113
	v_cndmask_b32_e64 v103, 0, 1, vcc_lo
	v_add_co_ci_u32_e64 v11, null, 0, v11, vcc_lo
	v_lshrrev_b32_e32 v102, v103, v102
; %bb.260:                              ;   in Loop: Header=BB2_130 Depth=2
	s_andn2_saveexec_b32 s14, s14
; %bb.261:                              ;   in Loop: Header=BB2_130 Depth=2
	v_bfe_u32 v11, v102, 23, 1
; %bb.262:                              ;   in Loop: Header=BB2_130 Depth=2
	s_or_b32 exec_lo, exec_lo, s14
	v_lshrrev_b32_e32 v102, 20, v102
	v_min_i32_e32 v103, 15, v11
	v_cmp_gt_i32_e32 vcc_lo, 16, v11
	v_and_b32_sdwa v10, v10, v85 dst_sel:DWORD dst_unused:UNUSED_PAD src0_sel:BYTE_3 src1_sel:DWORD
	v_lshlrev_b32_e32 v103, 3, v103
	v_cndmask_b32_e32 v102, 7, v102, vcc_lo
	v_and_b32_e32 v103, 0xf8, v103
	v_and_b32_e32 v113, 7, v102
	v_or_b32_e32 v11, v11, v102
	v_or3_b32 v10, v103, v10, v113
	v_cmp_ne_u32_e32 vcc_lo, 0, v11
	v_cndmask_b32_e32 v116, 0, v10, vcc_lo
.LBB2_263:                              ;   in Loop: Header=BB2_130 Depth=2
	s_or_b32 exec_lo, exec_lo, s43
.LBB2_264:                              ;   in Loop: Header=BB2_130 Depth=2
	s_or_b32 exec_lo, exec_lo, s42
	v_cmp_gt_i16_sdwa s42, v12, v84 src0_sel:BYTE_1 src1_sel:DWORD
	s_mov_b32 s14, 0
	s_and_saveexec_b32 s43, s42
	s_xor_b32 s42, exec_lo, s43
	s_cbranch_execz .LBB2_698
; %bb.265:                              ;   in Loop: Header=BB2_130 Depth=2
	v_cmp_eq_u16_sdwa s44, v12, v85 src0_sel:BYTE_1 src1_sel:DWORD
	s_mov_b32 s14, -1
	s_and_saveexec_b32 s43, s44
; %bb.266:                              ;   in Loop: Header=BB2_130 Depth=2
	s_xor_b32 s14, exec_lo, -1
; %bb.267:                              ;   in Loop: Header=BB2_130 Depth=2
	s_or_b32 exec_lo, exec_lo, s43
	s_and_b32 s14, s14, exec_lo
	s_or_saveexec_b32 s42, s42
	v_mov_b32_e32 v10, 0x7f800001
	s_xor_b32 exec_lo, exec_lo, s42
	s_cbranch_execnz .LBB2_699
.LBB2_268:                              ;   in Loop: Header=BB2_130 Depth=2
	s_or_b32 exec_lo, exec_lo, s42
	s_and_saveexec_b32 s42, s14
	s_cbranch_execz .LBB2_270
.LBB2_269:                              ;   in Loop: Header=BB2_130 Depth=2
	v_and_b32_sdwa v10, v86, v12 dst_sel:DWORD dst_unused:UNUSED_PAD src0_sel:DWORD src1_sel:BYTE_1
	v_and_b32_e32 v11, 7, v10
	v_bfe_u32 v113, v10, 3, 4
	v_ffbh_u32_e32 v102, v11
	v_cmp_eq_u32_e32 vcc_lo, 0, v113
	v_min_u32_e32 v102, 32, v102
	v_subrev_nc_u32_e32 v103, 28, v102
	v_sub_nc_u32_e32 v102, 29, v102
	v_lshlrev_b32_e32 v10, v103, v10
	v_lshlrev_b32_sdwa v103, v87, v12 dst_sel:DWORD dst_unused:UNUSED_PAD src0_sel:DWORD src1_sel:BYTE_1
	v_cndmask_b32_e32 v102, v113, v102, vcc_lo
	v_and_b32_e32 v10, 7, v10
	v_lshl_add_u32 v102, v102, 23, 0x3b800000
	v_cndmask_b32_e32 v10, v11, v10, vcc_lo
	v_and_b32_e32 v11, 0x80000000, v103
	v_lshlrev_b32_e32 v10, 20, v10
	v_or3_b32 v10, v11, v102, v10
.LBB2_270:                              ;   in Loop: Header=BB2_130 Depth=2
	s_or_b32 exec_lo, exec_lo, s42
	v_mul_f32_e32 v10, s41, v10
	v_mov_b32_e32 v40, 0x8000
	s_mov_b32 s42, exec_lo
	v_and_b32_e32 v11, 0x7f800000, v10
	v_cmpx_ne_u32_e32 0x7f800000, v11
	s_cbranch_execz .LBB2_278
; %bb.271:                              ;   in Loop: Header=BB2_130 Depth=2
	v_mov_b32_e32 v40, 0
	s_mov_b32 s43, exec_lo
	v_cmpx_ne_u32_e32 0, v10
	s_cbranch_execz .LBB2_277
; %bb.272:                              ;   in Loop: Header=BB2_130 Depth=2
	v_bfe_u32 v11, v10, 23, 8
	v_and_b32_e32 v102, 0x7fffff, v10
	v_sub_nc_u32_e32 v103, 0x78, v11
	v_cmp_gt_u32_e32 vcc_lo, 0x79, v11
	v_or_b32_e32 v113, 0x800000, v102
	v_cndmask_b32_e32 v103, 0, v103, vcc_lo
	v_cmp_eq_u32_e32 vcc_lo, 0, v11
	v_add_nc_u32_e32 v11, 0xffffff89, v11
	v_cndmask_b32_e64 v103, v103, 0x77, vcc_lo
	v_cndmask_b32_e32 v102, v113, v102, vcc_lo
	v_cndmask_b32_e64 v11, v11, 0xffffff8a, vcc_lo
	v_lshl_add_u32 v113, 0x100000, v103, -1
	v_lshrrev_b32_e32 v114, v103, v102
	v_lshlrev_b32_e64 v118, v103, 0x80000
	v_add_nc_u32_e32 v103, v103, v11
	v_and_b32_e32 v102, v113, v102
	v_bfe_u32 v115, v114, 20, 1
	v_cmp_eq_u32_e64 s14, v102, v118
	v_add_nc_u32_e32 v113, -1, v115
	v_cndmask_b32_e64 v102, 0, v113, s14
	v_lshrrev_b32_e32 v113, 23, v114
	s_mov_b32 s14, exec_lo
	v_add_nc_u32_e32 v102, v102, v114
	v_xor_b32_e32 v113, 1, v113
	v_and_b32_e32 v11, 0xfffff, v102
	v_add_nc_u32_e32 v102, v11, v114
                                        ; implicit-def: $vgpr11
	v_cmpx_ne_u32_e64 v103, v113
	s_xor_b32 s14, exec_lo, s14
; %bb.273:                              ;   in Loop: Header=BB2_130 Depth=2
	v_cmp_lt_u32_e32 vcc_lo, 0xffffff, v102
	v_sub_nc_u32_e32 v11, v103, v113
	v_cndmask_b32_e64 v103, 0, 1, vcc_lo
	v_add_co_ci_u32_e64 v11, null, 0, v11, vcc_lo
	v_lshrrev_b32_e32 v102, v103, v102
; %bb.274:                              ;   in Loop: Header=BB2_130 Depth=2
	s_andn2_saveexec_b32 s14, s14
; %bb.275:                              ;   in Loop: Header=BB2_130 Depth=2
	v_bfe_u32 v11, v102, 23, 1
; %bb.276:                              ;   in Loop: Header=BB2_130 Depth=2
	s_or_b32 exec_lo, exec_lo, s14
	v_lshrrev_b32_e32 v102, 20, v102
	v_min_i32_e32 v103, 15, v11
	v_cmp_gt_i32_e32 vcc_lo, 16, v11
	v_and_b32_sdwa v10, v10, v85 dst_sel:DWORD dst_unused:UNUSED_PAD src0_sel:BYTE_3 src1_sel:DWORD
	v_lshlrev_b32_e32 v103, 3, v103
	v_cndmask_b32_e32 v102, 7, v102, vcc_lo
	v_and_b32_e32 v103, 0xf8, v103
	v_and_b32_e32 v113, 7, v102
	v_or_b32_e32 v11, v11, v102
	v_or3_b32 v10, v10, v103, v113
	v_cmp_ne_u32_e32 vcc_lo, 0, v11
	v_lshlrev_b32_e32 v10, 8, v10
	v_cndmask_b32_e32 v40, 0, v10, vcc_lo
.LBB2_277:                              ;   in Loop: Header=BB2_130 Depth=2
	s_or_b32 exec_lo, exec_lo, s43
.LBB2_278:                              ;   in Loop: Header=BB2_130 Depth=2
	s_or_b32 exec_lo, exec_lo, s42
	v_and_b32_sdwa v11, v12, v96 dst_sel:DWORD dst_unused:UNUSED_PAD src0_sel:WORD_1 src1_sel:DWORD
	s_mov_b32 s14, 0
	s_mov_b32 s42, exec_lo
	v_cmpx_lt_i16_e32 0x7f, v11
	s_xor_b32 s42, exec_lo, s42
	s_cbranch_execz .LBB2_700
; %bb.279:                              ;   in Loop: Header=BB2_130 Depth=2
	s_mov_b32 s14, -1
	s_mov_b32 s43, exec_lo
	v_cmpx_eq_u16_e32 0x80, v11
; %bb.280:                              ;   in Loop: Header=BB2_130 Depth=2
	s_xor_b32 s14, exec_lo, -1
; %bb.281:                              ;   in Loop: Header=BB2_130 Depth=2
	s_or_b32 exec_lo, exec_lo, s43
	s_and_b32 s14, s14, exec_lo
                                        ; implicit-def: $vgpr11
	s_or_saveexec_b32 s42, s42
	v_mov_b32_e32 v10, 0x7f800001
	s_xor_b32 exec_lo, exec_lo, s42
	s_cbranch_execnz .LBB2_701
.LBB2_282:                              ;   in Loop: Header=BB2_130 Depth=2
	s_or_b32 exec_lo, exec_lo, s42
	s_and_saveexec_b32 s42, s14
	s_cbranch_execz .LBB2_284
.LBB2_283:                              ;   in Loop: Header=BB2_130 Depth=2
	v_bfe_u32 v10, v12, 16, 3
	v_bfe_u32 v103, v12, 19, 4
	v_lshlrev_b32_e32 v113, 8, v12
	v_ffbh_u32_e32 v11, v10
	v_cmp_eq_u32_e32 vcc_lo, 0, v103
	v_min_u32_e32 v11, 32, v11
	v_subrev_nc_u32_e32 v102, 28, v11
	v_sub_nc_u32_e32 v11, 29, v11
	v_lshlrev_b32_sdwa v102, v102, v12 dst_sel:DWORD dst_unused:UNUSED_PAD src0_sel:DWORD src1_sel:WORD_1
	v_cndmask_b32_e32 v11, v103, v11, vcc_lo
	v_and_b32_e32 v102, 7, v102
	v_lshl_add_u32 v11, v11, 23, 0x3b800000
	v_cndmask_b32_e32 v10, v10, v102, vcc_lo
	v_and_b32_e32 v102, 0x80000000, v113
	v_lshlrev_b32_e32 v10, 20, v10
	v_or3_b32 v10, v102, v11, v10
.LBB2_284:                              ;   in Loop: Header=BB2_130 Depth=2
	s_or_b32 exec_lo, exec_lo, s42
	v_mul_f32_e32 v10, s41, v10
	v_mov_b32_e32 v114, 0x80
	s_mov_b32 s42, exec_lo
	v_and_b32_e32 v11, 0x7f800000, v10
	v_cmpx_ne_u32_e32 0x7f800000, v11
	s_cbranch_execz .LBB2_292
; %bb.285:                              ;   in Loop: Header=BB2_130 Depth=2
	v_mov_b32_e32 v114, 0
	s_mov_b32 s43, exec_lo
	v_cmpx_ne_u32_e32 0, v10
	s_cbranch_execz .LBB2_291
; %bb.286:                              ;   in Loop: Header=BB2_130 Depth=2
	v_bfe_u32 v11, v10, 23, 8
	v_and_b32_e32 v102, 0x7fffff, v10
	v_sub_nc_u32_e32 v103, 0x78, v11
	v_cmp_gt_u32_e32 vcc_lo, 0x79, v11
	v_or_b32_e32 v113, 0x800000, v102
	v_cndmask_b32_e32 v103, 0, v103, vcc_lo
	v_cmp_eq_u32_e32 vcc_lo, 0, v11
	v_add_nc_u32_e32 v11, 0xffffff89, v11
	v_cndmask_b32_e64 v103, v103, 0x77, vcc_lo
	v_cndmask_b32_e32 v102, v113, v102, vcc_lo
	v_cndmask_b32_e64 v11, v11, 0xffffff8a, vcc_lo
	v_lshl_add_u32 v113, 0x100000, v103, -1
	v_lshrrev_b32_e32 v114, v103, v102
	v_lshlrev_b32_e64 v118, v103, 0x80000
	v_add_nc_u32_e32 v103, v103, v11
	v_and_b32_e32 v102, v113, v102
	v_bfe_u32 v115, v114, 20, 1
	v_cmp_eq_u32_e64 s14, v102, v118
	v_add_nc_u32_e32 v113, -1, v115
	v_cndmask_b32_e64 v102, 0, v113, s14
	v_lshrrev_b32_e32 v113, 23, v114
	s_mov_b32 s14, exec_lo
	v_add_nc_u32_e32 v102, v102, v114
	v_xor_b32_e32 v113, 1, v113
	v_and_b32_e32 v11, 0xfffff, v102
	v_add_nc_u32_e32 v102, v11, v114
                                        ; implicit-def: $vgpr11
	v_cmpx_ne_u32_e64 v103, v113
	s_xor_b32 s14, exec_lo, s14
; %bb.287:                              ;   in Loop: Header=BB2_130 Depth=2
	v_cmp_lt_u32_e32 vcc_lo, 0xffffff, v102
	v_sub_nc_u32_e32 v11, v103, v113
	v_cndmask_b32_e64 v103, 0, 1, vcc_lo
	v_add_co_ci_u32_e64 v11, null, 0, v11, vcc_lo
	v_lshrrev_b32_e32 v102, v103, v102
; %bb.288:                              ;   in Loop: Header=BB2_130 Depth=2
	s_andn2_saveexec_b32 s14, s14
; %bb.289:                              ;   in Loop: Header=BB2_130 Depth=2
	v_bfe_u32 v11, v102, 23, 1
; %bb.290:                              ;   in Loop: Header=BB2_130 Depth=2
	s_or_b32 exec_lo, exec_lo, s14
	v_lshrrev_b32_e32 v102, 20, v102
	v_min_i32_e32 v103, 15, v11
	v_cmp_gt_i32_e32 vcc_lo, 16, v11
	v_and_b32_sdwa v10, v10, v85 dst_sel:DWORD dst_unused:UNUSED_PAD src0_sel:BYTE_3 src1_sel:DWORD
	v_lshlrev_b32_e32 v103, 3, v103
	v_cndmask_b32_e32 v102, 7, v102, vcc_lo
	v_and_b32_e32 v103, 0xf8, v103
	v_and_b32_e32 v113, 7, v102
	v_or_b32_e32 v11, v11, v102
	v_or3_b32 v10, v103, v10, v113
	v_cmp_ne_u32_e32 vcc_lo, 0, v11
	v_cndmask_b32_e32 v114, 0, v10, vcc_lo
.LBB2_291:                              ;   in Loop: Header=BB2_130 Depth=2
	s_or_b32 exec_lo, exec_lo, s43
.LBB2_292:                              ;   in Loop: Header=BB2_130 Depth=2
	s_or_b32 exec_lo, exec_lo, s42
	v_cmp_gt_i16_sdwa s42, v12, v84 src0_sel:BYTE_3 src1_sel:DWORD
	s_mov_b32 s14, 0
	s_and_saveexec_b32 s43, s42
	s_xor_b32 s42, exec_lo, s43
	s_cbranch_execz .LBB2_702
; %bb.293:                              ;   in Loop: Header=BB2_130 Depth=2
	v_cmp_eq_u16_sdwa s44, v12, v85 src0_sel:BYTE_3 src1_sel:DWORD
	s_mov_b32 s14, -1
	s_and_saveexec_b32 s43, s44
; %bb.294:                              ;   in Loop: Header=BB2_130 Depth=2
	s_xor_b32 s14, exec_lo, -1
; %bb.295:                              ;   in Loop: Header=BB2_130 Depth=2
	s_or_b32 exec_lo, exec_lo, s43
	s_and_b32 s14, s14, exec_lo
	s_or_saveexec_b32 s42, s42
	v_mov_b32_e32 v10, 0x7f800001
	s_xor_b32 exec_lo, exec_lo, s42
	s_cbranch_execnz .LBB2_703
.LBB2_296:                              ;   in Loop: Header=BB2_130 Depth=2
	s_or_b32 exec_lo, exec_lo, s42
	s_and_saveexec_b32 s42, s14
	s_cbranch_execz .LBB2_298
.LBB2_297:                              ;   in Loop: Header=BB2_130 Depth=2
	v_bfe_u32 v10, v12, 24, 3
	v_bfe_u32 v103, v12, 27, 4
	v_ffbh_u32_e32 v11, v10
	v_cmp_eq_u32_e32 vcc_lo, 0, v103
	v_min_u32_e32 v11, 32, v11
	v_subrev_nc_u32_e32 v102, 28, v11
	v_sub_nc_u32_e32 v11, 29, v11
	v_lshlrev_b32_sdwa v102, v102, v12 dst_sel:DWORD dst_unused:UNUSED_PAD src0_sel:DWORD src1_sel:BYTE_3
	v_cndmask_b32_e32 v11, v103, v11, vcc_lo
	v_and_b32_e32 v12, 0x80000000, v12
	v_and_b32_e32 v102, 7, v102
	v_lshl_add_u32 v11, v11, 23, 0x3b800000
	v_cndmask_b32_e32 v10, v10, v102, vcc_lo
	v_lshlrev_b32_e32 v10, 20, v10
	v_or3_b32 v10, v12, v11, v10
.LBB2_298:                              ;   in Loop: Header=BB2_130 Depth=2
	s_or_b32 exec_lo, exec_lo, s42
	v_mul_f32_e32 v10, s41, v10
	v_mov_b32_e32 v118, 0x8000
	s_mov_b32 s42, exec_lo
	v_and_b32_e32 v11, 0x7f800000, v10
	v_cmpx_ne_u32_e32 0x7f800000, v11
	s_cbranch_execz .LBB2_306
; %bb.299:                              ;   in Loop: Header=BB2_130 Depth=2
	v_mov_b32_e32 v118, 0
	s_mov_b32 s43, exec_lo
	v_cmpx_ne_u32_e32 0, v10
	s_cbranch_execz .LBB2_305
; %bb.300:                              ;   in Loop: Header=BB2_130 Depth=2
	v_bfe_u32 v11, v10, 23, 8
	v_and_b32_e32 v12, 0x7fffff, v10
	v_sub_nc_u32_e32 v102, 0x78, v11
	v_cmp_gt_u32_e32 vcc_lo, 0x79, v11
	v_or_b32_e32 v103, 0x800000, v12
	v_cndmask_b32_e32 v102, 0, v102, vcc_lo
	v_cmp_eq_u32_e32 vcc_lo, 0, v11
	v_add_nc_u32_e32 v11, 0xffffff89, v11
	v_cndmask_b32_e64 v102, v102, 0x77, vcc_lo
	v_cndmask_b32_e32 v12, v103, v12, vcc_lo
	v_cndmask_b32_e64 v11, v11, 0xffffff8a, vcc_lo
	v_lshl_add_u32 v103, 0x100000, v102, -1
	v_lshrrev_b32_e32 v113, v102, v12
	v_lshlrev_b32_e64 v118, v102, 0x80000
	v_add_nc_u32_e32 v102, v102, v11
	v_and_b32_e32 v12, v103, v12
	v_bfe_u32 v115, v113, 20, 1
	v_cmp_eq_u32_e64 s14, v12, v118
	v_add_nc_u32_e32 v103, -1, v115
	v_cndmask_b32_e64 v12, 0, v103, s14
	v_lshrrev_b32_e32 v103, 23, v113
	s_mov_b32 s14, exec_lo
	v_add_nc_u32_e32 v12, v12, v113
	v_xor_b32_e32 v103, 1, v103
	v_and_b32_e32 v11, 0xfffff, v12
	v_add_nc_u32_e32 v12, v11, v113
                                        ; implicit-def: $vgpr11
	v_cmpx_ne_u32_e64 v102, v103
	s_xor_b32 s14, exec_lo, s14
; %bb.301:                              ;   in Loop: Header=BB2_130 Depth=2
	v_cmp_lt_u32_e32 vcc_lo, 0xffffff, v12
	v_sub_nc_u32_e32 v11, v102, v103
	v_cndmask_b32_e64 v102, 0, 1, vcc_lo
	v_add_co_ci_u32_e64 v11, null, 0, v11, vcc_lo
	v_lshrrev_b32_e32 v12, v102, v12
; %bb.302:                              ;   in Loop: Header=BB2_130 Depth=2
	s_andn2_saveexec_b32 s14, s14
; %bb.303:                              ;   in Loop: Header=BB2_130 Depth=2
	v_bfe_u32 v11, v12, 23, 1
; %bb.304:                              ;   in Loop: Header=BB2_130 Depth=2
	s_or_b32 exec_lo, exec_lo, s14
	v_lshrrev_b32_e32 v12, 20, v12
	v_min_i32_e32 v102, 15, v11
	v_cmp_gt_i32_e32 vcc_lo, 16, v11
	v_and_b32_sdwa v10, v10, v85 dst_sel:DWORD dst_unused:UNUSED_PAD src0_sel:BYTE_3 src1_sel:DWORD
	v_lshlrev_b32_e32 v102, 3, v102
	v_cndmask_b32_e32 v12, 7, v12, vcc_lo
	v_and_b32_e32 v102, 0xf8, v102
	v_and_b32_e32 v103, 7, v12
	v_or_b32_e32 v11, v11, v12
	v_or3_b32 v10, v10, v102, v103
	v_cmp_ne_u32_e32 vcc_lo, 0, v11
	v_lshlrev_b32_e32 v10, 8, v10
	v_cndmask_b32_e32 v118, 0, v10, vcc_lo
.LBB2_305:                              ;   in Loop: Header=BB2_130 Depth=2
	s_or_b32 exec_lo, exec_lo, s43
.LBB2_306:                              ;   in Loop: Header=BB2_130 Depth=2
	s_or_b32 exec_lo, exec_lo, s42
	v_cmp_gt_i16_sdwa s42, v13, v84 src0_sel:BYTE_0 src1_sel:DWORD
	s_mov_b32 s14, 0
	s_and_saveexec_b32 s43, s42
	s_xor_b32 s42, exec_lo, s43
	s_cbranch_execz .LBB2_704
; %bb.307:                              ;   in Loop: Header=BB2_130 Depth=2
	v_cmp_eq_u16_sdwa s44, v13, v85 src0_sel:BYTE_0 src1_sel:DWORD
	s_mov_b32 s14, -1
	s_and_saveexec_b32 s43, s44
; %bb.308:                              ;   in Loop: Header=BB2_130 Depth=2
	s_xor_b32 s14, exec_lo, -1
; %bb.309:                              ;   in Loop: Header=BB2_130 Depth=2
	s_or_b32 exec_lo, exec_lo, s43
	s_and_b32 s14, s14, exec_lo
	s_or_saveexec_b32 s42, s42
	v_mov_b32_e32 v10, 0x7f800001
	s_xor_b32 exec_lo, exec_lo, s42
	s_cbranch_execnz .LBB2_705
.LBB2_310:                              ;   in Loop: Header=BB2_130 Depth=2
	s_or_b32 exec_lo, exec_lo, s42
	s_and_saveexec_b32 s42, s14
	s_cbranch_execz .LBB2_312
.LBB2_311:                              ;   in Loop: Header=BB2_130 Depth=2
	v_and_b32_e32 v10, 7, v13
	v_bfe_u32 v102, v13, 3, 4
	v_lshlrev_b32_e32 v103, 24, v13
	v_ffbh_u32_e32 v11, v10
	v_cmp_eq_u32_e32 vcc_lo, 0, v102
	v_min_u32_e32 v11, 32, v11
	v_subrev_nc_u32_e32 v12, 28, v11
	v_sub_nc_u32_e32 v11, 29, v11
	v_lshlrev_b32_e32 v12, v12, v13
	v_cndmask_b32_e32 v11, v102, v11, vcc_lo
	v_and_b32_e32 v12, 7, v12
	v_lshl_add_u32 v11, v11, 23, 0x3b800000
	v_cndmask_b32_e32 v10, v10, v12, vcc_lo
	v_and_b32_e32 v12, 0x80000000, v103
	v_lshlrev_b32_e32 v10, 20, v10
	v_or3_b32 v10, v12, v11, v10
.LBB2_312:                              ;   in Loop: Header=BB2_130 Depth=2
	s_or_b32 exec_lo, exec_lo, s42
	v_mul_f32_e32 v10, s41, v10
	v_mov_b32_e32 v103, 0x80
	s_mov_b32 s42, exec_lo
	v_and_b32_e32 v11, 0x7f800000, v10
	v_cmpx_ne_u32_e32 0x7f800000, v11
	s_cbranch_execz .LBB2_320
; %bb.313:                              ;   in Loop: Header=BB2_130 Depth=2
	v_mov_b32_e32 v103, 0
	s_mov_b32 s43, exec_lo
	v_cmpx_ne_u32_e32 0, v10
	s_cbranch_execz .LBB2_319
; %bb.314:                              ;   in Loop: Header=BB2_130 Depth=2
	v_bfe_u32 v11, v10, 23, 8
	v_and_b32_e32 v12, 0x7fffff, v10
	v_sub_nc_u32_e32 v102, 0x78, v11
	v_cmp_gt_u32_e32 vcc_lo, 0x79, v11
	v_or_b32_e32 v103, 0x800000, v12
	v_cndmask_b32_e32 v102, 0, v102, vcc_lo
	v_cmp_eq_u32_e32 vcc_lo, 0, v11
	v_add_nc_u32_e32 v11, 0xffffff89, v11
	v_cndmask_b32_e64 v102, v102, 0x77, vcc_lo
	v_cndmask_b32_e32 v12, v103, v12, vcc_lo
	v_cndmask_b32_e64 v11, v11, 0xffffff8a, vcc_lo
	v_lshl_add_u32 v103, 0x100000, v102, -1
	v_lshrrev_b32_e32 v113, v102, v12
	v_lshlrev_b32_e64 v45, v102, 0x80000
	v_add_nc_u32_e32 v102, v102, v11
	v_and_b32_e32 v12, v103, v12
	v_bfe_u32 v115, v113, 20, 1
	v_cmp_eq_u32_e64 s14, v12, v45
	v_add_nc_u32_e32 v103, -1, v115
	v_cndmask_b32_e64 v12, 0, v103, s14
	v_lshrrev_b32_e32 v103, 23, v113
	s_mov_b32 s14, exec_lo
	v_add_nc_u32_e32 v12, v12, v113
	v_xor_b32_e32 v103, 1, v103
	v_and_b32_e32 v11, 0xfffff, v12
	v_add_nc_u32_e32 v12, v11, v113
                                        ; implicit-def: $vgpr11
	v_cmpx_ne_u32_e64 v102, v103
	s_xor_b32 s14, exec_lo, s14
; %bb.315:                              ;   in Loop: Header=BB2_130 Depth=2
	v_cmp_lt_u32_e32 vcc_lo, 0xffffff, v12
	v_sub_nc_u32_e32 v11, v102, v103
	v_cndmask_b32_e64 v102, 0, 1, vcc_lo
	v_add_co_ci_u32_e64 v11, null, 0, v11, vcc_lo
	v_lshrrev_b32_e32 v12, v102, v12
; %bb.316:                              ;   in Loop: Header=BB2_130 Depth=2
	s_andn2_saveexec_b32 s14, s14
; %bb.317:                              ;   in Loop: Header=BB2_130 Depth=2
	v_bfe_u32 v11, v12, 23, 1
; %bb.318:                              ;   in Loop: Header=BB2_130 Depth=2
	s_or_b32 exec_lo, exec_lo, s14
	v_lshrrev_b32_e32 v12, 20, v12
	v_min_i32_e32 v102, 15, v11
	v_cmp_gt_i32_e32 vcc_lo, 16, v11
	v_and_b32_sdwa v10, v10, v85 dst_sel:DWORD dst_unused:UNUSED_PAD src0_sel:BYTE_3 src1_sel:DWORD
	v_lshlrev_b32_e32 v102, 3, v102
	v_cndmask_b32_e32 v12, 7, v12, vcc_lo
	v_and_b32_e32 v102, 0xf8, v102
	v_and_b32_e32 v103, 7, v12
	v_or_b32_e32 v11, v11, v12
	v_or3_b32 v10, v102, v10, v103
	v_cmp_ne_u32_e32 vcc_lo, 0, v11
	v_cndmask_b32_e32 v103, 0, v10, vcc_lo
.LBB2_319:                              ;   in Loop: Header=BB2_130 Depth=2
	s_or_b32 exec_lo, exec_lo, s43
.LBB2_320:                              ;   in Loop: Header=BB2_130 Depth=2
	s_or_b32 exec_lo, exec_lo, s42
	v_cmp_gt_i16_sdwa s42, v13, v84 src0_sel:BYTE_1 src1_sel:DWORD
	s_mov_b32 s14, 0
	s_and_saveexec_b32 s43, s42
	s_xor_b32 s42, exec_lo, s43
	s_cbranch_execz .LBB2_706
; %bb.321:                              ;   in Loop: Header=BB2_130 Depth=2
	v_cmp_eq_u16_sdwa s44, v13, v85 src0_sel:BYTE_1 src1_sel:DWORD
	s_mov_b32 s14, -1
	s_and_saveexec_b32 s43, s44
; %bb.322:                              ;   in Loop: Header=BB2_130 Depth=2
	s_xor_b32 s14, exec_lo, -1
; %bb.323:                              ;   in Loop: Header=BB2_130 Depth=2
	s_or_b32 exec_lo, exec_lo, s43
	s_and_b32 s14, s14, exec_lo
	s_or_saveexec_b32 s42, s42
	v_mov_b32_e32 v10, 0x7f800001
	s_xor_b32 exec_lo, exec_lo, s42
	s_cbranch_execnz .LBB2_707
.LBB2_324:                              ;   in Loop: Header=BB2_130 Depth=2
	s_or_b32 exec_lo, exec_lo, s42
	s_and_saveexec_b32 s42, s14
	s_cbranch_execz .LBB2_326
.LBB2_325:                              ;   in Loop: Header=BB2_130 Depth=2
	v_and_b32_sdwa v10, v86, v13 dst_sel:DWORD dst_unused:UNUSED_PAD src0_sel:DWORD src1_sel:BYTE_1
	v_and_b32_e32 v11, 7, v10
	v_bfe_u32 v113, v10, 3, 4
	v_ffbh_u32_e32 v12, v11
	v_cmp_eq_u32_e32 vcc_lo, 0, v113
	v_min_u32_e32 v12, 32, v12
	v_subrev_nc_u32_e32 v102, 28, v12
	v_sub_nc_u32_e32 v12, 29, v12
	v_lshlrev_b32_e32 v10, v102, v10
	v_lshlrev_b32_sdwa v102, v87, v13 dst_sel:DWORD dst_unused:UNUSED_PAD src0_sel:DWORD src1_sel:BYTE_1
	v_cndmask_b32_e32 v12, v113, v12, vcc_lo
	v_and_b32_e32 v10, 7, v10
	v_lshl_add_u32 v12, v12, 23, 0x3b800000
	v_cndmask_b32_e32 v10, v11, v10, vcc_lo
	v_and_b32_e32 v11, 0x80000000, v102
	v_lshlrev_b32_e32 v10, 20, v10
	v_or3_b32 v10, v11, v12, v10
.LBB2_326:                              ;   in Loop: Header=BB2_130 Depth=2
	s_or_b32 exec_lo, exec_lo, s42
	v_mul_f32_e32 v10, s41, v10
	v_mov_b32_e32 v115, 0x8000
	s_mov_b32 s42, exec_lo
	v_and_b32_e32 v11, 0x7f800000, v10
	v_cmpx_ne_u32_e32 0x7f800000, v11
	s_cbranch_execz .LBB2_334
; %bb.327:                              ;   in Loop: Header=BB2_130 Depth=2
	v_mov_b32_e32 v115, 0
	s_mov_b32 s43, exec_lo
	v_cmpx_ne_u32_e32 0, v10
	s_cbranch_execz .LBB2_333
; %bb.328:                              ;   in Loop: Header=BB2_130 Depth=2
	v_bfe_u32 v11, v10, 23, 8
	v_and_b32_e32 v12, 0x7fffff, v10
	v_sub_nc_u32_e32 v102, 0x78, v11
	v_cmp_gt_u32_e32 vcc_lo, 0x79, v11
	v_or_b32_e32 v113, 0x800000, v12
	v_cndmask_b32_e32 v102, 0, v102, vcc_lo
	v_cmp_eq_u32_e32 vcc_lo, 0, v11
	v_add_nc_u32_e32 v11, 0xffffff89, v11
	v_cndmask_b32_e64 v102, v102, 0x77, vcc_lo
	v_cndmask_b32_e32 v12, v113, v12, vcc_lo
	v_cndmask_b32_e64 v11, v11, 0xffffff8a, vcc_lo
	v_lshl_add_u32 v113, 0x100000, v102, -1
	v_lshrrev_b32_e32 v115, v102, v12
	v_lshlrev_b32_e64 v46, v102, 0x80000
	v_add_nc_u32_e32 v102, v102, v11
	v_and_b32_e32 v12, v113, v12
	v_bfe_u32 v45, v115, 20, 1
	v_cmp_eq_u32_e64 s14, v12, v46
	v_add_nc_u32_e32 v113, -1, v45
	v_cndmask_b32_e64 v12, 0, v113, s14
	v_lshrrev_b32_e32 v113, 23, v115
	s_mov_b32 s14, exec_lo
	v_add_nc_u32_e32 v12, v12, v115
	v_xor_b32_e32 v113, 1, v113
	v_and_b32_e32 v11, 0xfffff, v12
	v_add_nc_u32_e32 v12, v11, v115
                                        ; implicit-def: $vgpr11
	v_cmpx_ne_u32_e64 v102, v113
	s_xor_b32 s14, exec_lo, s14
; %bb.329:                              ;   in Loop: Header=BB2_130 Depth=2
	v_cmp_lt_u32_e32 vcc_lo, 0xffffff, v12
	v_sub_nc_u32_e32 v11, v102, v113
	v_cndmask_b32_e64 v102, 0, 1, vcc_lo
	v_add_co_ci_u32_e64 v11, null, 0, v11, vcc_lo
	v_lshrrev_b32_e32 v12, v102, v12
; %bb.330:                              ;   in Loop: Header=BB2_130 Depth=2
	s_andn2_saveexec_b32 s14, s14
; %bb.331:                              ;   in Loop: Header=BB2_130 Depth=2
	v_bfe_u32 v11, v12, 23, 1
; %bb.332:                              ;   in Loop: Header=BB2_130 Depth=2
	s_or_b32 exec_lo, exec_lo, s14
	v_lshrrev_b32_e32 v12, 20, v12
	v_min_i32_e32 v102, 15, v11
	v_cmp_gt_i32_e32 vcc_lo, 16, v11
	v_and_b32_sdwa v10, v10, v85 dst_sel:DWORD dst_unused:UNUSED_PAD src0_sel:BYTE_3 src1_sel:DWORD
	v_lshlrev_b32_e32 v102, 3, v102
	v_cndmask_b32_e32 v12, 7, v12, vcc_lo
	v_and_b32_e32 v102, 0xf8, v102
	v_and_b32_e32 v113, 7, v12
	v_or_b32_e32 v11, v11, v12
	v_or3_b32 v10, v10, v102, v113
	v_cmp_ne_u32_e32 vcc_lo, 0, v11
	v_lshlrev_b32_e32 v10, 8, v10
	v_cndmask_b32_e32 v115, 0, v10, vcc_lo
.LBB2_333:                              ;   in Loop: Header=BB2_130 Depth=2
	s_or_b32 exec_lo, exec_lo, s43
.LBB2_334:                              ;   in Loop: Header=BB2_130 Depth=2
	s_or_b32 exec_lo, exec_lo, s42
	v_and_b32_sdwa v11, v13, v96 dst_sel:DWORD dst_unused:UNUSED_PAD src0_sel:WORD_1 src1_sel:DWORD
	s_mov_b32 s14, 0
	s_mov_b32 s42, exec_lo
	v_cmpx_lt_i16_e32 0x7f, v11
	s_xor_b32 s42, exec_lo, s42
	s_cbranch_execz .LBB2_708
; %bb.335:                              ;   in Loop: Header=BB2_130 Depth=2
	s_mov_b32 s14, -1
	s_mov_b32 s43, exec_lo
	v_cmpx_eq_u16_e32 0x80, v11
; %bb.336:                              ;   in Loop: Header=BB2_130 Depth=2
	s_xor_b32 s14, exec_lo, -1
; %bb.337:                              ;   in Loop: Header=BB2_130 Depth=2
	s_or_b32 exec_lo, exec_lo, s43
	s_and_b32 s14, s14, exec_lo
                                        ; implicit-def: $vgpr11
	s_or_saveexec_b32 s42, s42
	v_mov_b32_e32 v10, 0x7f800001
	s_xor_b32 exec_lo, exec_lo, s42
	s_cbranch_execnz .LBB2_709
.LBB2_338:                              ;   in Loop: Header=BB2_130 Depth=2
	s_or_b32 exec_lo, exec_lo, s42
	s_and_saveexec_b32 s42, s14
	s_cbranch_execz .LBB2_340
.LBB2_339:                              ;   in Loop: Header=BB2_130 Depth=2
	v_bfe_u32 v10, v13, 16, 3
	v_bfe_u32 v102, v13, 19, 4
	v_lshlrev_b32_e32 v113, 8, v13
	v_ffbh_u32_e32 v11, v10
	v_cmp_eq_u32_e32 vcc_lo, 0, v102
	v_min_u32_e32 v11, 32, v11
	v_subrev_nc_u32_e32 v12, 28, v11
	v_sub_nc_u32_e32 v11, 29, v11
	v_lshlrev_b32_sdwa v12, v12, v13 dst_sel:DWORD dst_unused:UNUSED_PAD src0_sel:DWORD src1_sel:WORD_1
	v_cndmask_b32_e32 v11, v102, v11, vcc_lo
	v_and_b32_e32 v12, 7, v12
	v_lshl_add_u32 v11, v11, 23, 0x3b800000
	v_cndmask_b32_e32 v10, v10, v12, vcc_lo
	v_and_b32_e32 v12, 0x80000000, v113
	v_lshlrev_b32_e32 v10, 20, v10
	v_or3_b32 v10, v12, v11, v10
.LBB2_340:                              ;   in Loop: Header=BB2_130 Depth=2
	s_or_b32 exec_lo, exec_lo, s42
	v_mul_f32_e32 v10, s41, v10
	v_mov_b32_e32 v102, 0x80
	s_mov_b32 s42, exec_lo
	v_and_b32_e32 v11, 0x7f800000, v10
	v_cmpx_ne_u32_e32 0x7f800000, v11
	s_cbranch_execz .LBB2_348
; %bb.341:                              ;   in Loop: Header=BB2_130 Depth=2
	v_mov_b32_e32 v102, 0
	s_mov_b32 s43, exec_lo
	v_cmpx_ne_u32_e32 0, v10
	s_cbranch_execz .LBB2_347
; %bb.342:                              ;   in Loop: Header=BB2_130 Depth=2
	v_bfe_u32 v11, v10, 23, 8
	v_and_b32_e32 v12, 0x7fffff, v10
	v_sub_nc_u32_e32 v102, 0x78, v11
	v_cmp_gt_u32_e32 vcc_lo, 0x79, v11
	v_or_b32_e32 v113, 0x800000, v12
	v_cndmask_b32_e32 v102, 0, v102, vcc_lo
	v_cmp_eq_u32_e32 vcc_lo, 0, v11
	v_add_nc_u32_e32 v11, 0xffffff89, v11
	v_cndmask_b32_e64 v102, v102, 0x77, vcc_lo
	v_cndmask_b32_e32 v12, v113, v12, vcc_lo
	v_cndmask_b32_e64 v11, v11, 0xffffff8a, vcc_lo
	v_lshl_add_u32 v113, 0x100000, v102, -1
	v_lshrrev_b32_e32 v45, v102, v12
	v_lshlrev_b32_e64 v47, v102, 0x80000
	v_add_nc_u32_e32 v102, v102, v11
	v_and_b32_e32 v12, v113, v12
	v_bfe_u32 v46, v45, 20, 1
	v_cmp_eq_u32_e64 s14, v12, v47
	v_add_nc_u32_e32 v113, -1, v46
	v_cndmask_b32_e64 v12, 0, v113, s14
	v_lshrrev_b32_e32 v113, 23, v45
	s_mov_b32 s14, exec_lo
	v_add_nc_u32_e32 v12, v12, v45
	v_xor_b32_e32 v113, 1, v113
	v_and_b32_e32 v11, 0xfffff, v12
	v_add_nc_u32_e32 v12, v11, v45
                                        ; implicit-def: $vgpr11
	v_cmpx_ne_u32_e64 v102, v113
	s_xor_b32 s14, exec_lo, s14
; %bb.343:                              ;   in Loop: Header=BB2_130 Depth=2
	v_cmp_lt_u32_e32 vcc_lo, 0xffffff, v12
	v_sub_nc_u32_e32 v11, v102, v113
	v_cndmask_b32_e64 v102, 0, 1, vcc_lo
	v_add_co_ci_u32_e64 v11, null, 0, v11, vcc_lo
	v_lshrrev_b32_e32 v12, v102, v12
; %bb.344:                              ;   in Loop: Header=BB2_130 Depth=2
	s_andn2_saveexec_b32 s14, s14
; %bb.345:                              ;   in Loop: Header=BB2_130 Depth=2
	v_bfe_u32 v11, v12, 23, 1
; %bb.346:                              ;   in Loop: Header=BB2_130 Depth=2
	s_or_b32 exec_lo, exec_lo, s14
	v_lshrrev_b32_e32 v12, 20, v12
	v_min_i32_e32 v102, 15, v11
	v_cmp_gt_i32_e32 vcc_lo, 16, v11
	v_and_b32_sdwa v10, v10, v85 dst_sel:DWORD dst_unused:UNUSED_PAD src0_sel:BYTE_3 src1_sel:DWORD
	v_lshlrev_b32_e32 v102, 3, v102
	v_cndmask_b32_e32 v12, 7, v12, vcc_lo
	v_and_b32_e32 v102, 0xf8, v102
	v_and_b32_e32 v113, 7, v12
	v_or_b32_e32 v11, v11, v12
	v_or3_b32 v10, v102, v10, v113
	v_cmp_ne_u32_e32 vcc_lo, 0, v11
	v_cndmask_b32_e32 v102, 0, v10, vcc_lo
.LBB2_347:                              ;   in Loop: Header=BB2_130 Depth=2
	s_or_b32 exec_lo, exec_lo, s43
.LBB2_348:                              ;   in Loop: Header=BB2_130 Depth=2
	s_or_b32 exec_lo, exec_lo, s42
	v_cmp_gt_i16_sdwa s42, v13, v84 src0_sel:BYTE_3 src1_sel:DWORD
	s_mov_b32 s14, 0
	s_and_saveexec_b32 s43, s42
	s_xor_b32 s42, exec_lo, s43
	s_cbranch_execz .LBB2_710
; %bb.349:                              ;   in Loop: Header=BB2_130 Depth=2
	v_cmp_eq_u16_sdwa s44, v13, v85 src0_sel:BYTE_3 src1_sel:DWORD
	s_mov_b32 s14, -1
	s_and_saveexec_b32 s43, s44
; %bb.350:                              ;   in Loop: Header=BB2_130 Depth=2
	s_xor_b32 s14, exec_lo, -1
; %bb.351:                              ;   in Loop: Header=BB2_130 Depth=2
	s_or_b32 exec_lo, exec_lo, s43
	s_and_b32 s14, s14, exec_lo
	s_or_saveexec_b32 s42, s42
	v_mov_b32_e32 v10, 0x7f800001
	s_xor_b32 exec_lo, exec_lo, s42
	s_cbranch_execnz .LBB2_711
.LBB2_352:                              ;   in Loop: Header=BB2_130 Depth=2
	s_or_b32 exec_lo, exec_lo, s42
	s_and_saveexec_b32 s42, s14
	s_cbranch_execz .LBB2_354
.LBB2_353:                              ;   in Loop: Header=BB2_130 Depth=2
	v_bfe_u32 v10, v13, 24, 3
	v_bfe_u32 v113, v13, 27, 4
	v_ffbh_u32_e32 v11, v10
	v_cmp_eq_u32_e32 vcc_lo, 0, v113
	v_min_u32_e32 v11, 32, v11
	v_subrev_nc_u32_e32 v12, 28, v11
	v_sub_nc_u32_e32 v11, 29, v11
	v_lshlrev_b32_sdwa v12, v12, v13 dst_sel:DWORD dst_unused:UNUSED_PAD src0_sel:DWORD src1_sel:BYTE_3
	v_cndmask_b32_e32 v11, v113, v11, vcc_lo
	v_and_b32_e32 v12, 7, v12
	v_lshl_add_u32 v11, v11, 23, 0x3b800000
	v_cndmask_b32_e32 v10, v10, v12, vcc_lo
	v_and_b32_e32 v12, 0x80000000, v13
	v_lshlrev_b32_e32 v10, 20, v10
	v_or3_b32 v10, v12, v11, v10
.LBB2_354:                              ;   in Loop: Header=BB2_130 Depth=2
	s_or_b32 exec_lo, exec_lo, s42
	v_mul_f32_e32 v10, s41, v10
	v_mov_b32_e32 v113, 0x8000
	s_mov_b32 s41, exec_lo
	v_and_b32_e32 v11, 0x7f800000, v10
	v_cmpx_ne_u32_e32 0x7f800000, v11
	s_cbranch_execz .LBB2_362
; %bb.355:                              ;   in Loop: Header=BB2_130 Depth=2
	v_mov_b32_e32 v113, 0
	s_mov_b32 s42, exec_lo
	v_cmpx_ne_u32_e32 0, v10
	s_cbranch_execz .LBB2_361
; %bb.356:                              ;   in Loop: Header=BB2_130 Depth=2
	v_bfe_u32 v11, v10, 23, 8
	v_and_b32_e32 v12, 0x7fffff, v10
	v_sub_nc_u32_e32 v13, 0x78, v11
	v_cmp_gt_u32_e32 vcc_lo, 0x79, v11
	v_or_b32_e32 v113, 0x800000, v12
	v_cndmask_b32_e32 v13, 0, v13, vcc_lo
	v_cmp_eq_u32_e32 vcc_lo, 0, v11
	v_add_nc_u32_e32 v11, 0xffffff89, v11
	v_cndmask_b32_e64 v13, v13, 0x77, vcc_lo
	v_cndmask_b32_e32 v12, v113, v12, vcc_lo
	v_cndmask_b32_e64 v11, v11, 0xffffff8a, vcc_lo
	v_lshl_add_u32 v113, 0x100000, v13, -1
	v_lshrrev_b32_e32 v45, v13, v12
	v_lshlrev_b32_e64 v47, v13, 0x80000
	v_add_nc_u32_e32 v13, v13, v11
	v_and_b32_e32 v12, v113, v12
	v_bfe_u32 v46, v45, 20, 1
	v_cmp_eq_u32_e64 s14, v12, v47
	v_add_nc_u32_e32 v113, -1, v46
	v_cndmask_b32_e64 v12, 0, v113, s14
	v_lshrrev_b32_e32 v113, 23, v45
	s_mov_b32 s14, exec_lo
	v_add_nc_u32_e32 v12, v12, v45
	v_xor_b32_e32 v113, 1, v113
	v_and_b32_e32 v11, 0xfffff, v12
	v_add_nc_u32_e32 v12, v11, v45
                                        ; implicit-def: $vgpr11
	v_cmpx_ne_u32_e64 v13, v113
	s_xor_b32 s14, exec_lo, s14
; %bb.357:                              ;   in Loop: Header=BB2_130 Depth=2
	v_cmp_lt_u32_e32 vcc_lo, 0xffffff, v12
	v_sub_nc_u32_e32 v11, v13, v113
	v_cndmask_b32_e64 v13, 0, 1, vcc_lo
	v_add_co_ci_u32_e64 v11, null, 0, v11, vcc_lo
	v_lshrrev_b32_e32 v12, v13, v12
; %bb.358:                              ;   in Loop: Header=BB2_130 Depth=2
	s_andn2_saveexec_b32 s14, s14
; %bb.359:                              ;   in Loop: Header=BB2_130 Depth=2
	v_bfe_u32 v11, v12, 23, 1
; %bb.360:                              ;   in Loop: Header=BB2_130 Depth=2
	s_or_b32 exec_lo, exec_lo, s14
	v_lshrrev_b32_e32 v12, 20, v12
	v_min_i32_e32 v13, 15, v11
	v_cmp_gt_i32_e32 vcc_lo, 16, v11
	v_and_b32_sdwa v10, v10, v85 dst_sel:DWORD dst_unused:UNUSED_PAD src0_sel:BYTE_3 src1_sel:DWORD
	v_lshlrev_b32_e32 v13, 3, v13
	v_cndmask_b32_e32 v12, 7, v12, vcc_lo
	v_and_b32_e32 v13, 0xf8, v13
	v_and_b32_e32 v113, 7, v12
	v_or_b32_e32 v11, v11, v12
	v_or3_b32 v10, v10, v13, v113
	v_cmp_ne_u32_e32 vcc_lo, 0, v11
	v_lshlrev_b32_e32 v10, 8, v10
	v_cndmask_b32_e32 v113, 0, v10, vcc_lo
.LBB2_361:                              ;   in Loop: Header=BB2_130 Depth=2
	s_or_b32 exec_lo, exec_lo, s42
.LBB2_362:                              ;   in Loop: Header=BB2_130 Depth=2
	s_or_b32 exec_lo, exec_lo, s41
	global_load_dwordx4 v[10:13], v[54:55], off slc
	v_or_b32_e32 v45, v112, v101
	s_mov_b32 s14, 0
	v_cmp_gt_i16_sdwa s41, v45, v84 src0_sel:BYTE_0 src1_sel:DWORD
	s_and_saveexec_b32 s42, s41
	s_xor_b32 s41, exec_lo, s42
	s_cbranch_execz .LBB2_712
; %bb.363:                              ;   in Loop: Header=BB2_130 Depth=2
	v_cmp_eq_u16_sdwa s43, v45, v85 src0_sel:BYTE_0 src1_sel:DWORD
	s_mov_b32 s14, -1
	s_and_saveexec_b32 s42, s43
; %bb.364:                              ;   in Loop: Header=BB2_130 Depth=2
	s_xor_b32 s14, exec_lo, -1
; %bb.365:                              ;   in Loop: Header=BB2_130 Depth=2
	s_or_b32 exec_lo, exec_lo, s42
	s_and_b32 s14, s14, exec_lo
	s_or_saveexec_b32 s41, s41
	v_mov_b32_e32 v101, 0x7f800001
	s_xor_b32 exec_lo, exec_lo, s41
	s_cbranch_execnz .LBB2_713
.LBB2_366:                              ;   in Loop: Header=BB2_130 Depth=2
	s_or_b32 exec_lo, exec_lo, s41
	s_and_saveexec_b32 s41, s14
	s_cbranch_execz .LBB2_368
.LBB2_367:                              ;   in Loop: Header=BB2_130 Depth=2
	v_and_b32_e32 v101, 7, v45
	v_bfe_u32 v47, v45, 3, 4
	v_lshlrev_b32_e32 v56, 24, v45
	v_ffbh_u32_e32 v112, v101
	v_cmp_eq_u32_e32 vcc_lo, 0, v47
	v_min_u32_e32 v112, 32, v112
	v_subrev_nc_u32_e32 v46, 28, v112
	v_sub_nc_u32_e32 v112, 29, v112
	v_lshlrev_b32_e32 v46, v46, v45
	v_cndmask_b32_e32 v112, v47, v112, vcc_lo
	v_and_b32_e32 v46, 7, v46
	v_lshl_add_u32 v112, v112, 23, 0x3b800000
	v_cndmask_b32_e32 v101, v101, v46, vcc_lo
	v_and_b32_e32 v46, 0x80000000, v56
	v_lshlrev_b32_e32 v101, 20, v101
	v_or3_b32 v101, v46, v112, v101
.LBB2_368:                              ;   in Loop: Header=BB2_130 Depth=2
	s_or_b32 exec_lo, exec_lo, s41
	s_waitcnt vmcnt(0)
	v_cmp_gt_i16_sdwa s41, v10, v84 src0_sel:BYTE_0 src1_sel:DWORD
	s_mov_b32 s14, 0
	s_and_saveexec_b32 s42, s41
	s_xor_b32 s41, exec_lo, s42
	s_cbranch_execz .LBB2_714
; %bb.369:                              ;   in Loop: Header=BB2_130 Depth=2
	v_cmp_eq_u16_sdwa s43, v10, v85 src0_sel:BYTE_0 src1_sel:DWORD
	s_mov_b32 s14, -1
	s_and_saveexec_b32 s42, s43
; %bb.370:                              ;   in Loop: Header=BB2_130 Depth=2
	s_xor_b32 s14, exec_lo, -1
; %bb.371:                              ;   in Loop: Header=BB2_130 Depth=2
	s_or_b32 exec_lo, exec_lo, s42
	s_and_b32 s14, s14, exec_lo
	s_or_saveexec_b32 s41, s41
	v_mov_b32_e32 v112, 0x7f800001
	s_xor_b32 exec_lo, exec_lo, s41
	s_cbranch_execnz .LBB2_715
.LBB2_372:                              ;   in Loop: Header=BB2_130 Depth=2
	s_or_b32 exec_lo, exec_lo, s41
	s_and_saveexec_b32 s41, s14
	s_cbranch_execz .LBB2_374
.LBB2_373:                              ;   in Loop: Header=BB2_130 Depth=2
	v_and_b32_e32 v112, 7, v10
	v_bfe_u32 v56, v10, 3, 4
	v_lshlrev_b32_e32 v57, 24, v10
	v_ffbh_u32_e32 v46, v112
	v_cmp_eq_u32_e32 vcc_lo, 0, v56
	v_min_u32_e32 v46, 32, v46
	v_subrev_nc_u32_e32 v47, 28, v46
	v_sub_nc_u32_e32 v46, 29, v46
	v_lshlrev_b32_e32 v47, v47, v10
	v_cndmask_b32_e32 v46, v56, v46, vcc_lo
	v_and_b32_e32 v47, 7, v47
	v_lshl_add_u32 v46, v46, 23, 0x3b800000
	v_cndmask_b32_e32 v112, v112, v47, vcc_lo
	v_and_b32_e32 v47, 0x80000000, v57
	v_lshlrev_b32_e32 v112, 20, v112
	v_or3_b32 v112, v47, v46, v112
.LBB2_374:                              ;   in Loop: Header=BB2_130 Depth=2
	s_or_b32 exec_lo, exec_lo, s41
	v_add_f32_e32 v112, v101, v112
	v_and_b32_e32 v101, 0x7f800000, v112
	v_cmp_ne_u32_e32 vcc_lo, 0x7f800000, v101
	v_mov_b32_e32 v101, 0x80
	s_and_saveexec_b32 s41, vcc_lo
	s_cbranch_execz .LBB2_382
; %bb.375:                              ;   in Loop: Header=BB2_130 Depth=2
	v_mov_b32_e32 v101, 0
	s_mov_b32 s42, exec_lo
	v_cmpx_ne_u32_e32 0, v112
	s_cbranch_execz .LBB2_381
; %bb.376:                              ;   in Loop: Header=BB2_130 Depth=2
	v_bfe_u32 v101, v112, 23, 8
	v_and_b32_e32 v46, 0x7fffff, v112
	v_sub_nc_u32_e32 v47, 0x78, v101
	v_cmp_gt_u32_e32 vcc_lo, 0x79, v101
	v_or_b32_e32 v56, 0x800000, v46
	v_cndmask_b32_e32 v47, 0, v47, vcc_lo
	v_cmp_eq_u32_e32 vcc_lo, 0, v101
	v_add_nc_u32_e32 v101, 0xffffff89, v101
	v_cndmask_b32_e64 v47, v47, 0x77, vcc_lo
	v_cndmask_b32_e32 v46, v56, v46, vcc_lo
	v_cndmask_b32_e64 v101, v101, 0xffffff8a, vcc_lo
	v_lshl_add_u32 v56, 0x100000, v47, -1
	v_lshrrev_b32_e32 v57, v47, v46
	v_lshlrev_b32_e64 v59, v47, 0x80000
	v_add_nc_u32_e32 v47, v47, v101
	v_and_b32_e32 v46, v56, v46
	v_bfe_u32 v58, v57, 20, 1
	v_cmp_eq_u32_e64 s14, v46, v59
	v_add_nc_u32_e32 v56, -1, v58
	v_cndmask_b32_e64 v46, 0, v56, s14
	v_lshrrev_b32_e32 v56, 23, v57
	s_mov_b32 s14, exec_lo
	v_add_nc_u32_e32 v46, v46, v57
	v_xor_b32_e32 v56, 1, v56
	v_and_b32_e32 v101, 0xfffff, v46
	v_add_nc_u32_e32 v46, v101, v57
                                        ; implicit-def: $vgpr101
	v_cmpx_ne_u32_e64 v47, v56
	s_xor_b32 s14, exec_lo, s14
; %bb.377:                              ;   in Loop: Header=BB2_130 Depth=2
	v_cmp_lt_u32_e32 vcc_lo, 0xffffff, v46
	v_sub_nc_u32_e32 v101, v47, v56
	v_cndmask_b32_e64 v47, 0, 1, vcc_lo
	v_add_co_ci_u32_e64 v101, null, 0, v101, vcc_lo
	v_lshrrev_b32_e32 v46, v47, v46
; %bb.378:                              ;   in Loop: Header=BB2_130 Depth=2
	s_andn2_saveexec_b32 s14, s14
; %bb.379:                              ;   in Loop: Header=BB2_130 Depth=2
	v_bfe_u32 v101, v46, 23, 1
; %bb.380:                              ;   in Loop: Header=BB2_130 Depth=2
	s_or_b32 exec_lo, exec_lo, s14
	v_lshrrev_b32_e32 v46, 20, v46
	v_min_i32_e32 v47, 15, v101
	v_cmp_gt_i32_e32 vcc_lo, 16, v101
	v_and_b32_sdwa v112, v112, v85 dst_sel:DWORD dst_unused:UNUSED_PAD src0_sel:BYTE_3 src1_sel:DWORD
	v_lshlrev_b32_e32 v47, 3, v47
	v_cndmask_b32_e32 v46, 7, v46, vcc_lo
	v_and_b32_e32 v47, 0xf8, v47
	v_and_b32_e32 v56, 7, v46
	v_or_b32_e32 v101, v101, v46
	v_or3_b32 v112, v47, v112, v56
	v_cmp_ne_u32_e32 vcc_lo, 0, v101
	v_cndmask_b32_e32 v101, 0, v112, vcc_lo
.LBB2_381:                              ;   in Loop: Header=BB2_130 Depth=2
	s_or_b32 exec_lo, exec_lo, s42
.LBB2_382:                              ;   in Loop: Header=BB2_130 Depth=2
	s_or_b32 exec_lo, exec_lo, s41
	v_cmp_gt_i16_sdwa s41, v45, v84 src0_sel:BYTE_1 src1_sel:DWORD
	s_mov_b32 s14, 0
	s_and_saveexec_b32 s42, s41
	s_xor_b32 s41, exec_lo, s42
	s_cbranch_execz .LBB2_716
; %bb.383:                              ;   in Loop: Header=BB2_130 Depth=2
	v_cmp_eq_u16_sdwa s43, v45, v85 src0_sel:BYTE_1 src1_sel:DWORD
	s_mov_b32 s14, -1
	s_and_saveexec_b32 s42, s43
; %bb.384:                              ;   in Loop: Header=BB2_130 Depth=2
	s_xor_b32 s14, exec_lo, -1
; %bb.385:                              ;   in Loop: Header=BB2_130 Depth=2
	s_or_b32 exec_lo, exec_lo, s42
	s_and_b32 s14, s14, exec_lo
	s_or_saveexec_b32 s41, s41
	v_mov_b32_e32 v112, 0x7f800001
	s_xor_b32 exec_lo, exec_lo, s41
	s_cbranch_execnz .LBB2_717
.LBB2_386:                              ;   in Loop: Header=BB2_130 Depth=2
	s_or_b32 exec_lo, exec_lo, s41
	s_and_saveexec_b32 s41, s14
	s_cbranch_execz .LBB2_388
.LBB2_387:                              ;   in Loop: Header=BB2_130 Depth=2
	v_and_b32_sdwa v112, v86, v45 dst_sel:DWORD dst_unused:UNUSED_PAD src0_sel:DWORD src1_sel:BYTE_1
	v_and_b32_e32 v46, 7, v112
	v_bfe_u32 v57, v112, 3, 4
	v_ffbh_u32_e32 v47, v46
	v_cmp_eq_u32_e32 vcc_lo, 0, v57
	v_min_u32_e32 v47, 32, v47
	v_subrev_nc_u32_e32 v56, 28, v47
	v_sub_nc_u32_e32 v47, 29, v47
	v_lshlrev_b32_e32 v112, v56, v112
	v_lshlrev_b32_sdwa v56, v87, v45 dst_sel:DWORD dst_unused:UNUSED_PAD src0_sel:DWORD src1_sel:BYTE_1
	v_cndmask_b32_e32 v47, v57, v47, vcc_lo
	v_and_b32_e32 v112, 7, v112
	v_lshl_add_u32 v47, v47, 23, 0x3b800000
	v_cndmask_b32_e32 v112, v46, v112, vcc_lo
	v_and_b32_e32 v46, 0x80000000, v56
	v_lshlrev_b32_e32 v112, 20, v112
	v_or3_b32 v112, v46, v47, v112
.LBB2_388:                              ;   in Loop: Header=BB2_130 Depth=2
	s_or_b32 exec_lo, exec_lo, s41
	v_cmp_gt_i16_sdwa s41, v10, v84 src0_sel:BYTE_1 src1_sel:DWORD
	s_mov_b32 s14, 0
	s_and_saveexec_b32 s42, s41
	s_xor_b32 s41, exec_lo, s42
	s_cbranch_execz .LBB2_718
; %bb.389:                              ;   in Loop: Header=BB2_130 Depth=2
	v_cmp_eq_u16_sdwa s43, v10, v85 src0_sel:BYTE_1 src1_sel:DWORD
	s_mov_b32 s14, -1
	s_and_saveexec_b32 s42, s43
; %bb.390:                              ;   in Loop: Header=BB2_130 Depth=2
	s_xor_b32 s14, exec_lo, -1
; %bb.391:                              ;   in Loop: Header=BB2_130 Depth=2
	s_or_b32 exec_lo, exec_lo, s42
	s_and_b32 s14, s14, exec_lo
	s_or_saveexec_b32 s41, s41
	v_mov_b32_e32 v46, 0x7f800001
	s_xor_b32 exec_lo, exec_lo, s41
	s_cbranch_execnz .LBB2_719
.LBB2_392:                              ;   in Loop: Header=BB2_130 Depth=2
	s_or_b32 exec_lo, exec_lo, s41
	s_and_saveexec_b32 s41, s14
	s_cbranch_execz .LBB2_394
.LBB2_393:                              ;   in Loop: Header=BB2_130 Depth=2
	v_and_b32_sdwa v46, v86, v10 dst_sel:DWORD dst_unused:UNUSED_PAD src0_sel:DWORD src1_sel:BYTE_1
	v_and_b32_e32 v47, 7, v46
	v_bfe_u32 v58, v46, 3, 4
	v_ffbh_u32_e32 v56, v47
	v_cmp_eq_u32_e32 vcc_lo, 0, v58
	v_min_u32_e32 v56, 32, v56
	v_subrev_nc_u32_e32 v57, 28, v56
	v_sub_nc_u32_e32 v56, 29, v56
	v_lshlrev_b32_e32 v46, v57, v46
	v_lshlrev_b32_sdwa v57, v87, v10 dst_sel:DWORD dst_unused:UNUSED_PAD src0_sel:DWORD src1_sel:BYTE_1
	v_cndmask_b32_e32 v56, v58, v56, vcc_lo
	v_and_b32_e32 v46, 7, v46
	v_lshl_add_u32 v56, v56, 23, 0x3b800000
	v_cndmask_b32_e32 v46, v47, v46, vcc_lo
	v_and_b32_e32 v47, 0x80000000, v57
	v_lshlrev_b32_e32 v46, 20, v46
	v_or3_b32 v46, v47, v56, v46
.LBB2_394:                              ;   in Loop: Header=BB2_130 Depth=2
	s_or_b32 exec_lo, exec_lo, s41
	v_add_f32_e32 v46, v112, v46
	v_and_b32_e32 v112, 0x7f800000, v46
	v_cmp_ne_u32_e32 vcc_lo, 0x7f800000, v112
	v_mov_b32_e32 v112, 0x8000
	s_and_saveexec_b32 s41, vcc_lo
	s_cbranch_execz .LBB2_402
; %bb.395:                              ;   in Loop: Header=BB2_130 Depth=2
	v_mov_b32_e32 v112, 0
	s_mov_b32 s42, exec_lo
	v_cmpx_ne_u32_e32 0, v46
	s_cbranch_execz .LBB2_401
; %bb.396:                              ;   in Loop: Header=BB2_130 Depth=2
	v_bfe_u32 v112, v46, 23, 8
	v_and_b32_e32 v47, 0x7fffff, v46
	v_sub_nc_u32_e32 v56, 0x78, v112
	v_cmp_gt_u32_e32 vcc_lo, 0x79, v112
	v_or_b32_e32 v57, 0x800000, v47
	v_cndmask_b32_e32 v56, 0, v56, vcc_lo
	v_cmp_eq_u32_e32 vcc_lo, 0, v112
	v_add_nc_u32_e32 v112, 0xffffff89, v112
	v_cndmask_b32_e64 v56, v56, 0x77, vcc_lo
	v_cndmask_b32_e32 v47, v57, v47, vcc_lo
	v_cndmask_b32_e64 v112, v112, 0xffffff8a, vcc_lo
	v_lshl_add_u32 v57, 0x100000, v56, -1
	v_lshrrev_b32_e32 v58, v56, v47
	v_lshlrev_b32_e64 v60, v56, 0x80000
	v_add_nc_u32_e32 v56, v56, v112
	v_and_b32_e32 v47, v57, v47
	v_bfe_u32 v59, v58, 20, 1
	v_cmp_eq_u32_e64 s14, v47, v60
	v_add_nc_u32_e32 v57, -1, v59
	v_cndmask_b32_e64 v47, 0, v57, s14
	v_lshrrev_b32_e32 v57, 23, v58
	s_mov_b32 s14, exec_lo
	v_add_nc_u32_e32 v47, v47, v58
	v_xor_b32_e32 v57, 1, v57
	v_and_b32_e32 v112, 0xfffff, v47
	v_add_nc_u32_e32 v47, v112, v58
                                        ; implicit-def: $vgpr112
	v_cmpx_ne_u32_e64 v56, v57
	s_xor_b32 s14, exec_lo, s14
; %bb.397:                              ;   in Loop: Header=BB2_130 Depth=2
	v_cmp_lt_u32_e32 vcc_lo, 0xffffff, v47
	v_sub_nc_u32_e32 v112, v56, v57
	v_cndmask_b32_e64 v56, 0, 1, vcc_lo
	v_add_co_ci_u32_e64 v112, null, 0, v112, vcc_lo
	v_lshrrev_b32_e32 v47, v56, v47
; %bb.398:                              ;   in Loop: Header=BB2_130 Depth=2
	s_andn2_saveexec_b32 s14, s14
; %bb.399:                              ;   in Loop: Header=BB2_130 Depth=2
	v_bfe_u32 v112, v47, 23, 1
; %bb.400:                              ;   in Loop: Header=BB2_130 Depth=2
	s_or_b32 exec_lo, exec_lo, s14
	v_lshrrev_b32_e32 v47, 20, v47
	v_min_i32_e32 v56, 15, v112
	v_cmp_gt_i32_e32 vcc_lo, 16, v112
	v_and_b32_sdwa v46, v46, v85 dst_sel:DWORD dst_unused:UNUSED_PAD src0_sel:BYTE_3 src1_sel:DWORD
	v_lshlrev_b32_e32 v56, 3, v56
	v_cndmask_b32_e32 v47, 7, v47, vcc_lo
	v_and_b32_e32 v56, 0xf8, v56
	v_and_b32_e32 v57, 7, v47
	v_or_b32_e32 v112, v112, v47
	v_or3_b32 v46, v46, v56, v57
	v_cmp_ne_u32_e32 vcc_lo, 0, v112
	v_lshlrev_b32_e32 v46, 8, v46
	v_cndmask_b32_e32 v112, 0, v46, vcc_lo
.LBB2_401:                              ;   in Loop: Header=BB2_130 Depth=2
	s_or_b32 exec_lo, exec_lo, s42
.LBB2_402:                              ;   in Loop: Header=BB2_130 Depth=2
	s_or_b32 exec_lo, exec_lo, s41
	v_or_b32_e32 v44, v44, v117
	s_mov_b32 s14, 0
	v_cmp_gt_i16_sdwa s41, v44, v84 src0_sel:BYTE_0 src1_sel:DWORD
	s_and_saveexec_b32 s42, s41
	s_xor_b32 s41, exec_lo, s42
	s_cbranch_execz .LBB2_720
; %bb.403:                              ;   in Loop: Header=BB2_130 Depth=2
	v_cmp_eq_u16_sdwa s43, v44, v85 src0_sel:BYTE_0 src1_sel:DWORD
	s_mov_b32 s14, -1
	s_and_saveexec_b32 s42, s43
; %bb.404:                              ;   in Loop: Header=BB2_130 Depth=2
	s_xor_b32 s14, exec_lo, -1
; %bb.405:                              ;   in Loop: Header=BB2_130 Depth=2
	s_or_b32 exec_lo, exec_lo, s42
	s_and_b32 s14, s14, exec_lo
	s_or_saveexec_b32 s41, s41
	v_mov_b32_e32 v117, 0x7f800001
	s_xor_b32 exec_lo, exec_lo, s41
	s_cbranch_execnz .LBB2_721
.LBB2_406:                              ;   in Loop: Header=BB2_130 Depth=2
	s_or_b32 exec_lo, exec_lo, s41
	v_lshl_or_b32 v44, v44, 16, v45
	s_and_saveexec_b32 s41, s14
	s_cbranch_execz .LBB2_408
.LBB2_407:                              ;   in Loop: Header=BB2_130 Depth=2
	v_bfe_u32 v117, v44, 16, 3
	v_bfe_u32 v47, v44, 19, 4
	v_lshlrev_b32_e32 v56, 8, v44
	v_ffbh_u32_e32 v45, v117
	v_cmp_eq_u32_e32 vcc_lo, 0, v47
	v_min_u32_e32 v45, 32, v45
	v_subrev_nc_u32_e32 v46, 28, v45
	v_sub_nc_u32_e32 v45, 29, v45
	v_lshlrev_b32_sdwa v46, v46, v44 dst_sel:DWORD dst_unused:UNUSED_PAD src0_sel:DWORD src1_sel:WORD_1
	v_cndmask_b32_e32 v45, v47, v45, vcc_lo
	v_and_b32_e32 v46, 7, v46
	v_lshl_add_u32 v45, v45, 23, 0x3b800000
	v_cndmask_b32_e32 v117, v117, v46, vcc_lo
	v_and_b32_e32 v46, 0x80000000, v56
	v_lshlrev_b32_e32 v117, 20, v117
	v_or3_b32 v117, v46, v45, v117
.LBB2_408:                              ;   in Loop: Header=BB2_130 Depth=2
	s_or_b32 exec_lo, exec_lo, s41
	v_and_b32_sdwa v46, v10, v96 dst_sel:DWORD dst_unused:UNUSED_PAD src0_sel:WORD_1 src1_sel:DWORD
	s_mov_b32 s14, 0
	s_mov_b32 s41, exec_lo
	v_cmpx_lt_i16_e32 0x7f, v46
	s_xor_b32 s41, exec_lo, s41
	s_cbranch_execz .LBB2_722
; %bb.409:                              ;   in Loop: Header=BB2_130 Depth=2
	s_mov_b32 s14, -1
	s_mov_b32 s42, exec_lo
	v_cmpx_eq_u16_e32 0x80, v46
; %bb.410:                              ;   in Loop: Header=BB2_130 Depth=2
	s_xor_b32 s14, exec_lo, -1
; %bb.411:                              ;   in Loop: Header=BB2_130 Depth=2
	s_or_b32 exec_lo, exec_lo, s42
	s_and_b32 s14, s14, exec_lo
                                        ; implicit-def: $vgpr46
	s_or_saveexec_b32 s41, s41
	v_mov_b32_e32 v45, 0x7f800001
	s_xor_b32 exec_lo, exec_lo, s41
	s_cbranch_execnz .LBB2_723
.LBB2_412:                              ;   in Loop: Header=BB2_130 Depth=2
	s_or_b32 exec_lo, exec_lo, s41
	s_and_saveexec_b32 s41, s14
	s_cbranch_execz .LBB2_414
.LBB2_413:                              ;   in Loop: Header=BB2_130 Depth=2
	v_and_b32_sdwa v45, v10, v97 dst_sel:DWORD dst_unused:UNUSED_PAD src0_sel:WORD_1 src1_sel:DWORD
	v_bfe_u32 v56, v10, 19, 4
	v_lshlrev_b32_sdwa v57, v87, v10 dst_sel:DWORD dst_unused:UNUSED_PAD src0_sel:DWORD src1_sel:WORD_1
	v_ffbh_u32_e32 v46, v45
	v_cmp_eq_u32_e32 vcc_lo, 0, v56
	v_min_u32_e32 v46, 32, v46
	v_subrev_nc_u32_e32 v47, 28, v46
	v_sub_nc_u32_e32 v46, 29, v46
	v_lshlrev_b32_sdwa v47, v47, v10 dst_sel:DWORD dst_unused:UNUSED_PAD src0_sel:DWORD src1_sel:WORD_1
	v_cndmask_b32_e32 v46, v56, v46, vcc_lo
	v_and_b32_e32 v47, 7, v47
	v_lshl_add_u32 v46, v46, 23, 0x3b800000
	v_cndmask_b32_e32 v45, v45, v47, vcc_lo
	v_and_b32_e32 v47, 0x80000000, v57
	v_lshlrev_b32_e32 v45, 20, v45
	v_or3_b32 v45, v47, v46, v45
.LBB2_414:                              ;   in Loop: Header=BB2_130 Depth=2
	s_or_b32 exec_lo, exec_lo, s41
	v_add_f32_e32 v45, v117, v45
	v_and_b32_e32 v117, 0x7f800000, v45
	v_cmp_ne_u32_e32 vcc_lo, 0x7f800000, v117
	v_mov_b32_e32 v117, 0x80
	s_and_saveexec_b32 s41, vcc_lo
	s_cbranch_execz .LBB2_422
; %bb.415:                              ;   in Loop: Header=BB2_130 Depth=2
	v_mov_b32_e32 v117, 0
	s_mov_b32 s42, exec_lo
	v_cmpx_ne_u32_e32 0, v45
	s_cbranch_execz .LBB2_421
; %bb.416:                              ;   in Loop: Header=BB2_130 Depth=2
	v_bfe_u32 v117, v45, 23, 8
	v_and_b32_e32 v46, 0x7fffff, v45
	v_sub_nc_u32_e32 v47, 0x78, v117
	v_cmp_gt_u32_e32 vcc_lo, 0x79, v117
	v_or_b32_e32 v56, 0x800000, v46
	v_cndmask_b32_e32 v47, 0, v47, vcc_lo
	v_cmp_eq_u32_e32 vcc_lo, 0, v117
	v_add_nc_u32_e32 v117, 0xffffff89, v117
	v_cndmask_b32_e64 v47, v47, 0x77, vcc_lo
	v_cndmask_b32_e32 v46, v56, v46, vcc_lo
	v_cndmask_b32_e64 v117, v117, 0xffffff8a, vcc_lo
	v_lshl_add_u32 v56, 0x100000, v47, -1
	v_lshrrev_b32_e32 v57, v47, v46
	v_lshlrev_b32_e64 v59, v47, 0x80000
	v_add_nc_u32_e32 v47, v47, v117
	v_and_b32_e32 v46, v56, v46
	v_bfe_u32 v58, v57, 20, 1
	v_cmp_eq_u32_e64 s14, v46, v59
	v_add_nc_u32_e32 v56, -1, v58
	v_cndmask_b32_e64 v46, 0, v56, s14
	v_lshrrev_b32_e32 v56, 23, v57
	s_mov_b32 s14, exec_lo
	v_add_nc_u32_e32 v46, v46, v57
	v_xor_b32_e32 v56, 1, v56
	v_and_b32_e32 v117, 0xfffff, v46
	v_add_nc_u32_e32 v46, v117, v57
                                        ; implicit-def: $vgpr117
	v_cmpx_ne_u32_e64 v47, v56
	s_xor_b32 s14, exec_lo, s14
; %bb.417:                              ;   in Loop: Header=BB2_130 Depth=2
	v_cmp_lt_u32_e32 vcc_lo, 0xffffff, v46
	v_sub_nc_u32_e32 v117, v47, v56
	v_cndmask_b32_e64 v47, 0, 1, vcc_lo
	v_add_co_ci_u32_e64 v117, null, 0, v117, vcc_lo
	v_lshrrev_b32_e32 v46, v47, v46
; %bb.418:                              ;   in Loop: Header=BB2_130 Depth=2
	s_andn2_saveexec_b32 s14, s14
; %bb.419:                              ;   in Loop: Header=BB2_130 Depth=2
	v_bfe_u32 v117, v46, 23, 1
; %bb.420:                              ;   in Loop: Header=BB2_130 Depth=2
	s_or_b32 exec_lo, exec_lo, s14
	v_lshrrev_b32_e32 v46, 20, v46
	v_min_i32_e32 v47, 15, v117
	v_cmp_gt_i32_e32 vcc_lo, 16, v117
	v_and_b32_sdwa v45, v45, v85 dst_sel:DWORD dst_unused:UNUSED_PAD src0_sel:BYTE_3 src1_sel:DWORD
	v_lshlrev_b32_e32 v47, 3, v47
	v_cndmask_b32_e32 v46, 7, v46, vcc_lo
	v_and_b32_e32 v47, 0xf8, v47
	v_and_b32_e32 v56, 7, v46
	v_or_b32_e32 v117, v117, v46
	v_or3_b32 v45, v47, v45, v56
	v_cmp_ne_u32_e32 vcc_lo, 0, v117
	v_cndmask_b32_e32 v117, 0, v45, vcc_lo
.LBB2_421:                              ;   in Loop: Header=BB2_130 Depth=2
	s_or_b32 exec_lo, exec_lo, s42
.LBB2_422:                              ;   in Loop: Header=BB2_130 Depth=2
	s_or_b32 exec_lo, exec_lo, s41
	v_cmp_gt_i16_sdwa s41, v44, v84 src0_sel:BYTE_3 src1_sel:DWORD
	s_mov_b32 s14, 0
	s_and_saveexec_b32 s42, s41
	s_xor_b32 s41, exec_lo, s42
	s_cbranch_execz .LBB2_724
; %bb.423:                              ;   in Loop: Header=BB2_130 Depth=2
	v_cmp_eq_u16_sdwa s43, v44, v85 src0_sel:BYTE_3 src1_sel:DWORD
	s_mov_b32 s14, -1
	s_and_saveexec_b32 s42, s43
; %bb.424:                              ;   in Loop: Header=BB2_130 Depth=2
	s_xor_b32 s14, exec_lo, -1
; %bb.425:                              ;   in Loop: Header=BB2_130 Depth=2
	s_or_b32 exec_lo, exec_lo, s42
	s_and_b32 s14, s14, exec_lo
	s_or_saveexec_b32 s41, s41
	v_mov_b32_e32 v45, 0x7f800001
	s_xor_b32 exec_lo, exec_lo, s41
	s_cbranch_execnz .LBB2_725
.LBB2_426:                              ;   in Loop: Header=BB2_130 Depth=2
	s_or_b32 exec_lo, exec_lo, s41
	s_and_saveexec_b32 s41, s14
	s_cbranch_execz .LBB2_428
.LBB2_427:                              ;   in Loop: Header=BB2_130 Depth=2
	v_bfe_u32 v45, v44, 24, 3
	v_bfe_u32 v56, v44, 27, 4
	v_ffbh_u32_e32 v46, v45
	v_cmp_eq_u32_e32 vcc_lo, 0, v56
	v_min_u32_e32 v46, 32, v46
	v_subrev_nc_u32_e32 v47, 28, v46
	v_sub_nc_u32_e32 v46, 29, v46
	v_lshlrev_b32_sdwa v47, v47, v44 dst_sel:DWORD dst_unused:UNUSED_PAD src0_sel:DWORD src1_sel:BYTE_3
	v_cndmask_b32_e32 v46, v56, v46, vcc_lo
	v_and_b32_e32 v44, 0x80000000, v44
	v_and_b32_e32 v47, 7, v47
	v_lshl_add_u32 v46, v46, 23, 0x3b800000
	v_cndmask_b32_e32 v45, v45, v47, vcc_lo
	v_lshlrev_b32_e32 v45, 20, v45
	v_or3_b32 v45, v44, v46, v45
.LBB2_428:                              ;   in Loop: Header=BB2_130 Depth=2
	s_or_b32 exec_lo, exec_lo, s41
	v_cmp_gt_i16_sdwa s41, v10, v84 src0_sel:BYTE_3 src1_sel:DWORD
	s_mov_b32 s14, 0
	s_and_saveexec_b32 s42, s41
	s_xor_b32 s41, exec_lo, s42
	s_cbranch_execz .LBB2_726
; %bb.429:                              ;   in Loop: Header=BB2_130 Depth=2
	v_cmp_eq_u16_sdwa s43, v10, v85 src0_sel:BYTE_3 src1_sel:DWORD
	s_mov_b32 s14, -1
	s_and_saveexec_b32 s42, s43
; %bb.430:                              ;   in Loop: Header=BB2_130 Depth=2
	s_xor_b32 s14, exec_lo, -1
; %bb.431:                              ;   in Loop: Header=BB2_130 Depth=2
	s_or_b32 exec_lo, exec_lo, s42
	s_and_b32 s14, s14, exec_lo
	s_or_saveexec_b32 s41, s41
	v_mov_b32_e32 v44, 0x7f800001
	s_xor_b32 exec_lo, exec_lo, s41
	s_cbranch_execnz .LBB2_727
.LBB2_432:                              ;   in Loop: Header=BB2_130 Depth=2
	s_or_b32 exec_lo, exec_lo, s41
	s_and_saveexec_b32 s41, s14
	s_cbranch_execz .LBB2_434
.LBB2_433:                              ;   in Loop: Header=BB2_130 Depth=2
	v_and_b32_sdwa v44, v10, v97 dst_sel:DWORD dst_unused:UNUSED_PAD src0_sel:BYTE_3 src1_sel:DWORD
	v_bfe_u32 v56, v10, 27, 4
	v_ffbh_u32_e32 v46, v44
	v_cmp_eq_u32_e32 vcc_lo, 0, v56
	v_min_u32_e32 v46, 32, v46
	v_subrev_nc_u32_e32 v47, 28, v46
	v_sub_nc_u32_e32 v46, 29, v46
	v_lshlrev_b32_sdwa v47, v47, v10 dst_sel:DWORD dst_unused:UNUSED_PAD src0_sel:DWORD src1_sel:BYTE_3
	v_cndmask_b32_e32 v46, v56, v46, vcc_lo
	v_and_b32_e32 v10, 0x80000000, v10
	v_and_b32_e32 v47, 7, v47
	v_lshl_add_u32 v46, v46, 23, 0x3b800000
	v_cndmask_b32_e32 v44, v44, v47, vcc_lo
	v_lshlrev_b32_e32 v44, 20, v44
	v_or3_b32 v44, v10, v46, v44
.LBB2_434:                              ;   in Loop: Header=BB2_130 Depth=2
	s_or_b32 exec_lo, exec_lo, s41
	v_add_f32_e32 v44, v45, v44
	v_and_b32_e32 v10, 0x7f800000, v44
	v_cmp_ne_u32_e32 vcc_lo, 0x7f800000, v10
	v_mov_b32_e32 v10, 0x8000
	s_and_saveexec_b32 s41, vcc_lo
	s_cbranch_execz .LBB2_442
; %bb.435:                              ;   in Loop: Header=BB2_130 Depth=2
	v_mov_b32_e32 v10, 0
	s_mov_b32 s42, exec_lo
	v_cmpx_ne_u32_e32 0, v44
	s_cbranch_execz .LBB2_441
; %bb.436:                              ;   in Loop: Header=BB2_130 Depth=2
	v_bfe_u32 v10, v44, 23, 8
	v_and_b32_e32 v45, 0x7fffff, v44
	v_sub_nc_u32_e32 v46, 0x78, v10
	v_cmp_gt_u32_e32 vcc_lo, 0x79, v10
	v_or_b32_e32 v47, 0x800000, v45
	v_cndmask_b32_e32 v46, 0, v46, vcc_lo
	v_cmp_eq_u32_e32 vcc_lo, 0, v10
	v_add_nc_u32_e32 v10, 0xffffff89, v10
	v_cndmask_b32_e64 v46, v46, 0x77, vcc_lo
	v_cndmask_b32_e32 v45, v47, v45, vcc_lo
	v_cndmask_b32_e64 v10, v10, 0xffffff8a, vcc_lo
	v_lshl_add_u32 v47, 0x100000, v46, -1
	v_lshrrev_b32_e32 v56, v46, v45
	v_lshlrev_b32_e64 v58, v46, 0x80000
	v_add_nc_u32_e32 v46, v46, v10
	v_and_b32_e32 v45, v47, v45
	v_bfe_u32 v57, v56, 20, 1
	v_cmp_eq_u32_e64 s14, v45, v58
	v_add_nc_u32_e32 v47, -1, v57
	v_cndmask_b32_e64 v45, 0, v47, s14
	v_lshrrev_b32_e32 v47, 23, v56
	s_mov_b32 s14, exec_lo
	v_add_nc_u32_e32 v45, v45, v56
	v_xor_b32_e32 v47, 1, v47
	v_and_b32_e32 v10, 0xfffff, v45
	v_add_nc_u32_e32 v45, v10, v56
                                        ; implicit-def: $vgpr10
	v_cmpx_ne_u32_e64 v46, v47
	s_xor_b32 s14, exec_lo, s14
; %bb.437:                              ;   in Loop: Header=BB2_130 Depth=2
	v_cmp_lt_u32_e32 vcc_lo, 0xffffff, v45
	v_sub_nc_u32_e32 v10, v46, v47
	v_cndmask_b32_e64 v46, 0, 1, vcc_lo
	v_add_co_ci_u32_e64 v10, null, 0, v10, vcc_lo
	v_lshrrev_b32_e32 v45, v46, v45
; %bb.438:                              ;   in Loop: Header=BB2_130 Depth=2
	s_andn2_saveexec_b32 s14, s14
; %bb.439:                              ;   in Loop: Header=BB2_130 Depth=2
	v_bfe_u32 v10, v45, 23, 1
; %bb.440:                              ;   in Loop: Header=BB2_130 Depth=2
	s_or_b32 exec_lo, exec_lo, s14
	v_lshrrev_b32_e32 v45, 20, v45
	v_min_i32_e32 v46, 15, v10
	v_cmp_gt_i32_e32 vcc_lo, 16, v10
	v_and_b32_sdwa v44, v44, v85 dst_sel:DWORD dst_unused:UNUSED_PAD src0_sel:BYTE_3 src1_sel:DWORD
	v_lshlrev_b32_e32 v46, 3, v46
	v_cndmask_b32_e32 v45, 7, v45, vcc_lo
	v_and_b32_e32 v46, 0xf8, v46
	v_and_b32_e32 v47, 7, v45
	v_or_b32_e32 v10, v10, v45
	v_or3_b32 v44, v44, v46, v47
	v_cmp_ne_u32_e32 vcc_lo, 0, v10
	v_lshlrev_b32_e32 v44, 8, v44
	v_cndmask_b32_e32 v10, 0, v44, vcc_lo
.LBB2_441:                              ;   in Loop: Header=BB2_130 Depth=2
	s_or_b32 exec_lo, exec_lo, s42
.LBB2_442:                              ;   in Loop: Header=BB2_130 Depth=2
	s_or_b32 exec_lo, exec_lo, s41
	v_or_b32_e32 v44, v43, v41
	s_mov_b32 s14, 0
	v_cmp_gt_i16_sdwa s41, v44, v84 src0_sel:BYTE_0 src1_sel:DWORD
	s_and_saveexec_b32 s42, s41
	s_xor_b32 s41, exec_lo, s42
	s_cbranch_execz .LBB2_728
; %bb.443:                              ;   in Loop: Header=BB2_130 Depth=2
	v_cmp_eq_u16_sdwa s43, v44, v85 src0_sel:BYTE_0 src1_sel:DWORD
	s_mov_b32 s14, -1
	s_and_saveexec_b32 s42, s43
; %bb.444:                              ;   in Loop: Header=BB2_130 Depth=2
	s_xor_b32 s14, exec_lo, -1
; %bb.445:                              ;   in Loop: Header=BB2_130 Depth=2
	s_or_b32 exec_lo, exec_lo, s42
	s_and_b32 s14, s14, exec_lo
	s_or_saveexec_b32 s41, s41
	v_mov_b32_e32 v41, 0x7f800001
	s_xor_b32 exec_lo, exec_lo, s41
	s_cbranch_execnz .LBB2_729
.LBB2_446:                              ;   in Loop: Header=BB2_130 Depth=2
	s_or_b32 exec_lo, exec_lo, s41
	s_and_saveexec_b32 s41, s14
	s_cbranch_execz .LBB2_448
.LBB2_447:                              ;   in Loop: Header=BB2_130 Depth=2
	v_and_b32_e32 v41, 7, v44
	v_bfe_u32 v46, v44, 3, 4
	v_lshlrev_b32_e32 v47, 24, v44
	v_ffbh_u32_e32 v43, v41
	v_cmp_eq_u32_e32 vcc_lo, 0, v46
	v_min_u32_e32 v43, 32, v43
	v_subrev_nc_u32_e32 v45, 28, v43
	v_sub_nc_u32_e32 v43, 29, v43
	v_lshlrev_b32_e32 v45, v45, v44
	v_cndmask_b32_e32 v43, v46, v43, vcc_lo
	v_and_b32_e32 v45, 7, v45
	v_lshl_add_u32 v43, v43, 23, 0x3b800000
	v_cndmask_b32_e32 v41, v41, v45, vcc_lo
	v_and_b32_e32 v45, 0x80000000, v47
	v_lshlrev_b32_e32 v41, 20, v41
	v_or3_b32 v41, v45, v43, v41
.LBB2_448:                              ;   in Loop: Header=BB2_130 Depth=2
	s_or_b32 exec_lo, exec_lo, s41
	v_cmp_gt_i16_sdwa s41, v11, v84 src0_sel:BYTE_0 src1_sel:DWORD
	s_mov_b32 s14, 0
	s_and_saveexec_b32 s42, s41
	s_xor_b32 s41, exec_lo, s42
	s_cbranch_execz .LBB2_730
; %bb.449:                              ;   in Loop: Header=BB2_130 Depth=2
	v_cmp_eq_u16_sdwa s43, v11, v85 src0_sel:BYTE_0 src1_sel:DWORD
	s_mov_b32 s14, -1
	s_and_saveexec_b32 s42, s43
; %bb.450:                              ;   in Loop: Header=BB2_130 Depth=2
	s_xor_b32 s14, exec_lo, -1
; %bb.451:                              ;   in Loop: Header=BB2_130 Depth=2
	s_or_b32 exec_lo, exec_lo, s42
	s_and_b32 s14, s14, exec_lo
	s_or_saveexec_b32 s41, s41
	v_mov_b32_e32 v43, 0x7f800001
	s_xor_b32 exec_lo, exec_lo, s41
	s_cbranch_execnz .LBB2_731
.LBB2_452:                              ;   in Loop: Header=BB2_130 Depth=2
	s_or_b32 exec_lo, exec_lo, s41
	s_and_saveexec_b32 s41, s14
	s_cbranch_execz .LBB2_454
.LBB2_453:                              ;   in Loop: Header=BB2_130 Depth=2
	v_and_b32_e32 v43, 7, v11
	v_bfe_u32 v47, v11, 3, 4
	v_lshlrev_b32_e32 v56, 24, v11
	v_ffbh_u32_e32 v45, v43
	v_cmp_eq_u32_e32 vcc_lo, 0, v47
	v_min_u32_e32 v45, 32, v45
	v_subrev_nc_u32_e32 v46, 28, v45
	v_sub_nc_u32_e32 v45, 29, v45
	v_lshlrev_b32_e32 v46, v46, v11
	v_cndmask_b32_e32 v45, v47, v45, vcc_lo
	v_and_b32_e32 v46, 7, v46
	v_lshl_add_u32 v45, v45, 23, 0x3b800000
	v_cndmask_b32_e32 v43, v43, v46, vcc_lo
	v_and_b32_e32 v46, 0x80000000, v56
	v_lshlrev_b32_e32 v43, 20, v43
	v_or3_b32 v43, v46, v45, v43
.LBB2_454:                              ;   in Loop: Header=BB2_130 Depth=2
	s_or_b32 exec_lo, exec_lo, s41
	v_add_f32_e32 v43, v41, v43
	v_and_b32_e32 v41, 0x7f800000, v43
	v_cmp_ne_u32_e32 vcc_lo, 0x7f800000, v41
	v_mov_b32_e32 v41, 0x80
	s_and_saveexec_b32 s41, vcc_lo
	s_cbranch_execz .LBB2_462
; %bb.455:                              ;   in Loop: Header=BB2_130 Depth=2
	v_mov_b32_e32 v41, 0
	s_mov_b32 s42, exec_lo
	v_cmpx_ne_u32_e32 0, v43
	s_cbranch_execz .LBB2_461
; %bb.456:                              ;   in Loop: Header=BB2_130 Depth=2
	v_bfe_u32 v41, v43, 23, 8
	v_and_b32_e32 v45, 0x7fffff, v43
	v_sub_nc_u32_e32 v46, 0x78, v41
	v_cmp_gt_u32_e32 vcc_lo, 0x79, v41
	v_or_b32_e32 v47, 0x800000, v45
	v_cndmask_b32_e32 v46, 0, v46, vcc_lo
	v_cmp_eq_u32_e32 vcc_lo, 0, v41
	v_add_nc_u32_e32 v41, 0xffffff89, v41
	v_cndmask_b32_e64 v46, v46, 0x77, vcc_lo
	v_cndmask_b32_e32 v45, v47, v45, vcc_lo
	v_cndmask_b32_e64 v41, v41, 0xffffff8a, vcc_lo
	v_lshl_add_u32 v47, 0x100000, v46, -1
	v_lshrrev_b32_e32 v56, v46, v45
	v_lshlrev_b32_e64 v58, v46, 0x80000
	v_add_nc_u32_e32 v46, v46, v41
	v_and_b32_e32 v45, v47, v45
	v_bfe_u32 v57, v56, 20, 1
	v_cmp_eq_u32_e64 s14, v45, v58
	v_add_nc_u32_e32 v47, -1, v57
	v_cndmask_b32_e64 v45, 0, v47, s14
	v_lshrrev_b32_e32 v47, 23, v56
	s_mov_b32 s14, exec_lo
	v_add_nc_u32_e32 v45, v45, v56
	v_xor_b32_e32 v47, 1, v47
	v_and_b32_e32 v41, 0xfffff, v45
	v_add_nc_u32_e32 v45, v41, v56
                                        ; implicit-def: $vgpr41
	v_cmpx_ne_u32_e64 v46, v47
	s_xor_b32 s14, exec_lo, s14
; %bb.457:                              ;   in Loop: Header=BB2_130 Depth=2
	v_cmp_lt_u32_e32 vcc_lo, 0xffffff, v45
	v_sub_nc_u32_e32 v41, v46, v47
	v_cndmask_b32_e64 v46, 0, 1, vcc_lo
	v_add_co_ci_u32_e64 v41, null, 0, v41, vcc_lo
	v_lshrrev_b32_e32 v45, v46, v45
; %bb.458:                              ;   in Loop: Header=BB2_130 Depth=2
	s_andn2_saveexec_b32 s14, s14
; %bb.459:                              ;   in Loop: Header=BB2_130 Depth=2
	v_bfe_u32 v41, v45, 23, 1
; %bb.460:                              ;   in Loop: Header=BB2_130 Depth=2
	s_or_b32 exec_lo, exec_lo, s14
	v_lshrrev_b32_e32 v45, 20, v45
	v_min_i32_e32 v46, 15, v41
	v_cmp_gt_i32_e32 vcc_lo, 16, v41
	v_and_b32_sdwa v43, v43, v85 dst_sel:DWORD dst_unused:UNUSED_PAD src0_sel:BYTE_3 src1_sel:DWORD
	v_lshlrev_b32_e32 v46, 3, v46
	v_cndmask_b32_e32 v45, 7, v45, vcc_lo
	v_and_b32_e32 v46, 0xf8, v46
	v_and_b32_e32 v47, 7, v45
	v_or_b32_e32 v41, v41, v45
	v_or3_b32 v43, v46, v43, v47
	v_cmp_ne_u32_e32 vcc_lo, 0, v41
	v_cndmask_b32_e32 v41, 0, v43, vcc_lo
.LBB2_461:                              ;   in Loop: Header=BB2_130 Depth=2
	s_or_b32 exec_lo, exec_lo, s42
.LBB2_462:                              ;   in Loop: Header=BB2_130 Depth=2
	s_or_b32 exec_lo, exec_lo, s41
	v_cmp_gt_i16_sdwa s41, v44, v84 src0_sel:BYTE_1 src1_sel:DWORD
	s_mov_b32 s14, 0
	s_and_saveexec_b32 s42, s41
	s_xor_b32 s41, exec_lo, s42
	s_cbranch_execz .LBB2_732
; %bb.463:                              ;   in Loop: Header=BB2_130 Depth=2
	v_cmp_eq_u16_sdwa s43, v44, v85 src0_sel:BYTE_1 src1_sel:DWORD
	s_mov_b32 s14, -1
	s_and_saveexec_b32 s42, s43
; %bb.464:                              ;   in Loop: Header=BB2_130 Depth=2
	s_xor_b32 s14, exec_lo, -1
; %bb.465:                              ;   in Loop: Header=BB2_130 Depth=2
	s_or_b32 exec_lo, exec_lo, s42
	s_and_b32 s14, s14, exec_lo
	s_or_saveexec_b32 s41, s41
	v_mov_b32_e32 v43, 0x7f800001
	s_xor_b32 exec_lo, exec_lo, s41
	s_cbranch_execnz .LBB2_733
.LBB2_466:                              ;   in Loop: Header=BB2_130 Depth=2
	s_or_b32 exec_lo, exec_lo, s41
	s_and_saveexec_b32 s41, s14
	s_cbranch_execz .LBB2_468
.LBB2_467:                              ;   in Loop: Header=BB2_130 Depth=2
	v_and_b32_sdwa v43, v86, v44 dst_sel:DWORD dst_unused:UNUSED_PAD src0_sel:DWORD src1_sel:BYTE_1
	v_and_b32_e32 v45, 7, v43
	v_bfe_u32 v56, v43, 3, 4
	v_ffbh_u32_e32 v46, v45
	v_cmp_eq_u32_e32 vcc_lo, 0, v56
	v_min_u32_e32 v46, 32, v46
	v_subrev_nc_u32_e32 v47, 28, v46
	v_sub_nc_u32_e32 v46, 29, v46
	v_lshlrev_b32_e32 v43, v47, v43
	v_lshlrev_b32_sdwa v47, v87, v44 dst_sel:DWORD dst_unused:UNUSED_PAD src0_sel:DWORD src1_sel:BYTE_1
	v_cndmask_b32_e32 v46, v56, v46, vcc_lo
	v_and_b32_e32 v43, 7, v43
	v_lshl_add_u32 v46, v46, 23, 0x3b800000
	v_cndmask_b32_e32 v43, v45, v43, vcc_lo
	v_and_b32_e32 v45, 0x80000000, v47
	v_lshlrev_b32_e32 v43, 20, v43
	v_or3_b32 v43, v45, v46, v43
.LBB2_468:                              ;   in Loop: Header=BB2_130 Depth=2
	s_or_b32 exec_lo, exec_lo, s41
	v_cmp_gt_i16_sdwa s41, v11, v84 src0_sel:BYTE_1 src1_sel:DWORD
	s_mov_b32 s14, 0
	s_and_saveexec_b32 s42, s41
	s_xor_b32 s41, exec_lo, s42
	s_cbranch_execz .LBB2_734
; %bb.469:                              ;   in Loop: Header=BB2_130 Depth=2
	v_cmp_eq_u16_sdwa s43, v11, v85 src0_sel:BYTE_1 src1_sel:DWORD
	s_mov_b32 s14, -1
	s_and_saveexec_b32 s42, s43
; %bb.470:                              ;   in Loop: Header=BB2_130 Depth=2
	s_xor_b32 s14, exec_lo, -1
; %bb.471:                              ;   in Loop: Header=BB2_130 Depth=2
	s_or_b32 exec_lo, exec_lo, s42
	s_and_b32 s14, s14, exec_lo
	s_or_saveexec_b32 s41, s41
	v_mov_b32_e32 v45, 0x7f800001
	s_xor_b32 exec_lo, exec_lo, s41
	s_cbranch_execnz .LBB2_735
.LBB2_472:                              ;   in Loop: Header=BB2_130 Depth=2
	s_or_b32 exec_lo, exec_lo, s41
	s_and_saveexec_b32 s41, s14
	s_cbranch_execz .LBB2_474
.LBB2_473:                              ;   in Loop: Header=BB2_130 Depth=2
	v_and_b32_sdwa v45, v86, v11 dst_sel:DWORD dst_unused:UNUSED_PAD src0_sel:DWORD src1_sel:BYTE_1
	v_and_b32_e32 v46, 7, v45
	v_bfe_u32 v57, v45, 3, 4
	v_ffbh_u32_e32 v47, v46
	v_cmp_eq_u32_e32 vcc_lo, 0, v57
	v_min_u32_e32 v47, 32, v47
	v_subrev_nc_u32_e32 v56, 28, v47
	v_sub_nc_u32_e32 v47, 29, v47
	v_lshlrev_b32_e32 v45, v56, v45
	v_lshlrev_b32_sdwa v56, v87, v11 dst_sel:DWORD dst_unused:UNUSED_PAD src0_sel:DWORD src1_sel:BYTE_1
	v_cndmask_b32_e32 v47, v57, v47, vcc_lo
	v_and_b32_e32 v45, 7, v45
	v_lshl_add_u32 v47, v47, 23, 0x3b800000
	v_cndmask_b32_e32 v45, v46, v45, vcc_lo
	v_and_b32_e32 v46, 0x80000000, v56
	v_lshlrev_b32_e32 v45, 20, v45
	v_or3_b32 v45, v46, v47, v45
.LBB2_474:                              ;   in Loop: Header=BB2_130 Depth=2
	s_or_b32 exec_lo, exec_lo, s41
	v_add_f32_e32 v45, v43, v45
	v_and_b32_e32 v43, 0x7f800000, v45
	v_cmp_ne_u32_e32 vcc_lo, 0x7f800000, v43
	v_mov_b32_e32 v43, 0x8000
	s_and_saveexec_b32 s41, vcc_lo
	s_cbranch_execz .LBB2_482
; %bb.475:                              ;   in Loop: Header=BB2_130 Depth=2
	v_mov_b32_e32 v43, 0
	s_mov_b32 s42, exec_lo
	v_cmpx_ne_u32_e32 0, v45
	s_cbranch_execz .LBB2_481
; %bb.476:                              ;   in Loop: Header=BB2_130 Depth=2
	v_bfe_u32 v43, v45, 23, 8
	v_and_b32_e32 v46, 0x7fffff, v45
	v_sub_nc_u32_e32 v47, 0x78, v43
	v_cmp_gt_u32_e32 vcc_lo, 0x79, v43
	v_or_b32_e32 v56, 0x800000, v46
	v_cndmask_b32_e32 v47, 0, v47, vcc_lo
	v_cmp_eq_u32_e32 vcc_lo, 0, v43
	v_add_nc_u32_e32 v43, 0xffffff89, v43
	v_cndmask_b32_e64 v47, v47, 0x77, vcc_lo
	v_cndmask_b32_e32 v46, v56, v46, vcc_lo
	v_cndmask_b32_e64 v43, v43, 0xffffff8a, vcc_lo
	v_lshl_add_u32 v56, 0x100000, v47, -1
	v_lshrrev_b32_e32 v57, v47, v46
	v_lshlrev_b32_e64 v59, v47, 0x80000
	v_add_nc_u32_e32 v47, v47, v43
	v_and_b32_e32 v46, v56, v46
	v_bfe_u32 v58, v57, 20, 1
	v_cmp_eq_u32_e64 s14, v46, v59
	v_add_nc_u32_e32 v56, -1, v58
	v_cndmask_b32_e64 v46, 0, v56, s14
	v_lshrrev_b32_e32 v56, 23, v57
	s_mov_b32 s14, exec_lo
	v_add_nc_u32_e32 v46, v46, v57
	v_xor_b32_e32 v56, 1, v56
	v_and_b32_e32 v43, 0xfffff, v46
	v_add_nc_u32_e32 v46, v43, v57
                                        ; implicit-def: $vgpr43
	v_cmpx_ne_u32_e64 v47, v56
	s_xor_b32 s14, exec_lo, s14
; %bb.477:                              ;   in Loop: Header=BB2_130 Depth=2
	v_cmp_lt_u32_e32 vcc_lo, 0xffffff, v46
	v_sub_nc_u32_e32 v43, v47, v56
	v_cndmask_b32_e64 v47, 0, 1, vcc_lo
	v_add_co_ci_u32_e64 v43, null, 0, v43, vcc_lo
	v_lshrrev_b32_e32 v46, v47, v46
; %bb.478:                              ;   in Loop: Header=BB2_130 Depth=2
	s_andn2_saveexec_b32 s14, s14
; %bb.479:                              ;   in Loop: Header=BB2_130 Depth=2
	v_bfe_u32 v43, v46, 23, 1
; %bb.480:                              ;   in Loop: Header=BB2_130 Depth=2
	s_or_b32 exec_lo, exec_lo, s14
	v_lshrrev_b32_e32 v46, 20, v46
	v_min_i32_e32 v47, 15, v43
	v_cmp_gt_i32_e32 vcc_lo, 16, v43
	v_and_b32_sdwa v45, v45, v85 dst_sel:DWORD dst_unused:UNUSED_PAD src0_sel:BYTE_3 src1_sel:DWORD
	v_lshlrev_b32_e32 v47, 3, v47
	v_cndmask_b32_e32 v46, 7, v46, vcc_lo
	v_and_b32_e32 v47, 0xf8, v47
	v_and_b32_e32 v56, 7, v46
	v_or_b32_e32 v43, v43, v46
	v_or3_b32 v45, v45, v47, v56
	v_cmp_ne_u32_e32 vcc_lo, 0, v43
	v_lshlrev_b32_e32 v45, 8, v45
	v_cndmask_b32_e32 v43, 0, v45, vcc_lo
.LBB2_481:                              ;   in Loop: Header=BB2_130 Depth=2
	s_or_b32 exec_lo, exec_lo, s42
.LBB2_482:                              ;   in Loop: Header=BB2_130 Depth=2
	s_or_b32 exec_lo, exec_lo, s41
	v_or_b32_e32 v42, v42, v119
	s_mov_b32 s14, 0
	v_cmp_gt_i16_sdwa s41, v42, v84 src0_sel:BYTE_0 src1_sel:DWORD
	s_and_saveexec_b32 s42, s41
	s_xor_b32 s41, exec_lo, s42
	s_cbranch_execz .LBB2_736
; %bb.483:                              ;   in Loop: Header=BB2_130 Depth=2
	v_cmp_eq_u16_sdwa s43, v42, v85 src0_sel:BYTE_0 src1_sel:DWORD
	s_mov_b32 s14, -1
	s_and_saveexec_b32 s42, s43
; %bb.484:                              ;   in Loop: Header=BB2_130 Depth=2
	s_xor_b32 s14, exec_lo, -1
; %bb.485:                              ;   in Loop: Header=BB2_130 Depth=2
	s_or_b32 exec_lo, exec_lo, s42
	s_and_b32 s14, s14, exec_lo
	s_or_saveexec_b32 s41, s41
	v_mov_b32_e32 v119, 0x7f800001
	s_xor_b32 exec_lo, exec_lo, s41
	s_cbranch_execnz .LBB2_737
.LBB2_486:                              ;   in Loop: Header=BB2_130 Depth=2
	s_or_b32 exec_lo, exec_lo, s41
	v_lshl_or_b32 v42, v42, 16, v44
	s_and_saveexec_b32 s41, s14
	s_cbranch_execz .LBB2_488
.LBB2_487:                              ;   in Loop: Header=BB2_130 Depth=2
	v_bfe_u32 v119, v42, 16, 3
	v_bfe_u32 v46, v42, 19, 4
	v_lshlrev_b32_e32 v47, 8, v42
	v_ffbh_u32_e32 v44, v119
	v_cmp_eq_u32_e32 vcc_lo, 0, v46
	v_min_u32_e32 v44, 32, v44
	v_subrev_nc_u32_e32 v45, 28, v44
	v_sub_nc_u32_e32 v44, 29, v44
	v_lshlrev_b32_sdwa v45, v45, v42 dst_sel:DWORD dst_unused:UNUSED_PAD src0_sel:DWORD src1_sel:WORD_1
	v_cndmask_b32_e32 v44, v46, v44, vcc_lo
	v_and_b32_e32 v45, 7, v45
	v_lshl_add_u32 v44, v44, 23, 0x3b800000
	v_cndmask_b32_e32 v119, v119, v45, vcc_lo
	v_and_b32_e32 v45, 0x80000000, v47
	v_lshlrev_b32_e32 v119, 20, v119
	v_or3_b32 v119, v45, v44, v119
.LBB2_488:                              ;   in Loop: Header=BB2_130 Depth=2
	s_or_b32 exec_lo, exec_lo, s41
	v_and_b32_sdwa v45, v11, v96 dst_sel:DWORD dst_unused:UNUSED_PAD src0_sel:WORD_1 src1_sel:DWORD
	s_mov_b32 s14, 0
	s_mov_b32 s41, exec_lo
	v_cmpx_lt_i16_e32 0x7f, v45
	s_xor_b32 s41, exec_lo, s41
	s_cbranch_execz .LBB2_738
; %bb.489:                              ;   in Loop: Header=BB2_130 Depth=2
	s_mov_b32 s14, -1
	s_mov_b32 s42, exec_lo
	v_cmpx_eq_u16_e32 0x80, v45
; %bb.490:                              ;   in Loop: Header=BB2_130 Depth=2
	s_xor_b32 s14, exec_lo, -1
; %bb.491:                              ;   in Loop: Header=BB2_130 Depth=2
	s_or_b32 exec_lo, exec_lo, s42
	s_and_b32 s14, s14, exec_lo
                                        ; implicit-def: $vgpr45
	s_or_saveexec_b32 s41, s41
	v_mov_b32_e32 v44, 0x7f800001
	s_xor_b32 exec_lo, exec_lo, s41
	s_cbranch_execnz .LBB2_739
.LBB2_492:                              ;   in Loop: Header=BB2_130 Depth=2
	s_or_b32 exec_lo, exec_lo, s41
	s_and_saveexec_b32 s41, s14
	s_cbranch_execz .LBB2_494
.LBB2_493:                              ;   in Loop: Header=BB2_130 Depth=2
	v_and_b32_sdwa v44, v11, v97 dst_sel:DWORD dst_unused:UNUSED_PAD src0_sel:WORD_1 src1_sel:DWORD
	v_bfe_u32 v47, v11, 19, 4
	v_lshlrev_b32_sdwa v56, v87, v11 dst_sel:DWORD dst_unused:UNUSED_PAD src0_sel:DWORD src1_sel:WORD_1
	v_ffbh_u32_e32 v45, v44
	v_cmp_eq_u32_e32 vcc_lo, 0, v47
	v_min_u32_e32 v45, 32, v45
	v_subrev_nc_u32_e32 v46, 28, v45
	v_sub_nc_u32_e32 v45, 29, v45
	v_lshlrev_b32_sdwa v46, v46, v11 dst_sel:DWORD dst_unused:UNUSED_PAD src0_sel:DWORD src1_sel:WORD_1
	v_cndmask_b32_e32 v45, v47, v45, vcc_lo
	v_and_b32_e32 v46, 7, v46
	v_lshl_add_u32 v45, v45, 23, 0x3b800000
	v_cndmask_b32_e32 v44, v44, v46, vcc_lo
	v_and_b32_e32 v46, 0x80000000, v56
	v_lshlrev_b32_e32 v44, 20, v44
	v_or3_b32 v44, v46, v45, v44
.LBB2_494:                              ;   in Loop: Header=BB2_130 Depth=2
	s_or_b32 exec_lo, exec_lo, s41
	v_add_f32_e32 v44, v119, v44
	v_and_b32_e32 v119, 0x7f800000, v44
	v_cmp_ne_u32_e32 vcc_lo, 0x7f800000, v119
	v_mov_b32_e32 v119, 0x80
	s_and_saveexec_b32 s41, vcc_lo
	s_cbranch_execz .LBB2_502
; %bb.495:                              ;   in Loop: Header=BB2_130 Depth=2
	v_mov_b32_e32 v119, 0
	s_mov_b32 s42, exec_lo
	v_cmpx_ne_u32_e32 0, v44
	s_cbranch_execz .LBB2_501
; %bb.496:                              ;   in Loop: Header=BB2_130 Depth=2
	v_bfe_u32 v119, v44, 23, 8
	v_and_b32_e32 v45, 0x7fffff, v44
	v_sub_nc_u32_e32 v46, 0x78, v119
	v_cmp_gt_u32_e32 vcc_lo, 0x79, v119
	v_or_b32_e32 v47, 0x800000, v45
	v_cndmask_b32_e32 v46, 0, v46, vcc_lo
	v_cmp_eq_u32_e32 vcc_lo, 0, v119
	v_add_nc_u32_e32 v119, 0xffffff89, v119
	v_cndmask_b32_e64 v46, v46, 0x77, vcc_lo
	v_cndmask_b32_e32 v45, v47, v45, vcc_lo
	v_cndmask_b32_e64 v119, v119, 0xffffff8a, vcc_lo
	v_lshl_add_u32 v47, 0x100000, v46, -1
	v_lshrrev_b32_e32 v56, v46, v45
	v_lshlrev_b32_e64 v58, v46, 0x80000
	v_add_nc_u32_e32 v46, v46, v119
	v_and_b32_e32 v45, v47, v45
	v_bfe_u32 v57, v56, 20, 1
	v_cmp_eq_u32_e64 s14, v45, v58
	v_add_nc_u32_e32 v47, -1, v57
	v_cndmask_b32_e64 v45, 0, v47, s14
	v_lshrrev_b32_e32 v47, 23, v56
	s_mov_b32 s14, exec_lo
	v_add_nc_u32_e32 v45, v45, v56
	v_xor_b32_e32 v47, 1, v47
	v_and_b32_e32 v119, 0xfffff, v45
	v_add_nc_u32_e32 v45, v119, v56
                                        ; implicit-def: $vgpr119
	v_cmpx_ne_u32_e64 v46, v47
	s_xor_b32 s14, exec_lo, s14
; %bb.497:                              ;   in Loop: Header=BB2_130 Depth=2
	v_cmp_lt_u32_e32 vcc_lo, 0xffffff, v45
	v_sub_nc_u32_e32 v119, v46, v47
	v_cndmask_b32_e64 v46, 0, 1, vcc_lo
	v_add_co_ci_u32_e64 v119, null, 0, v119, vcc_lo
	v_lshrrev_b32_e32 v45, v46, v45
; %bb.498:                              ;   in Loop: Header=BB2_130 Depth=2
	s_andn2_saveexec_b32 s14, s14
; %bb.499:                              ;   in Loop: Header=BB2_130 Depth=2
	v_bfe_u32 v119, v45, 23, 1
; %bb.500:                              ;   in Loop: Header=BB2_130 Depth=2
	s_or_b32 exec_lo, exec_lo, s14
	v_lshrrev_b32_e32 v45, 20, v45
	v_min_i32_e32 v46, 15, v119
	v_cmp_gt_i32_e32 vcc_lo, 16, v119
	v_and_b32_sdwa v44, v44, v85 dst_sel:DWORD dst_unused:UNUSED_PAD src0_sel:BYTE_3 src1_sel:DWORD
	v_lshlrev_b32_e32 v46, 3, v46
	v_cndmask_b32_e32 v45, 7, v45, vcc_lo
	v_and_b32_e32 v46, 0xf8, v46
	v_and_b32_e32 v47, 7, v45
	v_or_b32_e32 v119, v119, v45
	v_or3_b32 v44, v46, v44, v47
	v_cmp_ne_u32_e32 vcc_lo, 0, v119
	v_cndmask_b32_e32 v119, 0, v44, vcc_lo
.LBB2_501:                              ;   in Loop: Header=BB2_130 Depth=2
	s_or_b32 exec_lo, exec_lo, s42
.LBB2_502:                              ;   in Loop: Header=BB2_130 Depth=2
	s_or_b32 exec_lo, exec_lo, s41
	v_cmp_gt_i16_sdwa s41, v42, v84 src0_sel:BYTE_3 src1_sel:DWORD
	s_mov_b32 s14, 0
	s_and_saveexec_b32 s42, s41
	s_xor_b32 s41, exec_lo, s42
	s_cbranch_execz .LBB2_740
; %bb.503:                              ;   in Loop: Header=BB2_130 Depth=2
	v_cmp_eq_u16_sdwa s43, v42, v85 src0_sel:BYTE_3 src1_sel:DWORD
	s_mov_b32 s14, -1
	s_and_saveexec_b32 s42, s43
; %bb.504:                              ;   in Loop: Header=BB2_130 Depth=2
	s_xor_b32 s14, exec_lo, -1
; %bb.505:                              ;   in Loop: Header=BB2_130 Depth=2
	s_or_b32 exec_lo, exec_lo, s42
	s_and_b32 s14, s14, exec_lo
	s_or_saveexec_b32 s41, s41
	v_mov_b32_e32 v44, 0x7f800001
	s_xor_b32 exec_lo, exec_lo, s41
	s_cbranch_execnz .LBB2_741
.LBB2_506:                              ;   in Loop: Header=BB2_130 Depth=2
	s_or_b32 exec_lo, exec_lo, s41
	s_and_saveexec_b32 s41, s14
	s_cbranch_execz .LBB2_508
.LBB2_507:                              ;   in Loop: Header=BB2_130 Depth=2
	v_bfe_u32 v44, v42, 24, 3
	v_bfe_u32 v47, v42, 27, 4
	v_ffbh_u32_e32 v45, v44
	v_cmp_eq_u32_e32 vcc_lo, 0, v47
	v_min_u32_e32 v45, 32, v45
	v_subrev_nc_u32_e32 v46, 28, v45
	v_sub_nc_u32_e32 v45, 29, v45
	v_lshlrev_b32_sdwa v46, v46, v42 dst_sel:DWORD dst_unused:UNUSED_PAD src0_sel:DWORD src1_sel:BYTE_3
	v_cndmask_b32_e32 v45, v47, v45, vcc_lo
	v_and_b32_e32 v42, 0x80000000, v42
	v_and_b32_e32 v46, 7, v46
	v_lshl_add_u32 v45, v45, 23, 0x3b800000
	v_cndmask_b32_e32 v44, v44, v46, vcc_lo
	v_lshlrev_b32_e32 v44, 20, v44
	v_or3_b32 v44, v42, v45, v44
.LBB2_508:                              ;   in Loop: Header=BB2_130 Depth=2
	s_or_b32 exec_lo, exec_lo, s41
	v_cmp_gt_i16_sdwa s41, v11, v84 src0_sel:BYTE_3 src1_sel:DWORD
	s_mov_b32 s14, 0
	s_and_saveexec_b32 s42, s41
	s_xor_b32 s41, exec_lo, s42
	s_cbranch_execz .LBB2_742
; %bb.509:                              ;   in Loop: Header=BB2_130 Depth=2
	v_cmp_eq_u16_sdwa s43, v11, v85 src0_sel:BYTE_3 src1_sel:DWORD
	s_mov_b32 s14, -1
	s_and_saveexec_b32 s42, s43
; %bb.510:                              ;   in Loop: Header=BB2_130 Depth=2
	s_xor_b32 s14, exec_lo, -1
; %bb.511:                              ;   in Loop: Header=BB2_130 Depth=2
	s_or_b32 exec_lo, exec_lo, s42
	s_and_b32 s14, s14, exec_lo
	s_or_saveexec_b32 s41, s41
	v_mov_b32_e32 v42, 0x7f800001
	s_xor_b32 exec_lo, exec_lo, s41
	s_cbranch_execnz .LBB2_743
.LBB2_512:                              ;   in Loop: Header=BB2_130 Depth=2
	s_or_b32 exec_lo, exec_lo, s41
	s_and_saveexec_b32 s41, s14
	s_cbranch_execz .LBB2_514
.LBB2_513:                              ;   in Loop: Header=BB2_130 Depth=2
	v_and_b32_sdwa v42, v11, v97 dst_sel:DWORD dst_unused:UNUSED_PAD src0_sel:BYTE_3 src1_sel:DWORD
	v_bfe_u32 v47, v11, 27, 4
	v_ffbh_u32_e32 v45, v42
	v_cmp_eq_u32_e32 vcc_lo, 0, v47
	v_min_u32_e32 v45, 32, v45
	v_subrev_nc_u32_e32 v46, 28, v45
	v_sub_nc_u32_e32 v45, 29, v45
	v_lshlrev_b32_sdwa v46, v46, v11 dst_sel:DWORD dst_unused:UNUSED_PAD src0_sel:DWORD src1_sel:BYTE_3
	v_cndmask_b32_e32 v45, v47, v45, vcc_lo
	v_and_b32_e32 v11, 0x80000000, v11
	v_and_b32_e32 v46, 7, v46
	v_lshl_add_u32 v45, v45, 23, 0x3b800000
	v_cndmask_b32_e32 v42, v42, v46, vcc_lo
	v_lshlrev_b32_e32 v42, 20, v42
	v_or3_b32 v42, v11, v45, v42
.LBB2_514:                              ;   in Loop: Header=BB2_130 Depth=2
	s_or_b32 exec_lo, exec_lo, s41
	v_add_f32_e32 v42, v44, v42
	v_and_b32_e32 v11, 0x7f800000, v42
	v_cmp_ne_u32_e32 vcc_lo, 0x7f800000, v11
	v_mov_b32_e32 v11, 0x8000
	s_and_saveexec_b32 s41, vcc_lo
	s_cbranch_execz .LBB2_522
; %bb.515:                              ;   in Loop: Header=BB2_130 Depth=2
	v_mov_b32_e32 v11, 0
	s_mov_b32 s42, exec_lo
	v_cmpx_ne_u32_e32 0, v42
	s_cbranch_execz .LBB2_521
; %bb.516:                              ;   in Loop: Header=BB2_130 Depth=2
	v_bfe_u32 v11, v42, 23, 8
	v_and_b32_e32 v44, 0x7fffff, v42
	v_sub_nc_u32_e32 v45, 0x78, v11
	v_cmp_gt_u32_e32 vcc_lo, 0x79, v11
	v_or_b32_e32 v46, 0x800000, v44
	v_cndmask_b32_e32 v45, 0, v45, vcc_lo
	v_cmp_eq_u32_e32 vcc_lo, 0, v11
	v_add_nc_u32_e32 v11, 0xffffff89, v11
	v_cndmask_b32_e64 v45, v45, 0x77, vcc_lo
	v_cndmask_b32_e32 v44, v46, v44, vcc_lo
	v_cndmask_b32_e64 v11, v11, 0xffffff8a, vcc_lo
	v_lshl_add_u32 v46, 0x100000, v45, -1
	v_lshrrev_b32_e32 v47, v45, v44
	v_lshlrev_b32_e64 v57, v45, 0x80000
	v_add_nc_u32_e32 v45, v45, v11
	v_and_b32_e32 v44, v46, v44
	v_bfe_u32 v56, v47, 20, 1
	v_cmp_eq_u32_e64 s14, v44, v57
	v_add_nc_u32_e32 v46, -1, v56
	v_cndmask_b32_e64 v44, 0, v46, s14
	v_lshrrev_b32_e32 v46, 23, v47
	s_mov_b32 s14, exec_lo
	v_add_nc_u32_e32 v44, v44, v47
	v_xor_b32_e32 v46, 1, v46
	v_and_b32_e32 v11, 0xfffff, v44
	v_add_nc_u32_e32 v44, v11, v47
                                        ; implicit-def: $vgpr11
	v_cmpx_ne_u32_e64 v45, v46
	s_xor_b32 s14, exec_lo, s14
; %bb.517:                              ;   in Loop: Header=BB2_130 Depth=2
	v_cmp_lt_u32_e32 vcc_lo, 0xffffff, v44
	v_sub_nc_u32_e32 v11, v45, v46
	v_cndmask_b32_e64 v45, 0, 1, vcc_lo
	v_add_co_ci_u32_e64 v11, null, 0, v11, vcc_lo
	v_lshrrev_b32_e32 v44, v45, v44
; %bb.518:                              ;   in Loop: Header=BB2_130 Depth=2
	s_andn2_saveexec_b32 s14, s14
; %bb.519:                              ;   in Loop: Header=BB2_130 Depth=2
	v_bfe_u32 v11, v44, 23, 1
; %bb.520:                              ;   in Loop: Header=BB2_130 Depth=2
	s_or_b32 exec_lo, exec_lo, s14
	v_lshrrev_b32_e32 v44, 20, v44
	v_min_i32_e32 v45, 15, v11
	v_cmp_gt_i32_e32 vcc_lo, 16, v11
	v_and_b32_sdwa v42, v42, v85 dst_sel:DWORD dst_unused:UNUSED_PAD src0_sel:BYTE_3 src1_sel:DWORD
	v_lshlrev_b32_e32 v45, 3, v45
	v_cndmask_b32_e32 v44, 7, v44, vcc_lo
	v_and_b32_e32 v45, 0xf8, v45
	v_and_b32_e32 v46, 7, v44
	v_or_b32_e32 v11, v11, v44
	v_or3_b32 v42, v42, v45, v46
	v_cmp_ne_u32_e32 vcc_lo, 0, v11
	v_lshlrev_b32_e32 v42, 8, v42
	v_cndmask_b32_e32 v11, 0, v42, vcc_lo
.LBB2_521:                              ;   in Loop: Header=BB2_130 Depth=2
	s_or_b32 exec_lo, exec_lo, s42
.LBB2_522:                              ;   in Loop: Header=BB2_130 Depth=2
	s_or_b32 exec_lo, exec_lo, s41
	v_or_b32_e32 v42, v40, v116
	s_mov_b32 s14, 0
	v_cmp_gt_i16_sdwa s41, v42, v84 src0_sel:BYTE_0 src1_sel:DWORD
	s_and_saveexec_b32 s42, s41
	s_xor_b32 s41, exec_lo, s42
	s_cbranch_execz .LBB2_744
; %bb.523:                              ;   in Loop: Header=BB2_130 Depth=2
	v_cmp_eq_u16_sdwa s43, v42, v85 src0_sel:BYTE_0 src1_sel:DWORD
	s_mov_b32 s14, -1
	s_and_saveexec_b32 s42, s43
; %bb.524:                              ;   in Loop: Header=BB2_130 Depth=2
	s_xor_b32 s14, exec_lo, -1
; %bb.525:                              ;   in Loop: Header=BB2_130 Depth=2
	s_or_b32 exec_lo, exec_lo, s42
	s_and_b32 s14, s14, exec_lo
	s_or_saveexec_b32 s41, s41
	v_mov_b32_e32 v116, 0x7f800001
	s_xor_b32 exec_lo, exec_lo, s41
	s_cbranch_execnz .LBB2_745
.LBB2_526:                              ;   in Loop: Header=BB2_130 Depth=2
	s_or_b32 exec_lo, exec_lo, s41
	s_and_saveexec_b32 s41, s14
	s_cbranch_execz .LBB2_528
.LBB2_527:                              ;   in Loop: Header=BB2_130 Depth=2
	v_and_b32_e32 v116, 7, v42
	v_bfe_u32 v45, v42, 3, 4
	v_lshlrev_b32_e32 v46, 24, v42
	v_ffbh_u32_e32 v40, v116
	v_cmp_eq_u32_e32 vcc_lo, 0, v45
	v_min_u32_e32 v40, 32, v40
	v_subrev_nc_u32_e32 v44, 28, v40
	v_sub_nc_u32_e32 v40, 29, v40
	v_lshlrev_b32_e32 v44, v44, v42
	v_cndmask_b32_e32 v40, v45, v40, vcc_lo
	v_and_b32_e32 v44, 7, v44
	v_lshl_add_u32 v40, v40, 23, 0x3b800000
	v_cndmask_b32_e32 v116, v116, v44, vcc_lo
	v_and_b32_e32 v44, 0x80000000, v46
	v_lshlrev_b32_e32 v116, 20, v116
	v_or3_b32 v116, v44, v40, v116
.LBB2_528:                              ;   in Loop: Header=BB2_130 Depth=2
	s_or_b32 exec_lo, exec_lo, s41
	v_cmp_gt_i16_sdwa s41, v12, v84 src0_sel:BYTE_0 src1_sel:DWORD
	s_mov_b32 s14, 0
	s_and_saveexec_b32 s42, s41
	s_xor_b32 s41, exec_lo, s42
	s_cbranch_execz .LBB2_746
; %bb.529:                              ;   in Loop: Header=BB2_130 Depth=2
	v_cmp_eq_u16_sdwa s43, v12, v85 src0_sel:BYTE_0 src1_sel:DWORD
	s_mov_b32 s14, -1
	s_and_saveexec_b32 s42, s43
; %bb.530:                              ;   in Loop: Header=BB2_130 Depth=2
	s_xor_b32 s14, exec_lo, -1
; %bb.531:                              ;   in Loop: Header=BB2_130 Depth=2
	s_or_b32 exec_lo, exec_lo, s42
	s_and_b32 s14, s14, exec_lo
	s_or_saveexec_b32 s41, s41
	v_mov_b32_e32 v40, 0x7f800001
	s_xor_b32 exec_lo, exec_lo, s41
	s_cbranch_execnz .LBB2_747
.LBB2_532:                              ;   in Loop: Header=BB2_130 Depth=2
	s_or_b32 exec_lo, exec_lo, s41
	s_and_saveexec_b32 s41, s14
	s_cbranch_execz .LBB2_534
.LBB2_533:                              ;   in Loop: Header=BB2_130 Depth=2
	v_and_b32_e32 v40, 7, v12
	v_bfe_u32 v46, v12, 3, 4
	v_lshlrev_b32_e32 v47, 24, v12
	v_ffbh_u32_e32 v44, v40
	v_cmp_eq_u32_e32 vcc_lo, 0, v46
	v_min_u32_e32 v44, 32, v44
	v_subrev_nc_u32_e32 v45, 28, v44
	v_sub_nc_u32_e32 v44, 29, v44
	v_lshlrev_b32_e32 v45, v45, v12
	v_cndmask_b32_e32 v44, v46, v44, vcc_lo
	v_and_b32_e32 v45, 7, v45
	v_lshl_add_u32 v44, v44, 23, 0x3b800000
	v_cndmask_b32_e32 v40, v40, v45, vcc_lo
	v_and_b32_e32 v45, 0x80000000, v47
	v_lshlrev_b32_e32 v40, 20, v40
	v_or3_b32 v40, v45, v44, v40
.LBB2_534:                              ;   in Loop: Header=BB2_130 Depth=2
	s_or_b32 exec_lo, exec_lo, s41
	v_add_f32_e32 v40, v116, v40
	v_and_b32_e32 v116, 0x7f800000, v40
	v_cmp_ne_u32_e32 vcc_lo, 0x7f800000, v116
	v_mov_b32_e32 v116, 0x80
	s_and_saveexec_b32 s41, vcc_lo
	s_cbranch_execz .LBB2_542
; %bb.535:                              ;   in Loop: Header=BB2_130 Depth=2
	v_mov_b32_e32 v116, 0
	s_mov_b32 s42, exec_lo
	v_cmpx_ne_u32_e32 0, v40
	s_cbranch_execz .LBB2_541
; %bb.536:                              ;   in Loop: Header=BB2_130 Depth=2
	v_bfe_u32 v116, v40, 23, 8
	v_and_b32_e32 v44, 0x7fffff, v40
	v_sub_nc_u32_e32 v45, 0x78, v116
	v_cmp_gt_u32_e32 vcc_lo, 0x79, v116
	v_or_b32_e32 v46, 0x800000, v44
	v_cndmask_b32_e32 v45, 0, v45, vcc_lo
	v_cmp_eq_u32_e32 vcc_lo, 0, v116
	v_add_nc_u32_e32 v116, 0xffffff89, v116
	v_cndmask_b32_e64 v45, v45, 0x77, vcc_lo
	v_cndmask_b32_e32 v44, v46, v44, vcc_lo
	v_cndmask_b32_e64 v116, v116, 0xffffff8a, vcc_lo
	v_lshl_add_u32 v46, 0x100000, v45, -1
	v_lshrrev_b32_e32 v47, v45, v44
	v_lshlrev_b32_e64 v57, v45, 0x80000
	v_add_nc_u32_e32 v45, v45, v116
	v_and_b32_e32 v44, v46, v44
	v_bfe_u32 v56, v47, 20, 1
	v_cmp_eq_u32_e64 s14, v44, v57
	v_add_nc_u32_e32 v46, -1, v56
	v_cndmask_b32_e64 v44, 0, v46, s14
	v_lshrrev_b32_e32 v46, 23, v47
	s_mov_b32 s14, exec_lo
	v_add_nc_u32_e32 v44, v44, v47
	v_xor_b32_e32 v46, 1, v46
	v_and_b32_e32 v116, 0xfffff, v44
	v_add_nc_u32_e32 v44, v116, v47
                                        ; implicit-def: $vgpr116
	v_cmpx_ne_u32_e64 v45, v46
	s_xor_b32 s14, exec_lo, s14
; %bb.537:                              ;   in Loop: Header=BB2_130 Depth=2
	v_cmp_lt_u32_e32 vcc_lo, 0xffffff, v44
	v_sub_nc_u32_e32 v116, v45, v46
	v_cndmask_b32_e64 v45, 0, 1, vcc_lo
	v_add_co_ci_u32_e64 v116, null, 0, v116, vcc_lo
	v_lshrrev_b32_e32 v44, v45, v44
; %bb.538:                              ;   in Loop: Header=BB2_130 Depth=2
	s_andn2_saveexec_b32 s14, s14
; %bb.539:                              ;   in Loop: Header=BB2_130 Depth=2
	v_bfe_u32 v116, v44, 23, 1
; %bb.540:                              ;   in Loop: Header=BB2_130 Depth=2
	s_or_b32 exec_lo, exec_lo, s14
	v_lshrrev_b32_e32 v44, 20, v44
	v_min_i32_e32 v45, 15, v116
	v_cmp_gt_i32_e32 vcc_lo, 16, v116
	v_and_b32_sdwa v40, v40, v85 dst_sel:DWORD dst_unused:UNUSED_PAD src0_sel:BYTE_3 src1_sel:DWORD
	v_lshlrev_b32_e32 v45, 3, v45
	v_cndmask_b32_e32 v44, 7, v44, vcc_lo
	v_and_b32_e32 v45, 0xf8, v45
	v_and_b32_e32 v46, 7, v44
	v_or_b32_e32 v116, v116, v44
	v_or3_b32 v40, v45, v40, v46
	v_cmp_ne_u32_e32 vcc_lo, 0, v116
	v_cndmask_b32_e32 v116, 0, v40, vcc_lo
.LBB2_541:                              ;   in Loop: Header=BB2_130 Depth=2
	s_or_b32 exec_lo, exec_lo, s42
.LBB2_542:                              ;   in Loop: Header=BB2_130 Depth=2
	s_or_b32 exec_lo, exec_lo, s41
	v_cmp_gt_i16_sdwa s41, v42, v84 src0_sel:BYTE_1 src1_sel:DWORD
	s_mov_b32 s14, 0
	s_and_saveexec_b32 s42, s41
	s_xor_b32 s41, exec_lo, s42
	s_cbranch_execz .LBB2_748
; %bb.543:                              ;   in Loop: Header=BB2_130 Depth=2
	v_cmp_eq_u16_sdwa s43, v42, v85 src0_sel:BYTE_1 src1_sel:DWORD
	s_mov_b32 s14, -1
	s_and_saveexec_b32 s42, s43
; %bb.544:                              ;   in Loop: Header=BB2_130 Depth=2
	s_xor_b32 s14, exec_lo, -1
; %bb.545:                              ;   in Loop: Header=BB2_130 Depth=2
	s_or_b32 exec_lo, exec_lo, s42
	s_and_b32 s14, s14, exec_lo
	s_or_saveexec_b32 s41, s41
	v_mov_b32_e32 v40, 0x7f800001
	s_xor_b32 exec_lo, exec_lo, s41
	s_cbranch_execnz .LBB2_749
.LBB2_546:                              ;   in Loop: Header=BB2_130 Depth=2
	s_or_b32 exec_lo, exec_lo, s41
	s_and_saveexec_b32 s41, s14
	s_cbranch_execz .LBB2_548
.LBB2_547:                              ;   in Loop: Header=BB2_130 Depth=2
	v_and_b32_sdwa v40, v86, v42 dst_sel:DWORD dst_unused:UNUSED_PAD src0_sel:DWORD src1_sel:BYTE_1
	v_and_b32_e32 v44, 7, v40
	v_bfe_u32 v47, v40, 3, 4
	v_ffbh_u32_e32 v45, v44
	v_cmp_eq_u32_e32 vcc_lo, 0, v47
	v_min_u32_e32 v45, 32, v45
	v_subrev_nc_u32_e32 v46, 28, v45
	v_sub_nc_u32_e32 v45, 29, v45
	v_lshlrev_b32_e32 v40, v46, v40
	v_lshlrev_b32_sdwa v46, v87, v42 dst_sel:DWORD dst_unused:UNUSED_PAD src0_sel:DWORD src1_sel:BYTE_1
	v_cndmask_b32_e32 v45, v47, v45, vcc_lo
	v_and_b32_e32 v40, 7, v40
	v_lshl_add_u32 v45, v45, 23, 0x3b800000
	v_cndmask_b32_e32 v40, v44, v40, vcc_lo
	v_and_b32_e32 v44, 0x80000000, v46
	v_lshlrev_b32_e32 v40, 20, v40
	v_or3_b32 v40, v44, v45, v40
.LBB2_548:                              ;   in Loop: Header=BB2_130 Depth=2
	s_or_b32 exec_lo, exec_lo, s41
	v_cmp_gt_i16_sdwa s41, v12, v84 src0_sel:BYTE_1 src1_sel:DWORD
	s_mov_b32 s14, 0
	s_and_saveexec_b32 s42, s41
	s_xor_b32 s41, exec_lo, s42
	s_cbranch_execz .LBB2_750
; %bb.549:                              ;   in Loop: Header=BB2_130 Depth=2
	v_cmp_eq_u16_sdwa s43, v12, v85 src0_sel:BYTE_1 src1_sel:DWORD
	s_mov_b32 s14, -1
	s_and_saveexec_b32 s42, s43
; %bb.550:                              ;   in Loop: Header=BB2_130 Depth=2
	s_xor_b32 s14, exec_lo, -1
; %bb.551:                              ;   in Loop: Header=BB2_130 Depth=2
	s_or_b32 exec_lo, exec_lo, s42
	s_and_b32 s14, s14, exec_lo
	s_or_saveexec_b32 s41, s41
	v_mov_b32_e32 v44, 0x7f800001
	s_xor_b32 exec_lo, exec_lo, s41
	s_cbranch_execnz .LBB2_751
.LBB2_552:                              ;   in Loop: Header=BB2_130 Depth=2
	s_or_b32 exec_lo, exec_lo, s41
	s_and_saveexec_b32 s41, s14
	s_cbranch_execz .LBB2_554
.LBB2_553:                              ;   in Loop: Header=BB2_130 Depth=2
	v_and_b32_sdwa v44, v86, v12 dst_sel:DWORD dst_unused:UNUSED_PAD src0_sel:DWORD src1_sel:BYTE_1
	v_and_b32_e32 v45, 7, v44
	v_bfe_u32 v56, v44, 3, 4
	v_ffbh_u32_e32 v46, v45
	v_cmp_eq_u32_e32 vcc_lo, 0, v56
	v_min_u32_e32 v46, 32, v46
	v_subrev_nc_u32_e32 v47, 28, v46
	v_sub_nc_u32_e32 v46, 29, v46
	v_lshlrev_b32_e32 v44, v47, v44
	v_lshlrev_b32_sdwa v47, v87, v12 dst_sel:DWORD dst_unused:UNUSED_PAD src0_sel:DWORD src1_sel:BYTE_1
	v_cndmask_b32_e32 v46, v56, v46, vcc_lo
	v_and_b32_e32 v44, 7, v44
	v_lshl_add_u32 v46, v46, 23, 0x3b800000
	v_cndmask_b32_e32 v44, v45, v44, vcc_lo
	v_and_b32_e32 v45, 0x80000000, v47
	v_lshlrev_b32_e32 v44, 20, v44
	v_or3_b32 v44, v45, v46, v44
.LBB2_554:                              ;   in Loop: Header=BB2_130 Depth=2
	s_or_b32 exec_lo, exec_lo, s41
	v_add_f32_e32 v44, v40, v44
	v_and_b32_e32 v40, 0x7f800000, v44
	v_cmp_ne_u32_e32 vcc_lo, 0x7f800000, v40
	v_mov_b32_e32 v40, 0x8000
	s_and_saveexec_b32 s41, vcc_lo
	s_cbranch_execz .LBB2_562
; %bb.555:                              ;   in Loop: Header=BB2_130 Depth=2
	v_mov_b32_e32 v40, 0
	s_mov_b32 s42, exec_lo
	v_cmpx_ne_u32_e32 0, v44
	s_cbranch_execz .LBB2_561
; %bb.556:                              ;   in Loop: Header=BB2_130 Depth=2
	v_bfe_u32 v40, v44, 23, 8
	v_and_b32_e32 v45, 0x7fffff, v44
	v_sub_nc_u32_e32 v46, 0x78, v40
	v_cmp_gt_u32_e32 vcc_lo, 0x79, v40
	v_or_b32_e32 v47, 0x800000, v45
	v_cndmask_b32_e32 v46, 0, v46, vcc_lo
	v_cmp_eq_u32_e32 vcc_lo, 0, v40
	v_add_nc_u32_e32 v40, 0xffffff89, v40
	v_cndmask_b32_e64 v46, v46, 0x77, vcc_lo
	v_cndmask_b32_e32 v45, v47, v45, vcc_lo
	v_cndmask_b32_e64 v40, v40, 0xffffff8a, vcc_lo
	v_lshl_add_u32 v47, 0x100000, v46, -1
	v_lshrrev_b32_e32 v56, v46, v45
	v_lshlrev_b32_e64 v58, v46, 0x80000
	v_add_nc_u32_e32 v46, v46, v40
	v_and_b32_e32 v45, v47, v45
	v_bfe_u32 v57, v56, 20, 1
	v_cmp_eq_u32_e64 s14, v45, v58
	v_add_nc_u32_e32 v47, -1, v57
	v_cndmask_b32_e64 v45, 0, v47, s14
	v_lshrrev_b32_e32 v47, 23, v56
	s_mov_b32 s14, exec_lo
	v_add_nc_u32_e32 v45, v45, v56
	v_xor_b32_e32 v47, 1, v47
	v_and_b32_e32 v40, 0xfffff, v45
	v_add_nc_u32_e32 v45, v40, v56
                                        ; implicit-def: $vgpr40
	v_cmpx_ne_u32_e64 v46, v47
	s_xor_b32 s14, exec_lo, s14
; %bb.557:                              ;   in Loop: Header=BB2_130 Depth=2
	v_cmp_lt_u32_e32 vcc_lo, 0xffffff, v45
	v_sub_nc_u32_e32 v40, v46, v47
	v_cndmask_b32_e64 v46, 0, 1, vcc_lo
	v_add_co_ci_u32_e64 v40, null, 0, v40, vcc_lo
	v_lshrrev_b32_e32 v45, v46, v45
; %bb.558:                              ;   in Loop: Header=BB2_130 Depth=2
	s_andn2_saveexec_b32 s14, s14
; %bb.559:                              ;   in Loop: Header=BB2_130 Depth=2
	v_bfe_u32 v40, v45, 23, 1
; %bb.560:                              ;   in Loop: Header=BB2_130 Depth=2
	s_or_b32 exec_lo, exec_lo, s14
	v_lshrrev_b32_e32 v45, 20, v45
	v_min_i32_e32 v46, 15, v40
	v_cmp_gt_i32_e32 vcc_lo, 16, v40
	v_and_b32_sdwa v44, v44, v85 dst_sel:DWORD dst_unused:UNUSED_PAD src0_sel:BYTE_3 src1_sel:DWORD
	v_lshlrev_b32_e32 v46, 3, v46
	v_cndmask_b32_e32 v45, 7, v45, vcc_lo
	v_and_b32_e32 v46, 0xf8, v46
	v_and_b32_e32 v47, 7, v45
	v_or_b32_e32 v40, v40, v45
	v_or3_b32 v44, v44, v46, v47
	v_cmp_ne_u32_e32 vcc_lo, 0, v40
	v_lshlrev_b32_e32 v44, 8, v44
	v_cndmask_b32_e32 v40, 0, v44, vcc_lo
.LBB2_561:                              ;   in Loop: Header=BB2_130 Depth=2
	s_or_b32 exec_lo, exec_lo, s42
.LBB2_562:                              ;   in Loop: Header=BB2_130 Depth=2
	s_or_b32 exec_lo, exec_lo, s41
	v_or_b32_e32 v118, v118, v114
	s_mov_b32 s14, 0
	v_cmp_gt_i16_sdwa s41, v118, v84 src0_sel:BYTE_0 src1_sel:DWORD
	s_and_saveexec_b32 s42, s41
	s_xor_b32 s41, exec_lo, s42
	s_cbranch_execz .LBB2_752
; %bb.563:                              ;   in Loop: Header=BB2_130 Depth=2
	v_cmp_eq_u16_sdwa s43, v118, v85 src0_sel:BYTE_0 src1_sel:DWORD
	s_mov_b32 s14, -1
	s_and_saveexec_b32 s42, s43
; %bb.564:                              ;   in Loop: Header=BB2_130 Depth=2
	s_xor_b32 s14, exec_lo, -1
; %bb.565:                              ;   in Loop: Header=BB2_130 Depth=2
	s_or_b32 exec_lo, exec_lo, s42
	s_and_b32 s14, s14, exec_lo
	s_or_saveexec_b32 s41, s41
	v_mov_b32_e32 v114, 0x7f800001
	s_xor_b32 exec_lo, exec_lo, s41
	s_cbranch_execnz .LBB2_753
.LBB2_566:                              ;   in Loop: Header=BB2_130 Depth=2
	s_or_b32 exec_lo, exec_lo, s41
	v_lshl_or_b32 v118, v118, 16, v42
	s_and_saveexec_b32 s41, s14
	s_cbranch_execz .LBB2_568
.LBB2_567:                              ;   in Loop: Header=BB2_130 Depth=2
	v_bfe_u32 v114, v118, 16, 3
	v_bfe_u32 v45, v118, 19, 4
	v_lshlrev_b32_e32 v46, 8, v118
	v_ffbh_u32_e32 v42, v114
	v_cmp_eq_u32_e32 vcc_lo, 0, v45
	v_min_u32_e32 v42, 32, v42
	v_subrev_nc_u32_e32 v44, 28, v42
	v_sub_nc_u32_e32 v42, 29, v42
	v_lshlrev_b32_sdwa v44, v44, v118 dst_sel:DWORD dst_unused:UNUSED_PAD src0_sel:DWORD src1_sel:WORD_1
	v_cndmask_b32_e32 v42, v45, v42, vcc_lo
	v_and_b32_e32 v44, 7, v44
	v_lshl_add_u32 v42, v42, 23, 0x3b800000
	v_cndmask_b32_e32 v114, v114, v44, vcc_lo
	v_and_b32_e32 v44, 0x80000000, v46
	v_lshlrev_b32_e32 v114, 20, v114
	v_or3_b32 v114, v44, v42, v114
.LBB2_568:                              ;   in Loop: Header=BB2_130 Depth=2
	s_or_b32 exec_lo, exec_lo, s41
	v_and_b32_sdwa v44, v12, v96 dst_sel:DWORD dst_unused:UNUSED_PAD src0_sel:WORD_1 src1_sel:DWORD
	s_mov_b32 s14, 0
	s_mov_b32 s41, exec_lo
	v_cmpx_lt_i16_e32 0x7f, v44
	s_xor_b32 s41, exec_lo, s41
	s_cbranch_execz .LBB2_754
; %bb.569:                              ;   in Loop: Header=BB2_130 Depth=2
	s_mov_b32 s14, -1
	s_mov_b32 s42, exec_lo
	v_cmpx_eq_u16_e32 0x80, v44
; %bb.570:                              ;   in Loop: Header=BB2_130 Depth=2
	s_xor_b32 s14, exec_lo, -1
; %bb.571:                              ;   in Loop: Header=BB2_130 Depth=2
	s_or_b32 exec_lo, exec_lo, s42
	s_and_b32 s14, s14, exec_lo
                                        ; implicit-def: $vgpr44
	s_or_saveexec_b32 s41, s41
	v_mov_b32_e32 v42, 0x7f800001
	s_xor_b32 exec_lo, exec_lo, s41
	s_cbranch_execnz .LBB2_755
.LBB2_572:                              ;   in Loop: Header=BB2_130 Depth=2
	s_or_b32 exec_lo, exec_lo, s41
	s_and_saveexec_b32 s41, s14
	s_cbranch_execz .LBB2_574
.LBB2_573:                              ;   in Loop: Header=BB2_130 Depth=2
	v_and_b32_sdwa v42, v12, v97 dst_sel:DWORD dst_unused:UNUSED_PAD src0_sel:WORD_1 src1_sel:DWORD
	v_bfe_u32 v46, v12, 19, 4
	v_lshlrev_b32_sdwa v47, v87, v12 dst_sel:DWORD dst_unused:UNUSED_PAD src0_sel:DWORD src1_sel:WORD_1
	v_ffbh_u32_e32 v44, v42
	v_cmp_eq_u32_e32 vcc_lo, 0, v46
	v_min_u32_e32 v44, 32, v44
	v_subrev_nc_u32_e32 v45, 28, v44
	v_sub_nc_u32_e32 v44, 29, v44
	v_lshlrev_b32_sdwa v45, v45, v12 dst_sel:DWORD dst_unused:UNUSED_PAD src0_sel:DWORD src1_sel:WORD_1
	v_cndmask_b32_e32 v44, v46, v44, vcc_lo
	v_and_b32_e32 v45, 7, v45
	v_lshl_add_u32 v44, v44, 23, 0x3b800000
	v_cndmask_b32_e32 v42, v42, v45, vcc_lo
	v_and_b32_e32 v45, 0x80000000, v47
	v_lshlrev_b32_e32 v42, 20, v42
	v_or3_b32 v42, v45, v44, v42
.LBB2_574:                              ;   in Loop: Header=BB2_130 Depth=2
	s_or_b32 exec_lo, exec_lo, s41
	v_add_f32_e32 v42, v114, v42
	v_and_b32_e32 v114, 0x7f800000, v42
	v_cmp_ne_u32_e32 vcc_lo, 0x7f800000, v114
	v_mov_b32_e32 v114, 0x80
	s_and_saveexec_b32 s41, vcc_lo
	s_cbranch_execz .LBB2_582
; %bb.575:                              ;   in Loop: Header=BB2_130 Depth=2
	v_mov_b32_e32 v114, 0
	s_mov_b32 s42, exec_lo
	v_cmpx_ne_u32_e32 0, v42
	s_cbranch_execz .LBB2_581
; %bb.576:                              ;   in Loop: Header=BB2_130 Depth=2
	v_bfe_u32 v114, v42, 23, 8
	v_and_b32_e32 v44, 0x7fffff, v42
	v_sub_nc_u32_e32 v45, 0x78, v114
	v_cmp_gt_u32_e32 vcc_lo, 0x79, v114
	v_or_b32_e32 v46, 0x800000, v44
	v_cndmask_b32_e32 v45, 0, v45, vcc_lo
	v_cmp_eq_u32_e32 vcc_lo, 0, v114
	v_add_nc_u32_e32 v114, 0xffffff89, v114
	v_cndmask_b32_e64 v45, v45, 0x77, vcc_lo
	v_cndmask_b32_e32 v44, v46, v44, vcc_lo
	v_cndmask_b32_e64 v114, v114, 0xffffff8a, vcc_lo
	v_lshl_add_u32 v46, 0x100000, v45, -1
	v_lshrrev_b32_e32 v47, v45, v44
	v_lshlrev_b32_e64 v57, v45, 0x80000
	v_add_nc_u32_e32 v45, v45, v114
	v_and_b32_e32 v44, v46, v44
	v_bfe_u32 v56, v47, 20, 1
	v_cmp_eq_u32_e64 s14, v44, v57
	v_add_nc_u32_e32 v46, -1, v56
	v_cndmask_b32_e64 v44, 0, v46, s14
	v_lshrrev_b32_e32 v46, 23, v47
	s_mov_b32 s14, exec_lo
	v_add_nc_u32_e32 v44, v44, v47
	v_xor_b32_e32 v46, 1, v46
	v_and_b32_e32 v114, 0xfffff, v44
	v_add_nc_u32_e32 v44, v114, v47
                                        ; implicit-def: $vgpr114
	v_cmpx_ne_u32_e64 v45, v46
	s_xor_b32 s14, exec_lo, s14
; %bb.577:                              ;   in Loop: Header=BB2_130 Depth=2
	v_cmp_lt_u32_e32 vcc_lo, 0xffffff, v44
	v_sub_nc_u32_e32 v114, v45, v46
	v_cndmask_b32_e64 v45, 0, 1, vcc_lo
	v_add_co_ci_u32_e64 v114, null, 0, v114, vcc_lo
	v_lshrrev_b32_e32 v44, v45, v44
; %bb.578:                              ;   in Loop: Header=BB2_130 Depth=2
	s_andn2_saveexec_b32 s14, s14
; %bb.579:                              ;   in Loop: Header=BB2_130 Depth=2
	v_bfe_u32 v114, v44, 23, 1
; %bb.580:                              ;   in Loop: Header=BB2_130 Depth=2
	s_or_b32 exec_lo, exec_lo, s14
	v_lshrrev_b32_e32 v44, 20, v44
	v_min_i32_e32 v45, 15, v114
	v_cmp_gt_i32_e32 vcc_lo, 16, v114
	v_and_b32_sdwa v42, v42, v85 dst_sel:DWORD dst_unused:UNUSED_PAD src0_sel:BYTE_3 src1_sel:DWORD
	v_lshlrev_b32_e32 v45, 3, v45
	v_cndmask_b32_e32 v44, 7, v44, vcc_lo
	v_and_b32_e32 v45, 0xf8, v45
	v_and_b32_e32 v46, 7, v44
	v_or_b32_e32 v114, v114, v44
	v_or3_b32 v42, v45, v42, v46
	v_cmp_ne_u32_e32 vcc_lo, 0, v114
	v_cndmask_b32_e32 v114, 0, v42, vcc_lo
.LBB2_581:                              ;   in Loop: Header=BB2_130 Depth=2
	s_or_b32 exec_lo, exec_lo, s42
.LBB2_582:                              ;   in Loop: Header=BB2_130 Depth=2
	s_or_b32 exec_lo, exec_lo, s41
	v_cmp_gt_i16_sdwa s41, v118, v84 src0_sel:BYTE_3 src1_sel:DWORD
	s_mov_b32 s14, 0
	s_and_saveexec_b32 s42, s41
	s_xor_b32 s41, exec_lo, s42
	s_cbranch_execz .LBB2_756
; %bb.583:                              ;   in Loop: Header=BB2_130 Depth=2
	v_cmp_eq_u16_sdwa s43, v118, v85 src0_sel:BYTE_3 src1_sel:DWORD
	s_mov_b32 s14, -1
	s_and_saveexec_b32 s42, s43
; %bb.584:                              ;   in Loop: Header=BB2_130 Depth=2
	s_xor_b32 s14, exec_lo, -1
; %bb.585:                              ;   in Loop: Header=BB2_130 Depth=2
	s_or_b32 exec_lo, exec_lo, s42
	s_and_b32 s14, s14, exec_lo
	s_or_saveexec_b32 s41, s41
	v_mov_b32_e32 v42, 0x7f800001
	s_xor_b32 exec_lo, exec_lo, s41
	s_cbranch_execnz .LBB2_757
.LBB2_586:                              ;   in Loop: Header=BB2_130 Depth=2
	s_or_b32 exec_lo, exec_lo, s41
	s_and_saveexec_b32 s41, s14
	s_cbranch_execz .LBB2_588
.LBB2_587:                              ;   in Loop: Header=BB2_130 Depth=2
	v_bfe_u32 v42, v118, 24, 3
	v_bfe_u32 v46, v118, 27, 4
	v_ffbh_u32_e32 v44, v42
	v_cmp_eq_u32_e32 vcc_lo, 0, v46
	v_min_u32_e32 v44, 32, v44
	v_subrev_nc_u32_e32 v45, 28, v44
	v_sub_nc_u32_e32 v44, 29, v44
	v_lshlrev_b32_sdwa v45, v45, v118 dst_sel:DWORD dst_unused:UNUSED_PAD src0_sel:DWORD src1_sel:BYTE_3
	v_cndmask_b32_e32 v44, v46, v44, vcc_lo
	v_and_b32_e32 v118, 0x80000000, v118
	v_and_b32_e32 v45, 7, v45
	v_lshl_add_u32 v44, v44, 23, 0x3b800000
	v_cndmask_b32_e32 v42, v42, v45, vcc_lo
	v_lshlrev_b32_e32 v42, 20, v42
	v_or3_b32 v42, v118, v44, v42
.LBB2_588:                              ;   in Loop: Header=BB2_130 Depth=2
	s_or_b32 exec_lo, exec_lo, s41
	v_cmp_gt_i16_sdwa s41, v12, v84 src0_sel:BYTE_3 src1_sel:DWORD
	s_mov_b32 s14, 0
	s_and_saveexec_b32 s42, s41
	s_xor_b32 s41, exec_lo, s42
	s_cbranch_execz .LBB2_758
; %bb.589:                              ;   in Loop: Header=BB2_130 Depth=2
	v_cmp_eq_u16_sdwa s43, v12, v85 src0_sel:BYTE_3 src1_sel:DWORD
	s_mov_b32 s14, -1
	s_and_saveexec_b32 s42, s43
; %bb.590:                              ;   in Loop: Header=BB2_130 Depth=2
	s_xor_b32 s14, exec_lo, -1
; %bb.591:                              ;   in Loop: Header=BB2_130 Depth=2
	s_or_b32 exec_lo, exec_lo, s42
	s_and_b32 s14, s14, exec_lo
	s_or_saveexec_b32 s41, s41
	v_mov_b32_e32 v118, 0x7f800001
	s_xor_b32 exec_lo, exec_lo, s41
	s_cbranch_execnz .LBB2_759
.LBB2_592:                              ;   in Loop: Header=BB2_130 Depth=2
	s_or_b32 exec_lo, exec_lo, s41
	s_and_saveexec_b32 s41, s14
	s_cbranch_execz .LBB2_594
.LBB2_593:                              ;   in Loop: Header=BB2_130 Depth=2
	v_and_b32_sdwa v118, v12, v97 dst_sel:DWORD dst_unused:UNUSED_PAD src0_sel:BYTE_3 src1_sel:DWORD
	v_bfe_u32 v46, v12, 27, 4
	v_ffbh_u32_e32 v44, v118
	v_cmp_eq_u32_e32 vcc_lo, 0, v46
	v_min_u32_e32 v44, 32, v44
	v_subrev_nc_u32_e32 v45, 28, v44
	v_sub_nc_u32_e32 v44, 29, v44
	v_lshlrev_b32_sdwa v45, v45, v12 dst_sel:DWORD dst_unused:UNUSED_PAD src0_sel:DWORD src1_sel:BYTE_3
	v_cndmask_b32_e32 v44, v46, v44, vcc_lo
	v_and_b32_e32 v12, 0x80000000, v12
	v_and_b32_e32 v45, 7, v45
	v_lshl_add_u32 v44, v44, 23, 0x3b800000
	v_cndmask_b32_e32 v118, v118, v45, vcc_lo
	v_lshlrev_b32_e32 v118, 20, v118
	v_or3_b32 v118, v12, v44, v118
.LBB2_594:                              ;   in Loop: Header=BB2_130 Depth=2
	s_or_b32 exec_lo, exec_lo, s41
	v_add_f32_e32 v118, v42, v118
	v_and_b32_e32 v12, 0x7f800000, v118
	v_cmp_ne_u32_e32 vcc_lo, 0x7f800000, v12
	v_mov_b32_e32 v12, 0x8000
	s_and_saveexec_b32 s41, vcc_lo
	s_cbranch_execz .LBB2_602
; %bb.595:                              ;   in Loop: Header=BB2_130 Depth=2
	v_mov_b32_e32 v12, 0
	s_mov_b32 s42, exec_lo
	v_cmpx_ne_u32_e32 0, v118
	s_cbranch_execz .LBB2_601
; %bb.596:                              ;   in Loop: Header=BB2_130 Depth=2
	v_bfe_u32 v12, v118, 23, 8
	v_and_b32_e32 v42, 0x7fffff, v118
	v_sub_nc_u32_e32 v44, 0x78, v12
	v_cmp_gt_u32_e32 vcc_lo, 0x79, v12
	v_or_b32_e32 v45, 0x800000, v42
	v_cndmask_b32_e32 v44, 0, v44, vcc_lo
	v_cmp_eq_u32_e32 vcc_lo, 0, v12
	v_add_nc_u32_e32 v12, 0xffffff89, v12
	v_cndmask_b32_e64 v44, v44, 0x77, vcc_lo
	v_cndmask_b32_e32 v42, v45, v42, vcc_lo
	v_cndmask_b32_e64 v12, v12, 0xffffff8a, vcc_lo
	v_lshl_add_u32 v45, 0x100000, v44, -1
	v_lshrrev_b32_e32 v46, v44, v42
	v_lshlrev_b32_e64 v56, v44, 0x80000
	v_add_nc_u32_e32 v44, v44, v12
	v_and_b32_e32 v42, v45, v42
	v_bfe_u32 v47, v46, 20, 1
	v_cmp_eq_u32_e64 s14, v42, v56
	v_add_nc_u32_e32 v45, -1, v47
	v_cndmask_b32_e64 v42, 0, v45, s14
	v_lshrrev_b32_e32 v45, 23, v46
	s_mov_b32 s14, exec_lo
	v_add_nc_u32_e32 v42, v42, v46
	v_xor_b32_e32 v45, 1, v45
	v_and_b32_e32 v12, 0xfffff, v42
	v_add_nc_u32_e32 v42, v12, v46
                                        ; implicit-def: $vgpr12
	v_cmpx_ne_u32_e64 v44, v45
	s_xor_b32 s14, exec_lo, s14
; %bb.597:                              ;   in Loop: Header=BB2_130 Depth=2
	v_cmp_lt_u32_e32 vcc_lo, 0xffffff, v42
	v_sub_nc_u32_e32 v12, v44, v45
	v_cndmask_b32_e64 v44, 0, 1, vcc_lo
	v_add_co_ci_u32_e64 v12, null, 0, v12, vcc_lo
	v_lshrrev_b32_e32 v42, v44, v42
; %bb.598:                              ;   in Loop: Header=BB2_130 Depth=2
	s_andn2_saveexec_b32 s14, s14
; %bb.599:                              ;   in Loop: Header=BB2_130 Depth=2
	v_bfe_u32 v12, v42, 23, 1
; %bb.600:                              ;   in Loop: Header=BB2_130 Depth=2
	s_or_b32 exec_lo, exec_lo, s14
	v_lshrrev_b32_e32 v42, 20, v42
	v_min_i32_e32 v44, 15, v12
	v_cmp_gt_i32_e32 vcc_lo, 16, v12
	v_and_b32_sdwa v118, v118, v85 dst_sel:DWORD dst_unused:UNUSED_PAD src0_sel:BYTE_3 src1_sel:DWORD
	v_lshlrev_b32_e32 v44, 3, v44
	v_cndmask_b32_e32 v42, 7, v42, vcc_lo
	v_and_b32_e32 v44, 0xf8, v44
	v_and_b32_e32 v45, 7, v42
	v_or_b32_e32 v12, v12, v42
	v_or3_b32 v118, v118, v44, v45
	v_cmp_ne_u32_e32 vcc_lo, 0, v12
	v_lshlrev_b32_e32 v118, 8, v118
	v_cndmask_b32_e32 v12, 0, v118, vcc_lo
.LBB2_601:                              ;   in Loop: Header=BB2_130 Depth=2
	s_or_b32 exec_lo, exec_lo, s42
.LBB2_602:                              ;   in Loop: Header=BB2_130 Depth=2
	s_or_b32 exec_lo, exec_lo, s41
	v_or_b32_e32 v115, v115, v103
	s_mov_b32 s14, 0
	v_cmp_gt_i16_sdwa s41, v115, v84 src0_sel:BYTE_0 src1_sel:DWORD
	s_and_saveexec_b32 s42, s41
	s_xor_b32 s41, exec_lo, s42
	s_cbranch_execz .LBB2_760
; %bb.603:                              ;   in Loop: Header=BB2_130 Depth=2
	v_cmp_eq_u16_sdwa s43, v115, v85 src0_sel:BYTE_0 src1_sel:DWORD
	s_mov_b32 s14, -1
	s_and_saveexec_b32 s42, s43
; %bb.604:                              ;   in Loop: Header=BB2_130 Depth=2
	s_xor_b32 s14, exec_lo, -1
; %bb.605:                              ;   in Loop: Header=BB2_130 Depth=2
	s_or_b32 exec_lo, exec_lo, s42
	s_and_b32 s14, s14, exec_lo
	s_or_saveexec_b32 s41, s41
	v_mov_b32_e32 v103, 0x7f800001
	s_xor_b32 exec_lo, exec_lo, s41
	s_cbranch_execnz .LBB2_761
.LBB2_606:                              ;   in Loop: Header=BB2_130 Depth=2
	s_or_b32 exec_lo, exec_lo, s41
	s_and_saveexec_b32 s41, s14
	s_cbranch_execz .LBB2_608
.LBB2_607:                              ;   in Loop: Header=BB2_130 Depth=2
	v_and_b32_e32 v103, 7, v115
	v_bfe_u32 v44, v115, 3, 4
	v_lshlrev_b32_e32 v45, 24, v115
	v_ffbh_u32_e32 v118, v103
	v_cmp_eq_u32_e32 vcc_lo, 0, v44
	v_min_u32_e32 v118, 32, v118
	v_subrev_nc_u32_e32 v42, 28, v118
	v_sub_nc_u32_e32 v118, 29, v118
	v_lshlrev_b32_e32 v42, v42, v115
	v_cndmask_b32_e32 v118, v44, v118, vcc_lo
	v_and_b32_e32 v42, 7, v42
	v_lshl_add_u32 v118, v118, 23, 0x3b800000
	v_cndmask_b32_e32 v103, v103, v42, vcc_lo
	v_and_b32_e32 v42, 0x80000000, v45
	v_lshlrev_b32_e32 v103, 20, v103
	v_or3_b32 v103, v42, v118, v103
.LBB2_608:                              ;   in Loop: Header=BB2_130 Depth=2
	s_or_b32 exec_lo, exec_lo, s41
	v_cmp_gt_i16_sdwa s41, v13, v84 src0_sel:BYTE_0 src1_sel:DWORD
	s_mov_b32 s14, 0
	s_and_saveexec_b32 s42, s41
	s_xor_b32 s41, exec_lo, s42
	s_cbranch_execz .LBB2_762
; %bb.609:                              ;   in Loop: Header=BB2_130 Depth=2
	v_cmp_eq_u16_sdwa s43, v13, v85 src0_sel:BYTE_0 src1_sel:DWORD
	s_mov_b32 s14, -1
	s_and_saveexec_b32 s42, s43
; %bb.610:                              ;   in Loop: Header=BB2_130 Depth=2
	s_xor_b32 s14, exec_lo, -1
; %bb.611:                              ;   in Loop: Header=BB2_130 Depth=2
	s_or_b32 exec_lo, exec_lo, s42
	s_and_b32 s14, s14, exec_lo
	s_or_saveexec_b32 s41, s41
	v_mov_b32_e32 v118, 0x7f800001
	s_xor_b32 exec_lo, exec_lo, s41
	s_cbranch_execnz .LBB2_763
.LBB2_612:                              ;   in Loop: Header=BB2_130 Depth=2
	s_or_b32 exec_lo, exec_lo, s41
	s_and_saveexec_b32 s41, s14
	s_cbranch_execz .LBB2_614
.LBB2_613:                              ;   in Loop: Header=BB2_130 Depth=2
	v_and_b32_e32 v118, 7, v13
	v_bfe_u32 v45, v13, 3, 4
	v_lshlrev_b32_e32 v46, 24, v13
	v_ffbh_u32_e32 v42, v118
	v_cmp_eq_u32_e32 vcc_lo, 0, v45
	v_min_u32_e32 v42, 32, v42
	v_subrev_nc_u32_e32 v44, 28, v42
	v_sub_nc_u32_e32 v42, 29, v42
	v_lshlrev_b32_e32 v44, v44, v13
	v_cndmask_b32_e32 v42, v45, v42, vcc_lo
	v_and_b32_e32 v44, 7, v44
	v_lshl_add_u32 v42, v42, 23, 0x3b800000
	v_cndmask_b32_e32 v118, v118, v44, vcc_lo
	v_and_b32_e32 v44, 0x80000000, v46
	v_lshlrev_b32_e32 v118, 20, v118
	v_or3_b32 v118, v44, v42, v118
.LBB2_614:                              ;   in Loop: Header=BB2_130 Depth=2
	s_or_b32 exec_lo, exec_lo, s41
	v_add_f32_e32 v118, v103, v118
	v_and_b32_e32 v103, 0x7f800000, v118
	v_cmp_ne_u32_e32 vcc_lo, 0x7f800000, v103
	v_mov_b32_e32 v103, 0x80
	s_and_saveexec_b32 s41, vcc_lo
	s_cbranch_execz .LBB2_622
; %bb.615:                              ;   in Loop: Header=BB2_130 Depth=2
	v_mov_b32_e32 v103, 0
	s_mov_b32 s42, exec_lo
	v_cmpx_ne_u32_e32 0, v118
	s_cbranch_execz .LBB2_621
; %bb.616:                              ;   in Loop: Header=BB2_130 Depth=2
	v_bfe_u32 v103, v118, 23, 8
	v_and_b32_e32 v42, 0x7fffff, v118
	v_sub_nc_u32_e32 v44, 0x78, v103
	v_cmp_gt_u32_e32 vcc_lo, 0x79, v103
	v_or_b32_e32 v45, 0x800000, v42
	v_cndmask_b32_e32 v44, 0, v44, vcc_lo
	v_cmp_eq_u32_e32 vcc_lo, 0, v103
	v_add_nc_u32_e32 v103, 0xffffff89, v103
	v_cndmask_b32_e64 v44, v44, 0x77, vcc_lo
	v_cndmask_b32_e32 v42, v45, v42, vcc_lo
	v_cndmask_b32_e64 v103, v103, 0xffffff8a, vcc_lo
	v_lshl_add_u32 v45, 0x100000, v44, -1
	v_lshrrev_b32_e32 v46, v44, v42
	v_lshlrev_b32_e64 v56, v44, 0x80000
	v_add_nc_u32_e32 v44, v44, v103
	v_and_b32_e32 v42, v45, v42
	v_bfe_u32 v47, v46, 20, 1
	v_cmp_eq_u32_e64 s14, v42, v56
	v_add_nc_u32_e32 v45, -1, v47
	v_cndmask_b32_e64 v42, 0, v45, s14
	v_lshrrev_b32_e32 v45, 23, v46
	s_mov_b32 s14, exec_lo
	v_add_nc_u32_e32 v42, v42, v46
	v_xor_b32_e32 v45, 1, v45
	v_and_b32_e32 v103, 0xfffff, v42
	v_add_nc_u32_e32 v42, v103, v46
                                        ; implicit-def: $vgpr103
	v_cmpx_ne_u32_e64 v44, v45
	s_xor_b32 s14, exec_lo, s14
; %bb.617:                              ;   in Loop: Header=BB2_130 Depth=2
	v_cmp_lt_u32_e32 vcc_lo, 0xffffff, v42
	v_sub_nc_u32_e32 v103, v44, v45
	v_cndmask_b32_e64 v44, 0, 1, vcc_lo
	v_add_co_ci_u32_e64 v103, null, 0, v103, vcc_lo
	v_lshrrev_b32_e32 v42, v44, v42
; %bb.618:                              ;   in Loop: Header=BB2_130 Depth=2
	s_andn2_saveexec_b32 s14, s14
; %bb.619:                              ;   in Loop: Header=BB2_130 Depth=2
	v_bfe_u32 v103, v42, 23, 1
; %bb.620:                              ;   in Loop: Header=BB2_130 Depth=2
	s_or_b32 exec_lo, exec_lo, s14
	v_lshrrev_b32_e32 v42, 20, v42
	v_min_i32_e32 v44, 15, v103
	v_cmp_gt_i32_e32 vcc_lo, 16, v103
	v_and_b32_sdwa v118, v118, v85 dst_sel:DWORD dst_unused:UNUSED_PAD src0_sel:BYTE_3 src1_sel:DWORD
	v_lshlrev_b32_e32 v44, 3, v44
	v_cndmask_b32_e32 v42, 7, v42, vcc_lo
	v_and_b32_e32 v44, 0xf8, v44
	v_and_b32_e32 v45, 7, v42
	v_or_b32_e32 v103, v103, v42
	v_or3_b32 v118, v44, v118, v45
	v_cmp_ne_u32_e32 vcc_lo, 0, v103
	v_cndmask_b32_e32 v103, 0, v118, vcc_lo
.LBB2_621:                              ;   in Loop: Header=BB2_130 Depth=2
	s_or_b32 exec_lo, exec_lo, s42
.LBB2_622:                              ;   in Loop: Header=BB2_130 Depth=2
	s_or_b32 exec_lo, exec_lo, s41
	v_cmp_gt_i16_sdwa s41, v115, v84 src0_sel:BYTE_1 src1_sel:DWORD
	s_mov_b32 s14, 0
	s_and_saveexec_b32 s42, s41
	s_xor_b32 s41, exec_lo, s42
	s_cbranch_execz .LBB2_764
; %bb.623:                              ;   in Loop: Header=BB2_130 Depth=2
	v_cmp_eq_u16_sdwa s43, v115, v85 src0_sel:BYTE_1 src1_sel:DWORD
	s_mov_b32 s14, -1
	s_and_saveexec_b32 s42, s43
; %bb.624:                              ;   in Loop: Header=BB2_130 Depth=2
	s_xor_b32 s14, exec_lo, -1
; %bb.625:                              ;   in Loop: Header=BB2_130 Depth=2
	s_or_b32 exec_lo, exec_lo, s42
	s_and_b32 s14, s14, exec_lo
	s_or_saveexec_b32 s41, s41
	v_mov_b32_e32 v118, 0x7f800001
	s_xor_b32 exec_lo, exec_lo, s41
	s_cbranch_execnz .LBB2_765
.LBB2_626:                              ;   in Loop: Header=BB2_130 Depth=2
	s_or_b32 exec_lo, exec_lo, s41
	s_and_saveexec_b32 s41, s14
	s_cbranch_execz .LBB2_628
.LBB2_627:                              ;   in Loop: Header=BB2_130 Depth=2
	v_and_b32_sdwa v118, v86, v115 dst_sel:DWORD dst_unused:UNUSED_PAD src0_sel:DWORD src1_sel:BYTE_1
	v_and_b32_e32 v42, 7, v118
	v_bfe_u32 v46, v118, 3, 4
	v_ffbh_u32_e32 v44, v42
	v_cmp_eq_u32_e32 vcc_lo, 0, v46
	v_min_u32_e32 v44, 32, v44
	v_subrev_nc_u32_e32 v45, 28, v44
	v_sub_nc_u32_e32 v44, 29, v44
	v_lshlrev_b32_e32 v118, v45, v118
	v_lshlrev_b32_sdwa v45, v87, v115 dst_sel:DWORD dst_unused:UNUSED_PAD src0_sel:DWORD src1_sel:BYTE_1
	v_cndmask_b32_e32 v44, v46, v44, vcc_lo
	v_and_b32_e32 v118, 7, v118
	v_lshl_add_u32 v44, v44, 23, 0x3b800000
	v_cndmask_b32_e32 v118, v42, v118, vcc_lo
	v_and_b32_e32 v42, 0x80000000, v45
	v_lshlrev_b32_e32 v118, 20, v118
	v_or3_b32 v118, v42, v44, v118
.LBB2_628:                              ;   in Loop: Header=BB2_130 Depth=2
	s_or_b32 exec_lo, exec_lo, s41
	v_cmp_gt_i16_sdwa s41, v13, v84 src0_sel:BYTE_1 src1_sel:DWORD
	s_mov_b32 s14, 0
	s_and_saveexec_b32 s42, s41
	s_xor_b32 s41, exec_lo, s42
	s_cbranch_execz .LBB2_766
; %bb.629:                              ;   in Loop: Header=BB2_130 Depth=2
	v_cmp_eq_u16_sdwa s43, v13, v85 src0_sel:BYTE_1 src1_sel:DWORD
	s_mov_b32 s14, -1
	s_and_saveexec_b32 s42, s43
; %bb.630:                              ;   in Loop: Header=BB2_130 Depth=2
	s_xor_b32 s14, exec_lo, -1
; %bb.631:                              ;   in Loop: Header=BB2_130 Depth=2
	s_or_b32 exec_lo, exec_lo, s42
	s_and_b32 s14, s14, exec_lo
	s_or_saveexec_b32 s41, s41
	v_mov_b32_e32 v42, 0x7f800001
	s_xor_b32 exec_lo, exec_lo, s41
	s_cbranch_execnz .LBB2_767
.LBB2_632:                              ;   in Loop: Header=BB2_130 Depth=2
	s_or_b32 exec_lo, exec_lo, s41
	s_and_saveexec_b32 s41, s14
	s_cbranch_execz .LBB2_634
.LBB2_633:                              ;   in Loop: Header=BB2_130 Depth=2
	v_and_b32_sdwa v42, v86, v13 dst_sel:DWORD dst_unused:UNUSED_PAD src0_sel:DWORD src1_sel:BYTE_1
	v_and_b32_e32 v44, 7, v42
	v_bfe_u32 v47, v42, 3, 4
	v_ffbh_u32_e32 v45, v44
	v_cmp_eq_u32_e32 vcc_lo, 0, v47
	v_min_u32_e32 v45, 32, v45
	v_subrev_nc_u32_e32 v46, 28, v45
	v_sub_nc_u32_e32 v45, 29, v45
	v_lshlrev_b32_e32 v42, v46, v42
	v_lshlrev_b32_sdwa v46, v87, v13 dst_sel:DWORD dst_unused:UNUSED_PAD src0_sel:DWORD src1_sel:BYTE_1
	v_cndmask_b32_e32 v45, v47, v45, vcc_lo
	v_and_b32_e32 v42, 7, v42
	v_lshl_add_u32 v45, v45, 23, 0x3b800000
	v_cndmask_b32_e32 v42, v44, v42, vcc_lo
	v_and_b32_e32 v44, 0x80000000, v46
	v_lshlrev_b32_e32 v42, 20, v42
	v_or3_b32 v42, v44, v45, v42
.LBB2_634:                              ;   in Loop: Header=BB2_130 Depth=2
	s_or_b32 exec_lo, exec_lo, s41
	v_add_f32_e32 v42, v118, v42
	v_and_b32_e32 v118, 0x7f800000, v42
	v_cmp_ne_u32_e32 vcc_lo, 0x7f800000, v118
	v_mov_b32_e32 v118, 0x8000
	s_and_saveexec_b32 s41, vcc_lo
	s_cbranch_execz .LBB2_642
; %bb.635:                              ;   in Loop: Header=BB2_130 Depth=2
	v_mov_b32_e32 v118, 0
	s_mov_b32 s42, exec_lo
	v_cmpx_ne_u32_e32 0, v42
	s_cbranch_execz .LBB2_641
; %bb.636:                              ;   in Loop: Header=BB2_130 Depth=2
	v_bfe_u32 v118, v42, 23, 8
	v_and_b32_e32 v44, 0x7fffff, v42
	v_sub_nc_u32_e32 v45, 0x78, v118
	v_cmp_gt_u32_e32 vcc_lo, 0x79, v118
	v_or_b32_e32 v46, 0x800000, v44
	v_cndmask_b32_e32 v45, 0, v45, vcc_lo
	v_cmp_eq_u32_e32 vcc_lo, 0, v118
	v_add_nc_u32_e32 v118, 0xffffff89, v118
	v_cndmask_b32_e64 v45, v45, 0x77, vcc_lo
	v_cndmask_b32_e32 v44, v46, v44, vcc_lo
	v_cndmask_b32_e64 v118, v118, 0xffffff8a, vcc_lo
	v_lshl_add_u32 v46, 0x100000, v45, -1
	v_lshrrev_b32_e32 v47, v45, v44
	v_lshlrev_b32_e64 v57, v45, 0x80000
	v_add_nc_u32_e32 v45, v45, v118
	v_and_b32_e32 v44, v46, v44
	v_bfe_u32 v56, v47, 20, 1
	v_cmp_eq_u32_e64 s14, v44, v57
	v_add_nc_u32_e32 v46, -1, v56
	v_cndmask_b32_e64 v44, 0, v46, s14
	v_lshrrev_b32_e32 v46, 23, v47
	s_mov_b32 s14, exec_lo
	v_add_nc_u32_e32 v44, v44, v47
	v_xor_b32_e32 v46, 1, v46
	v_and_b32_e32 v118, 0xfffff, v44
	v_add_nc_u32_e32 v44, v118, v47
                                        ; implicit-def: $vgpr118
	v_cmpx_ne_u32_e64 v45, v46
	s_xor_b32 s14, exec_lo, s14
; %bb.637:                              ;   in Loop: Header=BB2_130 Depth=2
	v_cmp_lt_u32_e32 vcc_lo, 0xffffff, v44
	v_sub_nc_u32_e32 v118, v45, v46
	v_cndmask_b32_e64 v45, 0, 1, vcc_lo
	v_add_co_ci_u32_e64 v118, null, 0, v118, vcc_lo
	v_lshrrev_b32_e32 v44, v45, v44
; %bb.638:                              ;   in Loop: Header=BB2_130 Depth=2
	s_andn2_saveexec_b32 s14, s14
; %bb.639:                              ;   in Loop: Header=BB2_130 Depth=2
	v_bfe_u32 v118, v44, 23, 1
; %bb.640:                              ;   in Loop: Header=BB2_130 Depth=2
	s_or_b32 exec_lo, exec_lo, s14
	v_lshrrev_b32_e32 v44, 20, v44
	v_min_i32_e32 v45, 15, v118
	v_cmp_gt_i32_e32 vcc_lo, 16, v118
	v_and_b32_sdwa v42, v42, v85 dst_sel:DWORD dst_unused:UNUSED_PAD src0_sel:BYTE_3 src1_sel:DWORD
	v_lshlrev_b32_e32 v45, 3, v45
	v_cndmask_b32_e32 v44, 7, v44, vcc_lo
	v_and_b32_e32 v45, 0xf8, v45
	v_and_b32_e32 v46, 7, v44
	v_or_b32_e32 v118, v118, v44
	v_or3_b32 v42, v42, v45, v46
	v_cmp_ne_u32_e32 vcc_lo, 0, v118
	v_lshlrev_b32_e32 v42, 8, v42
	v_cndmask_b32_e32 v118, 0, v42, vcc_lo
.LBB2_641:                              ;   in Loop: Header=BB2_130 Depth=2
	s_or_b32 exec_lo, exec_lo, s42
.LBB2_642:                              ;   in Loop: Header=BB2_130 Depth=2
	s_or_b32 exec_lo, exec_lo, s41
	v_or_b32_e32 v113, v113, v102
	s_mov_b32 s14, 0
	v_cmp_gt_i16_sdwa s41, v113, v84 src0_sel:BYTE_0 src1_sel:DWORD
	s_and_saveexec_b32 s42, s41
	s_xor_b32 s41, exec_lo, s42
	s_cbranch_execz .LBB2_768
; %bb.643:                              ;   in Loop: Header=BB2_130 Depth=2
	v_cmp_eq_u16_sdwa s43, v113, v85 src0_sel:BYTE_0 src1_sel:DWORD
	s_mov_b32 s14, -1
	s_and_saveexec_b32 s42, s43
; %bb.644:                              ;   in Loop: Header=BB2_130 Depth=2
	s_xor_b32 s14, exec_lo, -1
; %bb.645:                              ;   in Loop: Header=BB2_130 Depth=2
	s_or_b32 exec_lo, exec_lo, s42
	s_and_b32 s14, s14, exec_lo
	s_or_saveexec_b32 s41, s41
	v_mov_b32_e32 v102, 0x7f800001
	s_xor_b32 exec_lo, exec_lo, s41
	s_cbranch_execnz .LBB2_769
.LBB2_646:                              ;   in Loop: Header=BB2_130 Depth=2
	s_or_b32 exec_lo, exec_lo, s41
	v_lshl_or_b32 v113, v113, 16, v115
	s_and_saveexec_b32 s41, s14
	s_cbranch_execz .LBB2_648
.LBB2_647:                              ;   in Loop: Header=BB2_130 Depth=2
	v_bfe_u32 v102, v113, 16, 3
	v_bfe_u32 v44, v113, 19, 4
	v_lshlrev_b32_e32 v45, 8, v113
	v_ffbh_u32_e32 v115, v102
	v_cmp_eq_u32_e32 vcc_lo, 0, v44
	v_min_u32_e32 v115, 32, v115
	v_subrev_nc_u32_e32 v42, 28, v115
	v_sub_nc_u32_e32 v115, 29, v115
	v_lshlrev_b32_sdwa v42, v42, v113 dst_sel:DWORD dst_unused:UNUSED_PAD src0_sel:DWORD src1_sel:WORD_1
	v_cndmask_b32_e32 v115, v44, v115, vcc_lo
	v_and_b32_e32 v42, 7, v42
	v_lshl_add_u32 v115, v115, 23, 0x3b800000
	v_cndmask_b32_e32 v102, v102, v42, vcc_lo
	v_and_b32_e32 v42, 0x80000000, v45
	v_lshlrev_b32_e32 v102, 20, v102
	v_or3_b32 v102, v42, v115, v102
.LBB2_648:                              ;   in Loop: Header=BB2_130 Depth=2
	s_or_b32 exec_lo, exec_lo, s41
	v_and_b32_sdwa v42, v13, v96 dst_sel:DWORD dst_unused:UNUSED_PAD src0_sel:WORD_1 src1_sel:DWORD
	s_mov_b32 s14, 0
	s_mov_b32 s41, exec_lo
	v_cmpx_lt_i16_e32 0x7f, v42
	s_xor_b32 s41, exec_lo, s41
	s_cbranch_execz .LBB2_770
; %bb.649:                              ;   in Loop: Header=BB2_130 Depth=2
	s_mov_b32 s14, -1
	s_mov_b32 s42, exec_lo
	v_cmpx_eq_u16_e32 0x80, v42
; %bb.650:                              ;   in Loop: Header=BB2_130 Depth=2
	s_xor_b32 s14, exec_lo, -1
; %bb.651:                              ;   in Loop: Header=BB2_130 Depth=2
	s_or_b32 exec_lo, exec_lo, s42
	s_and_b32 s14, s14, exec_lo
                                        ; implicit-def: $vgpr42
	s_or_saveexec_b32 s41, s41
	v_mov_b32_e32 v115, 0x7f800001
	s_xor_b32 exec_lo, exec_lo, s41
	s_cbranch_execnz .LBB2_771
.LBB2_652:                              ;   in Loop: Header=BB2_130 Depth=2
	s_or_b32 exec_lo, exec_lo, s41
	s_and_saveexec_b32 s41, s14
	s_cbranch_execz .LBB2_654
.LBB2_653:                              ;   in Loop: Header=BB2_130 Depth=2
	v_and_b32_sdwa v115, v13, v97 dst_sel:DWORD dst_unused:UNUSED_PAD src0_sel:WORD_1 src1_sel:DWORD
	v_bfe_u32 v45, v13, 19, 4
	v_lshlrev_b32_sdwa v46, v87, v13 dst_sel:DWORD dst_unused:UNUSED_PAD src0_sel:DWORD src1_sel:WORD_1
	v_ffbh_u32_e32 v42, v115
	v_cmp_eq_u32_e32 vcc_lo, 0, v45
	v_min_u32_e32 v42, 32, v42
	v_subrev_nc_u32_e32 v44, 28, v42
	v_sub_nc_u32_e32 v42, 29, v42
	v_lshlrev_b32_sdwa v44, v44, v13 dst_sel:DWORD dst_unused:UNUSED_PAD src0_sel:DWORD src1_sel:WORD_1
	v_cndmask_b32_e32 v42, v45, v42, vcc_lo
	v_and_b32_e32 v44, 7, v44
	v_lshl_add_u32 v42, v42, 23, 0x3b800000
	v_cndmask_b32_e32 v115, v115, v44, vcc_lo
	v_and_b32_e32 v44, 0x80000000, v46
	v_lshlrev_b32_e32 v115, 20, v115
	v_or3_b32 v115, v44, v42, v115
.LBB2_654:                              ;   in Loop: Header=BB2_130 Depth=2
	s_or_b32 exec_lo, exec_lo, s41
	v_add_f32_e32 v115, v102, v115
	v_and_b32_e32 v102, 0x7f800000, v115
	v_cmp_ne_u32_e32 vcc_lo, 0x7f800000, v102
	v_mov_b32_e32 v102, 0x80
	s_and_saveexec_b32 s41, vcc_lo
	s_cbranch_execz .LBB2_662
; %bb.655:                              ;   in Loop: Header=BB2_130 Depth=2
	v_mov_b32_e32 v102, 0
	s_mov_b32 s42, exec_lo
	v_cmpx_ne_u32_e32 0, v115
	s_cbranch_execz .LBB2_661
; %bb.656:                              ;   in Loop: Header=BB2_130 Depth=2
	v_bfe_u32 v102, v115, 23, 8
	v_and_b32_e32 v42, 0x7fffff, v115
	v_sub_nc_u32_e32 v44, 0x78, v102
	v_cmp_gt_u32_e32 vcc_lo, 0x79, v102
	v_or_b32_e32 v45, 0x800000, v42
	v_cndmask_b32_e32 v44, 0, v44, vcc_lo
	v_cmp_eq_u32_e32 vcc_lo, 0, v102
	v_add_nc_u32_e32 v102, 0xffffff89, v102
	v_cndmask_b32_e64 v44, v44, 0x77, vcc_lo
	v_cndmask_b32_e32 v42, v45, v42, vcc_lo
	v_cndmask_b32_e64 v102, v102, 0xffffff8a, vcc_lo
	v_lshl_add_u32 v45, 0x100000, v44, -1
	v_lshrrev_b32_e32 v46, v44, v42
	v_lshlrev_b32_e64 v56, v44, 0x80000
	v_add_nc_u32_e32 v44, v44, v102
	v_and_b32_e32 v42, v45, v42
	v_bfe_u32 v47, v46, 20, 1
	v_cmp_eq_u32_e64 s14, v42, v56
	v_add_nc_u32_e32 v45, -1, v47
	v_cndmask_b32_e64 v42, 0, v45, s14
	v_lshrrev_b32_e32 v45, 23, v46
	s_mov_b32 s14, exec_lo
	v_add_nc_u32_e32 v42, v42, v46
	v_xor_b32_e32 v45, 1, v45
	v_and_b32_e32 v102, 0xfffff, v42
	v_add_nc_u32_e32 v42, v102, v46
                                        ; implicit-def: $vgpr102
	v_cmpx_ne_u32_e64 v44, v45
	s_xor_b32 s14, exec_lo, s14
; %bb.657:                              ;   in Loop: Header=BB2_130 Depth=2
	v_cmp_lt_u32_e32 vcc_lo, 0xffffff, v42
	v_sub_nc_u32_e32 v102, v44, v45
	v_cndmask_b32_e64 v44, 0, 1, vcc_lo
	v_add_co_ci_u32_e64 v102, null, 0, v102, vcc_lo
	v_lshrrev_b32_e32 v42, v44, v42
; %bb.658:                              ;   in Loop: Header=BB2_130 Depth=2
	s_andn2_saveexec_b32 s14, s14
; %bb.659:                              ;   in Loop: Header=BB2_130 Depth=2
	v_bfe_u32 v102, v42, 23, 1
; %bb.660:                              ;   in Loop: Header=BB2_130 Depth=2
	s_or_b32 exec_lo, exec_lo, s14
	v_lshrrev_b32_e32 v42, 20, v42
	v_min_i32_e32 v44, 15, v102
	v_cmp_gt_i32_e32 vcc_lo, 16, v102
	v_and_b32_sdwa v115, v115, v85 dst_sel:DWORD dst_unused:UNUSED_PAD src0_sel:BYTE_3 src1_sel:DWORD
	v_lshlrev_b32_e32 v44, 3, v44
	v_cndmask_b32_e32 v42, 7, v42, vcc_lo
	v_and_b32_e32 v44, 0xf8, v44
	v_and_b32_e32 v45, 7, v42
	v_or_b32_e32 v102, v102, v42
	v_or3_b32 v115, v44, v115, v45
	v_cmp_ne_u32_e32 vcc_lo, 0, v102
	v_cndmask_b32_e32 v102, 0, v115, vcc_lo
.LBB2_661:                              ;   in Loop: Header=BB2_130 Depth=2
	s_or_b32 exec_lo, exec_lo, s42
.LBB2_662:                              ;   in Loop: Header=BB2_130 Depth=2
	s_or_b32 exec_lo, exec_lo, s41
	v_cmp_gt_i16_sdwa s41, v113, v84 src0_sel:BYTE_3 src1_sel:DWORD
	s_mov_b32 s14, 0
	s_and_saveexec_b32 s42, s41
	s_xor_b32 s41, exec_lo, s42
	s_cbranch_execz .LBB2_772
; %bb.663:                              ;   in Loop: Header=BB2_130 Depth=2
	v_cmp_eq_u16_sdwa s43, v113, v85 src0_sel:BYTE_3 src1_sel:DWORD
	s_mov_b32 s14, -1
	s_and_saveexec_b32 s42, s43
; %bb.664:                              ;   in Loop: Header=BB2_130 Depth=2
	s_xor_b32 s14, exec_lo, -1
; %bb.665:                              ;   in Loop: Header=BB2_130 Depth=2
	s_or_b32 exec_lo, exec_lo, s42
	s_and_b32 s14, s14, exec_lo
	s_or_saveexec_b32 s41, s41
	v_mov_b32_e32 v115, 0x7f800001
	s_xor_b32 exec_lo, exec_lo, s41
	s_cbranch_execnz .LBB2_773
.LBB2_666:                              ;   in Loop: Header=BB2_130 Depth=2
	s_or_b32 exec_lo, exec_lo, s41
	s_and_saveexec_b32 s41, s14
	s_cbranch_execz .LBB2_668
.LBB2_667:                              ;   in Loop: Header=BB2_130 Depth=2
	v_bfe_u32 v115, v113, 24, 3
	v_bfe_u32 v45, v113, 27, 4
	v_ffbh_u32_e32 v42, v115
	v_cmp_eq_u32_e32 vcc_lo, 0, v45
	v_min_u32_e32 v42, 32, v42
	v_subrev_nc_u32_e32 v44, 28, v42
	v_sub_nc_u32_e32 v42, 29, v42
	v_lshlrev_b32_sdwa v44, v44, v113 dst_sel:DWORD dst_unused:UNUSED_PAD src0_sel:DWORD src1_sel:BYTE_3
	v_cndmask_b32_e32 v42, v45, v42, vcc_lo
	v_and_b32_e32 v113, 0x80000000, v113
	v_and_b32_e32 v44, 7, v44
	v_lshl_add_u32 v42, v42, 23, 0x3b800000
	v_cndmask_b32_e32 v115, v115, v44, vcc_lo
	v_lshlrev_b32_e32 v115, 20, v115
	v_or3_b32 v115, v113, v42, v115
.LBB2_668:                              ;   in Loop: Header=BB2_130 Depth=2
	s_or_b32 exec_lo, exec_lo, s41
	v_cmp_gt_i16_sdwa s41, v13, v84 src0_sel:BYTE_3 src1_sel:DWORD
	s_mov_b32 s14, 0
	s_and_saveexec_b32 s42, s41
	s_xor_b32 s41, exec_lo, s42
	s_cbranch_execz .LBB2_774
; %bb.669:                              ;   in Loop: Header=BB2_130 Depth=2
	v_cmp_eq_u16_sdwa s43, v13, v85 src0_sel:BYTE_3 src1_sel:DWORD
	s_mov_b32 s14, -1
	s_and_saveexec_b32 s42, s43
; %bb.670:                              ;   in Loop: Header=BB2_130 Depth=2
	s_xor_b32 s14, exec_lo, -1
; %bb.671:                              ;   in Loop: Header=BB2_130 Depth=2
	s_or_b32 exec_lo, exec_lo, s42
	s_and_b32 s14, s14, exec_lo
	s_or_saveexec_b32 s41, s41
	v_mov_b32_e32 v113, 0x7f800001
	s_xor_b32 exec_lo, exec_lo, s41
	s_cbranch_execnz .LBB2_775
.LBB2_672:                              ;   in Loop: Header=BB2_130 Depth=2
	s_or_b32 exec_lo, exec_lo, s41
	s_and_saveexec_b32 s41, s14
	s_cbranch_execz .LBB2_674
.LBB2_673:                              ;   in Loop: Header=BB2_130 Depth=2
	v_and_b32_sdwa v113, v13, v97 dst_sel:DWORD dst_unused:UNUSED_PAD src0_sel:BYTE_3 src1_sel:DWORD
	v_bfe_u32 v45, v13, 27, 4
	v_ffbh_u32_e32 v42, v113
	v_cmp_eq_u32_e32 vcc_lo, 0, v45
	v_min_u32_e32 v42, 32, v42
	v_subrev_nc_u32_e32 v44, 28, v42
	v_sub_nc_u32_e32 v42, 29, v42
	v_lshlrev_b32_sdwa v44, v44, v13 dst_sel:DWORD dst_unused:UNUSED_PAD src0_sel:DWORD src1_sel:BYTE_3
	v_cndmask_b32_e32 v42, v45, v42, vcc_lo
	v_and_b32_e32 v13, 0x80000000, v13
	v_and_b32_e32 v44, 7, v44
	v_lshl_add_u32 v42, v42, 23, 0x3b800000
	v_cndmask_b32_e32 v113, v113, v44, vcc_lo
	v_lshlrev_b32_e32 v113, 20, v113
	v_or3_b32 v113, v13, v42, v113
.LBB2_674:                              ;   in Loop: Header=BB2_130 Depth=2
	s_or_b32 exec_lo, exec_lo, s41
	v_add_f32_e32 v13, v115, v113
	v_and_b32_e32 v113, 0x7f800000, v13
	v_cmp_ne_u32_e32 vcc_lo, 0x7f800000, v113
	v_mov_b32_e32 v113, 0x8000
	s_and_saveexec_b32 s41, vcc_lo
	s_cbranch_execz .LBB2_129
; %bb.675:                              ;   in Loop: Header=BB2_130 Depth=2
	v_mov_b32_e32 v113, 0
	s_mov_b32 s42, exec_lo
	v_cmpx_ne_u32_e32 0, v13
	s_cbranch_execz .LBB2_128
; %bb.676:                              ;   in Loop: Header=BB2_130 Depth=2
	v_bfe_u32 v113, v13, 23, 8
	v_and_b32_e32 v115, 0x7fffff, v13
	v_sub_nc_u32_e32 v42, 0x78, v113
	v_cmp_gt_u32_e32 vcc_lo, 0x79, v113
	v_or_b32_e32 v44, 0x800000, v115
	v_cndmask_b32_e32 v42, 0, v42, vcc_lo
	v_cmp_eq_u32_e32 vcc_lo, 0, v113
	v_add_nc_u32_e32 v113, 0xffffff89, v113
	v_cndmask_b32_e64 v42, v42, 0x77, vcc_lo
	v_cndmask_b32_e32 v115, v44, v115, vcc_lo
	v_cndmask_b32_e64 v113, v113, 0xffffff8a, vcc_lo
	v_lshl_add_u32 v44, 0x100000, v42, -1
	v_lshrrev_b32_e32 v45, v42, v115
	v_lshlrev_b32_e64 v47, v42, 0x80000
	v_add_nc_u32_e32 v42, v42, v113
	v_and_b32_e32 v115, v44, v115
	v_bfe_u32 v46, v45, 20, 1
	v_cmp_eq_u32_e64 s14, v115, v47
	v_add_nc_u32_e32 v44, -1, v46
	v_cndmask_b32_e64 v115, 0, v44, s14
	v_lshrrev_b32_e32 v44, 23, v45
	s_mov_b32 s14, exec_lo
	v_add_nc_u32_e32 v115, v115, v45
	v_xor_b32_e32 v44, 1, v44
	v_and_b32_e32 v113, 0xfffff, v115
	v_add_nc_u32_e32 v115, v113, v45
                                        ; implicit-def: $vgpr113
	v_cmpx_ne_u32_e64 v42, v44
	s_xor_b32 s14, exec_lo, s14
; %bb.677:                              ;   in Loop: Header=BB2_130 Depth=2
	v_cmp_lt_u32_e32 vcc_lo, 0xffffff, v115
	v_sub_nc_u32_e32 v113, v42, v44
	v_cndmask_b32_e64 v42, 0, 1, vcc_lo
	v_add_co_ci_u32_e64 v113, null, 0, v113, vcc_lo
	v_lshrrev_b32_e32 v115, v42, v115
; %bb.678:                              ;   in Loop: Header=BB2_130 Depth=2
	s_andn2_saveexec_b32 s14, s14
	s_cbranch_execz .LBB2_127
; %bb.679:                              ;   in Loop: Header=BB2_130 Depth=2
	v_bfe_u32 v113, v115, 23, 1
	s_branch .LBB2_127
.LBB2_680:                              ;   in Loop: Header=BB2_130 Depth=2
	s_or_saveexec_b32 s42, s42
	v_mov_b32_e32 v101, 0x7f800001
	s_xor_b32 exec_lo, exec_lo, s42
	s_cbranch_execz .LBB2_142
.LBB2_681:                              ;   in Loop: Header=BB2_130 Depth=2
	v_cmp_ne_u16_sdwa s43, v10, v32 src0_sel:BYTE_0 src1_sel:DWORD
	v_mov_b32_e32 v101, 0
	s_andn2_b32 s14, s14, exec_lo
	s_and_b32 s43, s43, exec_lo
	s_or_b32 s14, s14, s43
	s_or_b32 exec_lo, exec_lo, s42
	s_and_saveexec_b32 s42, s14
	s_cbranch_execnz .LBB2_143
	s_branch .LBB2_144
.LBB2_682:                              ;   in Loop: Header=BB2_130 Depth=2
	s_or_saveexec_b32 s42, s42
	v_mov_b32_e32 v102, 0x7f800001
	s_xor_b32 exec_lo, exec_lo, s42
	s_cbranch_execz .LBB2_156
.LBB2_683:                              ;   in Loop: Header=BB2_130 Depth=2
	v_cmp_ne_u16_sdwa s43, v10, v32 src0_sel:BYTE_1 src1_sel:DWORD
	v_mov_b32_e32 v102, 0
	s_andn2_b32 s14, s14, exec_lo
	s_and_b32 s43, s43, exec_lo
	s_or_b32 s14, s14, s43
	s_or_b32 exec_lo, exec_lo, s42
	s_and_saveexec_b32 s42, s14
	s_cbranch_execnz .LBB2_157
	s_branch .LBB2_158
.LBB2_684:                              ;   in Loop: Header=BB2_130 Depth=2
	s_or_saveexec_b32 s42, s42
	v_mov_b32_e32 v102, 0x7f800001
	s_xor_b32 exec_lo, exec_lo, s42
	s_cbranch_execz .LBB2_170
.LBB2_685:                              ;   in Loop: Header=BB2_130 Depth=2
	v_cmp_ne_u16_e32 vcc_lo, 0, v103
	v_mov_b32_e32 v102, 0
	s_andn2_b32 s14, s14, exec_lo
	s_and_b32 s43, vcc_lo, exec_lo
	s_or_b32 s14, s14, s43
	s_or_b32 exec_lo, exec_lo, s42
	s_and_saveexec_b32 s42, s14
	s_cbranch_execnz .LBB2_171
	s_branch .LBB2_172
.LBB2_686:                              ;   in Loop: Header=BB2_130 Depth=2
	s_or_saveexec_b32 s42, s42
	v_mov_b32_e32 v102, 0x7f800001
	s_xor_b32 exec_lo, exec_lo, s42
	s_cbranch_execz .LBB2_184
.LBB2_687:                              ;   in Loop: Header=BB2_130 Depth=2
	v_cmp_ne_u16_sdwa s43, v10, v32 src0_sel:BYTE_3 src1_sel:DWORD
	v_mov_b32_e32 v102, 0
	s_andn2_b32 s14, s14, exec_lo
	s_and_b32 s43, s43, exec_lo
	s_or_b32 s14, s14, s43
	s_or_b32 exec_lo, exec_lo, s42
	s_and_saveexec_b32 s42, s14
	s_cbranch_execnz .LBB2_185
	s_branch .LBB2_186
.LBB2_688:                              ;   in Loop: Header=BB2_130 Depth=2
	s_or_saveexec_b32 s42, s42
	v_mov_b32_e32 v10, 0x7f800001
	s_xor_b32 exec_lo, exec_lo, s42
	s_cbranch_execz .LBB2_198
.LBB2_689:                              ;   in Loop: Header=BB2_130 Depth=2
	v_cmp_ne_u16_sdwa s43, v11, v32 src0_sel:BYTE_0 src1_sel:DWORD
	v_mov_b32_e32 v10, 0
	s_andn2_b32 s14, s14, exec_lo
	s_and_b32 s43, s43, exec_lo
	s_or_b32 s14, s14, s43
	s_or_b32 exec_lo, exec_lo, s42
	s_and_saveexec_b32 s42, s14
	s_cbranch_execnz .LBB2_199
	s_branch .LBB2_200
.LBB2_690:                              ;   in Loop: Header=BB2_130 Depth=2
	s_or_saveexec_b32 s42, s42
	v_mov_b32_e32 v10, 0x7f800001
	s_xor_b32 exec_lo, exec_lo, s42
	s_cbranch_execz .LBB2_212
.LBB2_691:                              ;   in Loop: Header=BB2_130 Depth=2
	v_cmp_ne_u16_sdwa s43, v11, v32 src0_sel:BYTE_1 src1_sel:DWORD
	v_mov_b32_e32 v10, 0
	s_andn2_b32 s14, s14, exec_lo
	s_and_b32 s43, s43, exec_lo
	s_or_b32 s14, s14, s43
	s_or_b32 exec_lo, exec_lo, s42
	s_and_saveexec_b32 s42, s14
	s_cbranch_execnz .LBB2_213
	s_branch .LBB2_214
.LBB2_692:                              ;   in Loop: Header=BB2_130 Depth=2
	s_or_saveexec_b32 s42, s42
	v_mov_b32_e32 v10, 0x7f800001
	s_xor_b32 exec_lo, exec_lo, s42
	s_cbranch_execz .LBB2_226
.LBB2_693:                              ;   in Loop: Header=BB2_130 Depth=2
	v_cmp_ne_u16_e32 vcc_lo, 0, v102
	v_mov_b32_e32 v10, 0
	s_andn2_b32 s14, s14, exec_lo
	s_and_b32 s43, vcc_lo, exec_lo
	s_or_b32 s14, s14, s43
	s_or_b32 exec_lo, exec_lo, s42
	s_and_saveexec_b32 s42, s14
	s_cbranch_execnz .LBB2_227
	s_branch .LBB2_228
.LBB2_694:                              ;   in Loop: Header=BB2_130 Depth=2
	s_or_saveexec_b32 s42, s42
	v_mov_b32_e32 v10, 0x7f800001
	s_xor_b32 exec_lo, exec_lo, s42
	s_cbranch_execz .LBB2_240
.LBB2_695:                              ;   in Loop: Header=BB2_130 Depth=2
	v_cmp_ne_u16_sdwa s43, v11, v32 src0_sel:BYTE_3 src1_sel:DWORD
	v_mov_b32_e32 v10, 0
	s_andn2_b32 s14, s14, exec_lo
	s_and_b32 s43, s43, exec_lo
	s_or_b32 s14, s14, s43
	s_or_b32 exec_lo, exec_lo, s42
	s_and_saveexec_b32 s42, s14
	s_cbranch_execnz .LBB2_241
	s_branch .LBB2_242
.LBB2_696:                              ;   in Loop: Header=BB2_130 Depth=2
	s_or_saveexec_b32 s42, s42
	v_mov_b32_e32 v10, 0x7f800001
	s_xor_b32 exec_lo, exec_lo, s42
	s_cbranch_execz .LBB2_254
.LBB2_697:                              ;   in Loop: Header=BB2_130 Depth=2
	v_cmp_ne_u16_sdwa s43, v12, v32 src0_sel:BYTE_0 src1_sel:DWORD
	v_mov_b32_e32 v10, 0
	s_andn2_b32 s14, s14, exec_lo
	s_and_b32 s43, s43, exec_lo
	s_or_b32 s14, s14, s43
	s_or_b32 exec_lo, exec_lo, s42
	s_and_saveexec_b32 s42, s14
	s_cbranch_execnz .LBB2_255
	s_branch .LBB2_256
.LBB2_698:                              ;   in Loop: Header=BB2_130 Depth=2
	s_or_saveexec_b32 s42, s42
	v_mov_b32_e32 v10, 0x7f800001
	s_xor_b32 exec_lo, exec_lo, s42
	s_cbranch_execz .LBB2_268
.LBB2_699:                              ;   in Loop: Header=BB2_130 Depth=2
	v_cmp_ne_u16_sdwa s43, v12, v32 src0_sel:BYTE_1 src1_sel:DWORD
	v_mov_b32_e32 v10, 0
	s_andn2_b32 s14, s14, exec_lo
	s_and_b32 s43, s43, exec_lo
	s_or_b32 s14, s14, s43
	s_or_b32 exec_lo, exec_lo, s42
	s_and_saveexec_b32 s42, s14
	s_cbranch_execnz .LBB2_269
	s_branch .LBB2_270
.LBB2_700:                              ;   in Loop: Header=BB2_130 Depth=2
	s_or_saveexec_b32 s42, s42
	v_mov_b32_e32 v10, 0x7f800001
	s_xor_b32 exec_lo, exec_lo, s42
	s_cbranch_execz .LBB2_282
.LBB2_701:                              ;   in Loop: Header=BB2_130 Depth=2
	v_cmp_ne_u16_e32 vcc_lo, 0, v11
	v_mov_b32_e32 v10, 0
	s_andn2_b32 s14, s14, exec_lo
	s_and_b32 s43, vcc_lo, exec_lo
	s_or_b32 s14, s14, s43
	s_or_b32 exec_lo, exec_lo, s42
	s_and_saveexec_b32 s42, s14
	s_cbranch_execnz .LBB2_283
	s_branch .LBB2_284
.LBB2_702:                              ;   in Loop: Header=BB2_130 Depth=2
	s_or_saveexec_b32 s42, s42
	v_mov_b32_e32 v10, 0x7f800001
	s_xor_b32 exec_lo, exec_lo, s42
	s_cbranch_execz .LBB2_296
.LBB2_703:                              ;   in Loop: Header=BB2_130 Depth=2
	v_cmp_ne_u16_sdwa s43, v12, v32 src0_sel:BYTE_3 src1_sel:DWORD
	v_mov_b32_e32 v10, 0
	s_andn2_b32 s14, s14, exec_lo
	s_and_b32 s43, s43, exec_lo
	s_or_b32 s14, s14, s43
	s_or_b32 exec_lo, exec_lo, s42
	s_and_saveexec_b32 s42, s14
	s_cbranch_execnz .LBB2_297
	s_branch .LBB2_298
.LBB2_704:                              ;   in Loop: Header=BB2_130 Depth=2
	s_or_saveexec_b32 s42, s42
	v_mov_b32_e32 v10, 0x7f800001
	s_xor_b32 exec_lo, exec_lo, s42
	s_cbranch_execz .LBB2_310
.LBB2_705:                              ;   in Loop: Header=BB2_130 Depth=2
	v_cmp_ne_u16_sdwa s43, v13, v32 src0_sel:BYTE_0 src1_sel:DWORD
	v_mov_b32_e32 v10, 0
	s_andn2_b32 s14, s14, exec_lo
	s_and_b32 s43, s43, exec_lo
	s_or_b32 s14, s14, s43
	s_or_b32 exec_lo, exec_lo, s42
	s_and_saveexec_b32 s42, s14
	s_cbranch_execnz .LBB2_311
	s_branch .LBB2_312
.LBB2_706:                              ;   in Loop: Header=BB2_130 Depth=2
	s_or_saveexec_b32 s42, s42
	v_mov_b32_e32 v10, 0x7f800001
	s_xor_b32 exec_lo, exec_lo, s42
	s_cbranch_execz .LBB2_324
.LBB2_707:                              ;   in Loop: Header=BB2_130 Depth=2
	v_cmp_ne_u16_sdwa s43, v13, v32 src0_sel:BYTE_1 src1_sel:DWORD
	v_mov_b32_e32 v10, 0
	s_andn2_b32 s14, s14, exec_lo
	s_and_b32 s43, s43, exec_lo
	s_or_b32 s14, s14, s43
	s_or_b32 exec_lo, exec_lo, s42
	s_and_saveexec_b32 s42, s14
	s_cbranch_execnz .LBB2_325
	s_branch .LBB2_326
.LBB2_708:                              ;   in Loop: Header=BB2_130 Depth=2
	s_or_saveexec_b32 s42, s42
	v_mov_b32_e32 v10, 0x7f800001
	s_xor_b32 exec_lo, exec_lo, s42
	s_cbranch_execz .LBB2_338
.LBB2_709:                              ;   in Loop: Header=BB2_130 Depth=2
	v_cmp_ne_u16_e32 vcc_lo, 0, v11
	v_mov_b32_e32 v10, 0
	s_andn2_b32 s14, s14, exec_lo
	s_and_b32 s43, vcc_lo, exec_lo
	s_or_b32 s14, s14, s43
	s_or_b32 exec_lo, exec_lo, s42
	s_and_saveexec_b32 s42, s14
	s_cbranch_execnz .LBB2_339
	s_branch .LBB2_340
.LBB2_710:                              ;   in Loop: Header=BB2_130 Depth=2
	s_or_saveexec_b32 s42, s42
	v_mov_b32_e32 v10, 0x7f800001
	s_xor_b32 exec_lo, exec_lo, s42
	s_cbranch_execz .LBB2_352
.LBB2_711:                              ;   in Loop: Header=BB2_130 Depth=2
	v_cmp_ne_u16_sdwa s43, v13, v32 src0_sel:BYTE_3 src1_sel:DWORD
	v_mov_b32_e32 v10, 0
	s_andn2_b32 s14, s14, exec_lo
	s_and_b32 s43, s43, exec_lo
	s_or_b32 s14, s14, s43
	s_or_b32 exec_lo, exec_lo, s42
	s_and_saveexec_b32 s42, s14
	s_cbranch_execnz .LBB2_353
	s_branch .LBB2_354
.LBB2_712:                              ;   in Loop: Header=BB2_130 Depth=2
	s_or_saveexec_b32 s41, s41
	v_mov_b32_e32 v101, 0x7f800001
	s_xor_b32 exec_lo, exec_lo, s41
	s_cbranch_execz .LBB2_366
.LBB2_713:                              ;   in Loop: Header=BB2_130 Depth=2
	v_cmp_ne_u16_sdwa s42, v45, v32 src0_sel:BYTE_0 src1_sel:DWORD
	v_mov_b32_e32 v101, 0
	s_andn2_b32 s14, s14, exec_lo
	s_and_b32 s42, s42, exec_lo
	s_or_b32 s14, s14, s42
	s_or_b32 exec_lo, exec_lo, s41
	s_and_saveexec_b32 s41, s14
	s_cbranch_execnz .LBB2_367
	s_branch .LBB2_368
.LBB2_714:                              ;   in Loop: Header=BB2_130 Depth=2
	s_or_saveexec_b32 s41, s41
	v_mov_b32_e32 v112, 0x7f800001
	s_xor_b32 exec_lo, exec_lo, s41
	s_cbranch_execz .LBB2_372
.LBB2_715:                              ;   in Loop: Header=BB2_130 Depth=2
	v_cmp_ne_u16_sdwa s42, v10, v32 src0_sel:BYTE_0 src1_sel:DWORD
	v_mov_b32_e32 v112, 0
	s_andn2_b32 s14, s14, exec_lo
	s_and_b32 s42, s42, exec_lo
	s_or_b32 s14, s14, s42
	s_or_b32 exec_lo, exec_lo, s41
	s_and_saveexec_b32 s41, s14
	s_cbranch_execnz .LBB2_373
	s_branch .LBB2_374
.LBB2_716:                              ;   in Loop: Header=BB2_130 Depth=2
	s_or_saveexec_b32 s41, s41
	v_mov_b32_e32 v112, 0x7f800001
	s_xor_b32 exec_lo, exec_lo, s41
	s_cbranch_execz .LBB2_386
.LBB2_717:                              ;   in Loop: Header=BB2_130 Depth=2
	v_cmp_ne_u16_sdwa s42, v45, v32 src0_sel:BYTE_1 src1_sel:DWORD
	v_mov_b32_e32 v112, 0
	s_andn2_b32 s14, s14, exec_lo
	s_and_b32 s42, s42, exec_lo
	s_or_b32 s14, s14, s42
	s_or_b32 exec_lo, exec_lo, s41
	s_and_saveexec_b32 s41, s14
	s_cbranch_execnz .LBB2_387
	s_branch .LBB2_388
.LBB2_718:                              ;   in Loop: Header=BB2_130 Depth=2
	s_or_saveexec_b32 s41, s41
	v_mov_b32_e32 v46, 0x7f800001
	s_xor_b32 exec_lo, exec_lo, s41
	s_cbranch_execz .LBB2_392
.LBB2_719:                              ;   in Loop: Header=BB2_130 Depth=2
	v_cmp_ne_u16_sdwa s42, v10, v32 src0_sel:BYTE_1 src1_sel:DWORD
	v_mov_b32_e32 v46, 0
	s_andn2_b32 s14, s14, exec_lo
	s_and_b32 s42, s42, exec_lo
	s_or_b32 s14, s14, s42
	s_or_b32 exec_lo, exec_lo, s41
	s_and_saveexec_b32 s41, s14
	s_cbranch_execnz .LBB2_393
	s_branch .LBB2_394
.LBB2_720:                              ;   in Loop: Header=BB2_130 Depth=2
	s_or_saveexec_b32 s41, s41
	v_mov_b32_e32 v117, 0x7f800001
	s_xor_b32 exec_lo, exec_lo, s41
	s_cbranch_execz .LBB2_406
.LBB2_721:                              ;   in Loop: Header=BB2_130 Depth=2
	v_cmp_ne_u16_sdwa s42, v44, v32 src0_sel:BYTE_0 src1_sel:DWORD
	v_mov_b32_e32 v117, 0
	s_andn2_b32 s14, s14, exec_lo
	s_and_b32 s42, s42, exec_lo
	s_or_b32 s14, s14, s42
	s_or_b32 exec_lo, exec_lo, s41
	v_lshl_or_b32 v44, v44, 16, v45
	s_and_saveexec_b32 s41, s14
	s_cbranch_execnz .LBB2_407
	s_branch .LBB2_408
.LBB2_722:                              ;   in Loop: Header=BB2_130 Depth=2
	s_or_saveexec_b32 s41, s41
	v_mov_b32_e32 v45, 0x7f800001
	s_xor_b32 exec_lo, exec_lo, s41
	s_cbranch_execz .LBB2_412
.LBB2_723:                              ;   in Loop: Header=BB2_130 Depth=2
	v_cmp_ne_u16_e32 vcc_lo, 0, v46
	v_mov_b32_e32 v45, 0
	s_andn2_b32 s14, s14, exec_lo
	s_and_b32 s42, vcc_lo, exec_lo
	s_or_b32 s14, s14, s42
	s_or_b32 exec_lo, exec_lo, s41
	s_and_saveexec_b32 s41, s14
	s_cbranch_execnz .LBB2_413
	s_branch .LBB2_414
.LBB2_724:                              ;   in Loop: Header=BB2_130 Depth=2
	s_or_saveexec_b32 s41, s41
	v_mov_b32_e32 v45, 0x7f800001
	s_xor_b32 exec_lo, exec_lo, s41
	s_cbranch_execz .LBB2_426
.LBB2_725:                              ;   in Loop: Header=BB2_130 Depth=2
	v_cmp_ne_u16_sdwa s42, v44, v32 src0_sel:BYTE_3 src1_sel:DWORD
	v_mov_b32_e32 v45, 0
	s_andn2_b32 s14, s14, exec_lo
	s_and_b32 s42, s42, exec_lo
	s_or_b32 s14, s14, s42
	s_or_b32 exec_lo, exec_lo, s41
	s_and_saveexec_b32 s41, s14
	s_cbranch_execnz .LBB2_427
	s_branch .LBB2_428
.LBB2_726:                              ;   in Loop: Header=BB2_130 Depth=2
	s_or_saveexec_b32 s41, s41
	v_mov_b32_e32 v44, 0x7f800001
	s_xor_b32 exec_lo, exec_lo, s41
	s_cbranch_execz .LBB2_432
.LBB2_727:                              ;   in Loop: Header=BB2_130 Depth=2
	v_cmp_ne_u16_sdwa s42, v10, v32 src0_sel:BYTE_3 src1_sel:DWORD
	v_mov_b32_e32 v44, 0
	s_andn2_b32 s14, s14, exec_lo
	s_and_b32 s42, s42, exec_lo
	s_or_b32 s14, s14, s42
	s_or_b32 exec_lo, exec_lo, s41
	s_and_saveexec_b32 s41, s14
	s_cbranch_execnz .LBB2_433
	s_branch .LBB2_434
.LBB2_728:                              ;   in Loop: Header=BB2_130 Depth=2
	s_or_saveexec_b32 s41, s41
	v_mov_b32_e32 v41, 0x7f800001
	s_xor_b32 exec_lo, exec_lo, s41
	s_cbranch_execz .LBB2_446
.LBB2_729:                              ;   in Loop: Header=BB2_130 Depth=2
	v_cmp_ne_u16_sdwa s42, v44, v32 src0_sel:BYTE_0 src1_sel:DWORD
	v_mov_b32_e32 v41, 0
	s_andn2_b32 s14, s14, exec_lo
	s_and_b32 s42, s42, exec_lo
	s_or_b32 s14, s14, s42
	s_or_b32 exec_lo, exec_lo, s41
	s_and_saveexec_b32 s41, s14
	s_cbranch_execnz .LBB2_447
	s_branch .LBB2_448
.LBB2_730:                              ;   in Loop: Header=BB2_130 Depth=2
	s_or_saveexec_b32 s41, s41
	v_mov_b32_e32 v43, 0x7f800001
	s_xor_b32 exec_lo, exec_lo, s41
	s_cbranch_execz .LBB2_452
.LBB2_731:                              ;   in Loop: Header=BB2_130 Depth=2
	v_cmp_ne_u16_sdwa s42, v11, v32 src0_sel:BYTE_0 src1_sel:DWORD
	v_mov_b32_e32 v43, 0
	s_andn2_b32 s14, s14, exec_lo
	s_and_b32 s42, s42, exec_lo
	s_or_b32 s14, s14, s42
	s_or_b32 exec_lo, exec_lo, s41
	s_and_saveexec_b32 s41, s14
	s_cbranch_execnz .LBB2_453
	s_branch .LBB2_454
.LBB2_732:                              ;   in Loop: Header=BB2_130 Depth=2
	s_or_saveexec_b32 s41, s41
	v_mov_b32_e32 v43, 0x7f800001
	s_xor_b32 exec_lo, exec_lo, s41
	s_cbranch_execz .LBB2_466
.LBB2_733:                              ;   in Loop: Header=BB2_130 Depth=2
	v_cmp_ne_u16_sdwa s42, v44, v32 src0_sel:BYTE_1 src1_sel:DWORD
	v_mov_b32_e32 v43, 0
	s_andn2_b32 s14, s14, exec_lo
	s_and_b32 s42, s42, exec_lo
	s_or_b32 s14, s14, s42
	s_or_b32 exec_lo, exec_lo, s41
	s_and_saveexec_b32 s41, s14
	s_cbranch_execnz .LBB2_467
	s_branch .LBB2_468
.LBB2_734:                              ;   in Loop: Header=BB2_130 Depth=2
	s_or_saveexec_b32 s41, s41
	v_mov_b32_e32 v45, 0x7f800001
	s_xor_b32 exec_lo, exec_lo, s41
	s_cbranch_execz .LBB2_472
.LBB2_735:                              ;   in Loop: Header=BB2_130 Depth=2
	v_cmp_ne_u16_sdwa s42, v11, v32 src0_sel:BYTE_1 src1_sel:DWORD
	v_mov_b32_e32 v45, 0
	s_andn2_b32 s14, s14, exec_lo
	s_and_b32 s42, s42, exec_lo
	s_or_b32 s14, s14, s42
	s_or_b32 exec_lo, exec_lo, s41
	s_and_saveexec_b32 s41, s14
	s_cbranch_execnz .LBB2_473
	s_branch .LBB2_474
.LBB2_736:                              ;   in Loop: Header=BB2_130 Depth=2
	s_or_saveexec_b32 s41, s41
	v_mov_b32_e32 v119, 0x7f800001
	s_xor_b32 exec_lo, exec_lo, s41
	s_cbranch_execz .LBB2_486
.LBB2_737:                              ;   in Loop: Header=BB2_130 Depth=2
	v_cmp_ne_u16_sdwa s42, v42, v32 src0_sel:BYTE_0 src1_sel:DWORD
	v_mov_b32_e32 v119, 0
	s_andn2_b32 s14, s14, exec_lo
	s_and_b32 s42, s42, exec_lo
	s_or_b32 s14, s14, s42
	s_or_b32 exec_lo, exec_lo, s41
	v_lshl_or_b32 v42, v42, 16, v44
	s_and_saveexec_b32 s41, s14
	s_cbranch_execnz .LBB2_487
	s_branch .LBB2_488
.LBB2_738:                              ;   in Loop: Header=BB2_130 Depth=2
	s_or_saveexec_b32 s41, s41
	v_mov_b32_e32 v44, 0x7f800001
	s_xor_b32 exec_lo, exec_lo, s41
	s_cbranch_execz .LBB2_492
.LBB2_739:                              ;   in Loop: Header=BB2_130 Depth=2
	v_cmp_ne_u16_e32 vcc_lo, 0, v45
	v_mov_b32_e32 v44, 0
	s_andn2_b32 s14, s14, exec_lo
	s_and_b32 s42, vcc_lo, exec_lo
	s_or_b32 s14, s14, s42
	s_or_b32 exec_lo, exec_lo, s41
	s_and_saveexec_b32 s41, s14
	s_cbranch_execnz .LBB2_493
	s_branch .LBB2_494
.LBB2_740:                              ;   in Loop: Header=BB2_130 Depth=2
	s_or_saveexec_b32 s41, s41
	v_mov_b32_e32 v44, 0x7f800001
	s_xor_b32 exec_lo, exec_lo, s41
	s_cbranch_execz .LBB2_506
.LBB2_741:                              ;   in Loop: Header=BB2_130 Depth=2
	v_cmp_ne_u16_sdwa s42, v42, v32 src0_sel:BYTE_3 src1_sel:DWORD
	v_mov_b32_e32 v44, 0
	s_andn2_b32 s14, s14, exec_lo
	s_and_b32 s42, s42, exec_lo
	s_or_b32 s14, s14, s42
	s_or_b32 exec_lo, exec_lo, s41
	s_and_saveexec_b32 s41, s14
	s_cbranch_execnz .LBB2_507
	s_branch .LBB2_508
.LBB2_742:                              ;   in Loop: Header=BB2_130 Depth=2
	s_or_saveexec_b32 s41, s41
	v_mov_b32_e32 v42, 0x7f800001
	s_xor_b32 exec_lo, exec_lo, s41
	s_cbranch_execz .LBB2_512
.LBB2_743:                              ;   in Loop: Header=BB2_130 Depth=2
	v_cmp_ne_u16_sdwa s42, v11, v32 src0_sel:BYTE_3 src1_sel:DWORD
	v_mov_b32_e32 v42, 0
	s_andn2_b32 s14, s14, exec_lo
	s_and_b32 s42, s42, exec_lo
	s_or_b32 s14, s14, s42
	s_or_b32 exec_lo, exec_lo, s41
	s_and_saveexec_b32 s41, s14
	s_cbranch_execnz .LBB2_513
	s_branch .LBB2_514
.LBB2_744:                              ;   in Loop: Header=BB2_130 Depth=2
	s_or_saveexec_b32 s41, s41
	v_mov_b32_e32 v116, 0x7f800001
	s_xor_b32 exec_lo, exec_lo, s41
	s_cbranch_execz .LBB2_526
.LBB2_745:                              ;   in Loop: Header=BB2_130 Depth=2
	v_cmp_ne_u16_sdwa s42, v42, v32 src0_sel:BYTE_0 src1_sel:DWORD
	v_mov_b32_e32 v116, 0
	s_andn2_b32 s14, s14, exec_lo
	s_and_b32 s42, s42, exec_lo
	s_or_b32 s14, s14, s42
	s_or_b32 exec_lo, exec_lo, s41
	s_and_saveexec_b32 s41, s14
	s_cbranch_execnz .LBB2_527
	s_branch .LBB2_528
.LBB2_746:                              ;   in Loop: Header=BB2_130 Depth=2
	s_or_saveexec_b32 s41, s41
	v_mov_b32_e32 v40, 0x7f800001
	s_xor_b32 exec_lo, exec_lo, s41
	s_cbranch_execz .LBB2_532
.LBB2_747:                              ;   in Loop: Header=BB2_130 Depth=2
	v_cmp_ne_u16_sdwa s42, v12, v32 src0_sel:BYTE_0 src1_sel:DWORD
	v_mov_b32_e32 v40, 0
	s_andn2_b32 s14, s14, exec_lo
	s_and_b32 s42, s42, exec_lo
	s_or_b32 s14, s14, s42
	s_or_b32 exec_lo, exec_lo, s41
	s_and_saveexec_b32 s41, s14
	s_cbranch_execnz .LBB2_533
	s_branch .LBB2_534
.LBB2_748:                              ;   in Loop: Header=BB2_130 Depth=2
	s_or_saveexec_b32 s41, s41
	v_mov_b32_e32 v40, 0x7f800001
	s_xor_b32 exec_lo, exec_lo, s41
	s_cbranch_execz .LBB2_546
.LBB2_749:                              ;   in Loop: Header=BB2_130 Depth=2
	v_cmp_ne_u16_sdwa s42, v42, v32 src0_sel:BYTE_1 src1_sel:DWORD
	v_mov_b32_e32 v40, 0
	s_andn2_b32 s14, s14, exec_lo
	s_and_b32 s42, s42, exec_lo
	s_or_b32 s14, s14, s42
	s_or_b32 exec_lo, exec_lo, s41
	s_and_saveexec_b32 s41, s14
	s_cbranch_execnz .LBB2_547
	s_branch .LBB2_548
.LBB2_750:                              ;   in Loop: Header=BB2_130 Depth=2
	s_or_saveexec_b32 s41, s41
	v_mov_b32_e32 v44, 0x7f800001
	s_xor_b32 exec_lo, exec_lo, s41
	s_cbranch_execz .LBB2_552
.LBB2_751:                              ;   in Loop: Header=BB2_130 Depth=2
	v_cmp_ne_u16_sdwa s42, v12, v32 src0_sel:BYTE_1 src1_sel:DWORD
	v_mov_b32_e32 v44, 0
	s_andn2_b32 s14, s14, exec_lo
	s_and_b32 s42, s42, exec_lo
	s_or_b32 s14, s14, s42
	s_or_b32 exec_lo, exec_lo, s41
	s_and_saveexec_b32 s41, s14
	s_cbranch_execnz .LBB2_553
	s_branch .LBB2_554
.LBB2_752:                              ;   in Loop: Header=BB2_130 Depth=2
	s_or_saveexec_b32 s41, s41
	v_mov_b32_e32 v114, 0x7f800001
	s_xor_b32 exec_lo, exec_lo, s41
	s_cbranch_execz .LBB2_566
.LBB2_753:                              ;   in Loop: Header=BB2_130 Depth=2
	v_cmp_ne_u16_sdwa s42, v118, v32 src0_sel:BYTE_0 src1_sel:DWORD
	v_mov_b32_e32 v114, 0
	s_andn2_b32 s14, s14, exec_lo
	s_and_b32 s42, s42, exec_lo
	s_or_b32 s14, s14, s42
	s_or_b32 exec_lo, exec_lo, s41
	v_lshl_or_b32 v118, v118, 16, v42
	s_and_saveexec_b32 s41, s14
	s_cbranch_execnz .LBB2_567
	s_branch .LBB2_568
.LBB2_754:                              ;   in Loop: Header=BB2_130 Depth=2
	s_or_saveexec_b32 s41, s41
	v_mov_b32_e32 v42, 0x7f800001
	s_xor_b32 exec_lo, exec_lo, s41
	s_cbranch_execz .LBB2_572
.LBB2_755:                              ;   in Loop: Header=BB2_130 Depth=2
	v_cmp_ne_u16_e32 vcc_lo, 0, v44
	v_mov_b32_e32 v42, 0
	s_andn2_b32 s14, s14, exec_lo
	s_and_b32 s42, vcc_lo, exec_lo
	s_or_b32 s14, s14, s42
	s_or_b32 exec_lo, exec_lo, s41
	s_and_saveexec_b32 s41, s14
	s_cbranch_execnz .LBB2_573
	s_branch .LBB2_574
.LBB2_756:                              ;   in Loop: Header=BB2_130 Depth=2
	s_or_saveexec_b32 s41, s41
	v_mov_b32_e32 v42, 0x7f800001
	s_xor_b32 exec_lo, exec_lo, s41
	s_cbranch_execz .LBB2_586
.LBB2_757:                              ;   in Loop: Header=BB2_130 Depth=2
	v_cmp_ne_u16_sdwa s42, v118, v32 src0_sel:BYTE_3 src1_sel:DWORD
	v_mov_b32_e32 v42, 0
	s_andn2_b32 s14, s14, exec_lo
	s_and_b32 s42, s42, exec_lo
	s_or_b32 s14, s14, s42
	s_or_b32 exec_lo, exec_lo, s41
	s_and_saveexec_b32 s41, s14
	s_cbranch_execnz .LBB2_587
	s_branch .LBB2_588
.LBB2_758:                              ;   in Loop: Header=BB2_130 Depth=2
	s_or_saveexec_b32 s41, s41
	v_mov_b32_e32 v118, 0x7f800001
	s_xor_b32 exec_lo, exec_lo, s41
	s_cbranch_execz .LBB2_592
.LBB2_759:                              ;   in Loop: Header=BB2_130 Depth=2
	v_cmp_ne_u16_sdwa s42, v12, v32 src0_sel:BYTE_3 src1_sel:DWORD
	v_mov_b32_e32 v118, 0
	s_andn2_b32 s14, s14, exec_lo
	s_and_b32 s42, s42, exec_lo
	s_or_b32 s14, s14, s42
	s_or_b32 exec_lo, exec_lo, s41
	s_and_saveexec_b32 s41, s14
	s_cbranch_execnz .LBB2_593
	s_branch .LBB2_594
.LBB2_760:                              ;   in Loop: Header=BB2_130 Depth=2
	s_or_saveexec_b32 s41, s41
	v_mov_b32_e32 v103, 0x7f800001
	s_xor_b32 exec_lo, exec_lo, s41
	s_cbranch_execz .LBB2_606
.LBB2_761:                              ;   in Loop: Header=BB2_130 Depth=2
	v_cmp_ne_u16_sdwa s42, v115, v32 src0_sel:BYTE_0 src1_sel:DWORD
	v_mov_b32_e32 v103, 0
	s_andn2_b32 s14, s14, exec_lo
	s_and_b32 s42, s42, exec_lo
	s_or_b32 s14, s14, s42
	s_or_b32 exec_lo, exec_lo, s41
	s_and_saveexec_b32 s41, s14
	s_cbranch_execnz .LBB2_607
	s_branch .LBB2_608
.LBB2_762:                              ;   in Loop: Header=BB2_130 Depth=2
	s_or_saveexec_b32 s41, s41
	v_mov_b32_e32 v118, 0x7f800001
	s_xor_b32 exec_lo, exec_lo, s41
	s_cbranch_execz .LBB2_612
.LBB2_763:                              ;   in Loop: Header=BB2_130 Depth=2
	v_cmp_ne_u16_sdwa s42, v13, v32 src0_sel:BYTE_0 src1_sel:DWORD
	v_mov_b32_e32 v118, 0
	s_andn2_b32 s14, s14, exec_lo
	s_and_b32 s42, s42, exec_lo
	s_or_b32 s14, s14, s42
	s_or_b32 exec_lo, exec_lo, s41
	s_and_saveexec_b32 s41, s14
	s_cbranch_execnz .LBB2_613
	s_branch .LBB2_614
.LBB2_764:                              ;   in Loop: Header=BB2_130 Depth=2
	s_or_saveexec_b32 s41, s41
	v_mov_b32_e32 v118, 0x7f800001
	s_xor_b32 exec_lo, exec_lo, s41
	s_cbranch_execz .LBB2_626
.LBB2_765:                              ;   in Loop: Header=BB2_130 Depth=2
	v_cmp_ne_u16_sdwa s42, v115, v32 src0_sel:BYTE_1 src1_sel:DWORD
	v_mov_b32_e32 v118, 0
	s_andn2_b32 s14, s14, exec_lo
	s_and_b32 s42, s42, exec_lo
	s_or_b32 s14, s14, s42
	s_or_b32 exec_lo, exec_lo, s41
	s_and_saveexec_b32 s41, s14
	s_cbranch_execnz .LBB2_627
	s_branch .LBB2_628
.LBB2_766:                              ;   in Loop: Header=BB2_130 Depth=2
	s_or_saveexec_b32 s41, s41
	v_mov_b32_e32 v42, 0x7f800001
	s_xor_b32 exec_lo, exec_lo, s41
	s_cbranch_execz .LBB2_632
.LBB2_767:                              ;   in Loop: Header=BB2_130 Depth=2
	v_cmp_ne_u16_sdwa s42, v13, v32 src0_sel:BYTE_1 src1_sel:DWORD
	v_mov_b32_e32 v42, 0
	s_andn2_b32 s14, s14, exec_lo
	s_and_b32 s42, s42, exec_lo
	s_or_b32 s14, s14, s42
	s_or_b32 exec_lo, exec_lo, s41
	s_and_saveexec_b32 s41, s14
	s_cbranch_execnz .LBB2_633
	s_branch .LBB2_634
.LBB2_768:                              ;   in Loop: Header=BB2_130 Depth=2
	s_or_saveexec_b32 s41, s41
	v_mov_b32_e32 v102, 0x7f800001
	s_xor_b32 exec_lo, exec_lo, s41
	s_cbranch_execz .LBB2_646
.LBB2_769:                              ;   in Loop: Header=BB2_130 Depth=2
	v_cmp_ne_u16_sdwa s42, v113, v32 src0_sel:BYTE_0 src1_sel:DWORD
	v_mov_b32_e32 v102, 0
	s_andn2_b32 s14, s14, exec_lo
	s_and_b32 s42, s42, exec_lo
	s_or_b32 s14, s14, s42
	s_or_b32 exec_lo, exec_lo, s41
	v_lshl_or_b32 v113, v113, 16, v115
	s_and_saveexec_b32 s41, s14
	s_cbranch_execnz .LBB2_647
	s_branch .LBB2_648
.LBB2_770:                              ;   in Loop: Header=BB2_130 Depth=2
	s_or_saveexec_b32 s41, s41
	v_mov_b32_e32 v115, 0x7f800001
	s_xor_b32 exec_lo, exec_lo, s41
	s_cbranch_execz .LBB2_652
.LBB2_771:                              ;   in Loop: Header=BB2_130 Depth=2
	v_cmp_ne_u16_e32 vcc_lo, 0, v42
	v_mov_b32_e32 v115, 0
	s_andn2_b32 s14, s14, exec_lo
	s_and_b32 s42, vcc_lo, exec_lo
	s_or_b32 s14, s14, s42
	s_or_b32 exec_lo, exec_lo, s41
	s_and_saveexec_b32 s41, s14
	s_cbranch_execnz .LBB2_653
	s_branch .LBB2_654
.LBB2_772:                              ;   in Loop: Header=BB2_130 Depth=2
	s_or_saveexec_b32 s41, s41
	v_mov_b32_e32 v115, 0x7f800001
	s_xor_b32 exec_lo, exec_lo, s41
	s_cbranch_execz .LBB2_666
.LBB2_773:                              ;   in Loop: Header=BB2_130 Depth=2
	v_cmp_ne_u16_sdwa s42, v113, v32 src0_sel:BYTE_3 src1_sel:DWORD
	v_mov_b32_e32 v115, 0
	s_andn2_b32 s14, s14, exec_lo
	s_and_b32 s42, s42, exec_lo
	s_or_b32 s14, s14, s42
	s_or_b32 exec_lo, exec_lo, s41
	s_and_saveexec_b32 s41, s14
	s_cbranch_execnz .LBB2_667
	s_branch .LBB2_668
.LBB2_774:                              ;   in Loop: Header=BB2_130 Depth=2
	s_or_saveexec_b32 s41, s41
	v_mov_b32_e32 v113, 0x7f800001
	s_xor_b32 exec_lo, exec_lo, s41
	s_cbranch_execz .LBB2_672
.LBB2_775:                              ;   in Loop: Header=BB2_130 Depth=2
	v_cmp_ne_u16_sdwa s42, v13, v32 src0_sel:BYTE_3 src1_sel:DWORD
	v_mov_b32_e32 v113, 0
	s_andn2_b32 s14, s14, exec_lo
	s_and_b32 s42, s42, exec_lo
	s_or_b32 s14, s14, s42
	s_or_b32 exec_lo, exec_lo, s41
	s_and_saveexec_b32 s41, s14
	s_cbranch_execnz .LBB2_673
	s_branch .LBB2_674
.LBB2_776:                              ;   in Loop: Header=BB2_49 Depth=1
	s_or_b32 exec_lo, exec_lo, s27
.LBB2_777:                              ;   in Loop: Header=BB2_49 Depth=1
	s_or_b32 exec_lo, exec_lo, s26
	v_and_b32_e32 v10, 15, v33
	s_mov_b32 s26, 0
	s_mov_b32 s14, exec_lo
                                        ; implicit-def: $vgpr50
	v_cndmask_b32_e64 v99, v98, v10, s13
	v_mov_b32_e32 v98, 0
	v_cmpx_ne_u32_e32 0, v99
	s_cbranch_execz .LBB2_1431
; %bb.778:                              ;   in Loop: Header=BB2_49 Depth=1
	v_cmp_lt_i32_e32 vcc_lo, 0, v100
	s_mov_b32 s26, exec_lo
	v_cndmask_b32_e32 v10, 0, v68, vcc_lo
	v_sub_nc_u32_e32 v10, v10, v100
	v_lshl_or_b32 v10, v10, 5, v67
	v_ashrrev_i32_e32 v11, 31, v10
	v_lshrrev_b32_e32 v11, 27, v11
	v_add_nc_u32_e32 v11, v10, v11
	v_and_b32_e32 v12, 0xffffffe0, v11
	v_ashrrev_i32_e32 v11, 5, v11
	v_sub_nc_u32_e32 v100, v10, v12
	v_and_b32_e32 v12, 0x1f0, v33
	v_sub_nc_u32_e32 v101, 0, v11
	v_lshlrev_b32_e32 v10, 4, v100
	v_cndmask_b32_e64 v12, 0, v12, s13
	v_lshl_add_u32 v10, v11, 9, v10
	v_and_or_b32 v98, 0x3ffffe00, v33, v12
	v_sub_nc_u32_e32 v102, v99, v10
	v_cmpx_lt_i32_e32 15, v102
	s_cbranch_execz .LBB2_1430
; %bb.779:                              ;   in Loop: Header=BB2_49 Depth=1
	s_trap 2
	ds_read_b64 v[11:12], v0
	v_add_nc_u32_e32 v10, v10, v98
	v_ashrrev_i32_e32 v13, 31, v10
	v_add_co_u32 v50, vcc_lo, v10, v38
	v_add_co_ci_u32_e64 v51, null, v13, v39, vcc_lo
	v_add_co_u32 v52, vcc_lo, v10, v48
	v_add_co_ci_u32_e64 v53, null, v13, v49, vcc_lo
	s_waitcnt lgkmcnt(0)
	v_readfirstlane_b32 s13, v11
	v_add_co_u32 v54, vcc_lo, v11, v10
	v_add_co_ci_u32_e64 v55, null, v12, v13, vcc_lo
	s_and_b32 s27, s13, 7
	s_bfe_u32 s40, s13, 0x40003
	s_flbit_i32_b32 s28, s27
	s_min_u32 s28, s28, 32
	s_sub_i32 s29, s28, 28
	s_sub_i32 s28, 29, s28
	s_lshl_b32 s29, s13, s29
	s_and_b32 s29, s29, 7
	s_cmp_eq_u32 s40, 0
	s_cselect_b32 s28, s28, s40
	s_cselect_b32 s27, s29, s27
	s_lshl_b32 s29, s13, 24
	s_lshl_b32 s28, s28, 23
	s_and_b32 s29, s29, 0x80000000
	s_add_i32 s28, s28, 0x3b800000
	s_lshl_b32 s40, s27, 20
	s_or_b32 s28, s29, s28
	s_mov_b32 s27, 0
	s_or_b32 s28, s28, s40
	s_and_b32 s29, s13, 0xff
	s_branch .LBB2_783
.LBB2_780:                              ;   in Loop: Header=BB2_783 Depth=2
	s_or_b32 exec_lo, exec_lo, s13
	v_lshrrev_b32_e32 v117, 20, v117
	v_min_i32_e32 v44, 15, v115
	v_cmp_gt_i32_e32 vcc_lo, 16, v115
	v_and_b32_sdwa v13, v13, v85 dst_sel:DWORD dst_unused:UNUSED_PAD src0_sel:BYTE_3 src1_sel:DWORD
	v_lshlrev_b32_e32 v44, 3, v44
	v_cndmask_b32_e32 v117, 7, v117, vcc_lo
	v_and_b32_e32 v44, 0xf8, v44
	v_and_b32_e32 v46, 7, v117
	v_or_b32_e32 v115, v115, v117
	v_or3_b32 v13, v13, v44, v46
	v_cmp_ne_u32_e32 vcc_lo, 0, v115
	v_lshlrev_b32_e32 v13, 8, v13
	v_cndmask_b32_e32 v115, 0, v13, vcc_lo
.LBB2_781:                              ;   in Loop: Header=BB2_783 Depth=2
	s_or_b32 exec_lo, exec_lo, s41
.LBB2_782:                              ;   in Loop: Header=BB2_783 Depth=2
	s_or_b32 exec_lo, exec_lo, s40
	v_or_b32_sdwa v11, v11, v41 dst_sel:WORD_1 dst_unused:UNUSED_PAD src0_sel:DWORD src1_sel:DWORD
	v_or_b32_sdwa v10, v10, v119 dst_sel:WORD_1 dst_unused:UNUSED_PAD src0_sel:DWORD src1_sel:DWORD
	;; [unrolled: 1-line block ×4, first 2 shown]
	v_sub_nc_u32_e32 v102, v102, v71
	v_or3_b32 v11, v45, v43, v11
	v_or3_b32 v10, v114, v103, v10
	v_or3_b32 v12, v42, v118, v12
	v_or3_b32 v13, v40, v113, v13
	v_add_co_u32 v50, vcc_lo, v50, v71
	v_add_co_ci_u32_e64 v51, null, 0, v51, vcc_lo
	v_add_co_u32 v54, vcc_lo, v54, v71
	global_store_dwordx4 v[52:53], v[10:13], off glc slc
	v_add_co_ci_u32_e64 v55, null, 0, v55, vcc_lo
	v_cmp_gt_i32_e32 vcc_lo, 16, v102
	v_add_co_u32 v52, s13, v52, v71
	v_add_co_ci_u32_e64 v53, null, 0, v53, s13
	v_sub_nc_u32_e32 v101, v101, v68
	s_or_b32 s27, vcc_lo, s27
	s_andn2_b32 exec_lo, exec_lo, s27
	s_cbranch_execz .LBB2_1429
.LBB2_783:                              ;   Parent Loop BB2_49 Depth=1
                                        ; =>  This Inner Loop Header: Depth=2
	s_cmpk_lt_i32 s29, 0x80
	s_cbranch_scc1 .LBB2_787
; %bb.784:                              ;   in Loop: Header=BB2_783 Depth=2
	s_and_b32 s13, 0xffff, s29
	s_cmpk_eq_i32 s13, 0x80
	s_mov_b32 s13, -1
	s_cbranch_scc0 .LBB2_786
; %bb.785:                              ;   in Loop: Header=BB2_783 Depth=2
	s_mov_b32 s13, 0
.LBB2_786:                              ;   in Loop: Header=BB2_783 Depth=2
	s_mov_b32 s40, 0x7f800001
	s_branch .LBB2_789
.LBB2_787:                              ;   in Loop: Header=BB2_783 Depth=2
	s_mov_b32 s13, 0
	s_mov_b32 s40, 0x7f800001
	s_cbranch_execz .LBB2_789
; %bb.788:                              ;   in Loop: Header=BB2_783 Depth=2
	s_and_b32 s13, 0xffff, s29
	s_mov_b32 s40, 0
	s_cmp_lg_u32 s13, 0
	s_cselect_b32 s13, -1, 0
.LBB2_789:                              ;   in Loop: Header=BB2_783 Depth=2
	s_andn2_b32 vcc_lo, exec_lo, s13
	s_cbranch_vccnz .LBB2_791
; %bb.790:                              ;   in Loop: Header=BB2_783 Depth=2
	s_mov_b32 s40, s28
.LBB2_791:                              ;   in Loop: Header=BB2_783 Depth=2
	global_load_dwordx4 v[10:13], v[50:51], off slc
	s_mov_b32 s13, 0
	s_waitcnt vmcnt(0)
	v_cmp_gt_i16_sdwa s41, v10, v84 src0_sel:BYTE_0 src1_sel:DWORD
	s_and_saveexec_b32 s42, s41
	s_xor_b32 s41, exec_lo, s42
	s_cbranch_execz .LBB2_1333
; %bb.792:                              ;   in Loop: Header=BB2_783 Depth=2
	v_cmp_eq_u16_sdwa s43, v10, v85 src0_sel:BYTE_0 src1_sel:DWORD
	s_mov_b32 s13, -1
	s_and_saveexec_b32 s42, s43
; %bb.793:                              ;   in Loop: Header=BB2_783 Depth=2
	s_xor_b32 s13, exec_lo, -1
; %bb.794:                              ;   in Loop: Header=BB2_783 Depth=2
	s_or_b32 exec_lo, exec_lo, s42
	s_and_b32 s13, s13, exec_lo
	s_or_saveexec_b32 s41, s41
	v_mov_b32_e32 v103, 0x7f800001
	s_xor_b32 exec_lo, exec_lo, s41
	s_cbranch_execnz .LBB2_1334
.LBB2_795:                              ;   in Loop: Header=BB2_783 Depth=2
	s_or_b32 exec_lo, exec_lo, s41
	s_and_saveexec_b32 s41, s13
	s_cbranch_execz .LBB2_797
.LBB2_796:                              ;   in Loop: Header=BB2_783 Depth=2
	v_and_b32_e32 v103, 7, v10
	v_bfe_u32 v114, v10, 3, 4
	v_lshlrev_b32_e32 v115, 24, v10
	v_ffbh_u32_e32 v112, v103
	v_cmp_eq_u32_e32 vcc_lo, 0, v114
	v_min_u32_e32 v112, 32, v112
	v_subrev_nc_u32_e32 v113, 28, v112
	v_sub_nc_u32_e32 v112, 29, v112
	v_lshlrev_b32_e32 v113, v113, v10
	v_cndmask_b32_e32 v112, v114, v112, vcc_lo
	v_and_b32_e32 v113, 7, v113
	v_lshl_add_u32 v112, v112, 23, 0x3b800000
	v_cndmask_b32_e32 v103, v103, v113, vcc_lo
	v_and_b32_e32 v113, 0x80000000, v115
	v_lshlrev_b32_e32 v103, 20, v103
	v_or3_b32 v103, v113, v112, v103
.LBB2_797:                              ;   in Loop: Header=BB2_783 Depth=2
	s_or_b32 exec_lo, exec_lo, s41
	v_mul_f32_e32 v112, s40, v103
	v_and_b32_e32 v103, 0x7f800000, v112
	v_cmp_ne_u32_e32 vcc_lo, 0x7f800000, v103
	v_mov_b32_e32 v103, 0x80
	s_and_saveexec_b32 s41, vcc_lo
	s_cbranch_execz .LBB2_805
; %bb.798:                              ;   in Loop: Header=BB2_783 Depth=2
	v_mov_b32_e32 v103, 0
	s_mov_b32 s42, exec_lo
	v_cmpx_ne_u32_e32 0, v112
	s_cbranch_execz .LBB2_804
; %bb.799:                              ;   in Loop: Header=BB2_783 Depth=2
	v_bfe_u32 v103, v112, 23, 8
	v_and_b32_e32 v113, 0x7fffff, v112
	v_sub_nc_u32_e32 v114, 0x78, v103
	v_cmp_gt_u32_e32 vcc_lo, 0x79, v103
	v_or_b32_e32 v115, 0x800000, v113
	v_cndmask_b32_e32 v114, 0, v114, vcc_lo
	v_cmp_eq_u32_e32 vcc_lo, 0, v103
	v_add_nc_u32_e32 v103, 0xffffff89, v103
	v_cndmask_b32_e64 v114, v114, 0x77, vcc_lo
	v_cndmask_b32_e32 v113, v115, v113, vcc_lo
	v_cndmask_b32_e64 v103, v103, 0xffffff8a, vcc_lo
	v_lshl_add_u32 v115, 0x100000, v114, -1
	v_lshrrev_b32_e32 v116, v114, v113
	v_lshlrev_b32_e64 v118, v114, 0x80000
	v_add_nc_u32_e32 v114, v114, v103
	v_and_b32_e32 v113, v115, v113
	v_bfe_u32 v117, v116, 20, 1
	v_cmp_eq_u32_e64 s13, v113, v118
	v_add_nc_u32_e32 v115, -1, v117
	v_cndmask_b32_e64 v113, 0, v115, s13
	v_lshrrev_b32_e32 v115, 23, v116
	s_mov_b32 s13, exec_lo
	v_add_nc_u32_e32 v113, v113, v116
	v_xor_b32_e32 v115, 1, v115
	v_and_b32_e32 v103, 0xfffff, v113
	v_add_nc_u32_e32 v113, v103, v116
                                        ; implicit-def: $vgpr103
	v_cmpx_ne_u32_e64 v114, v115
	s_xor_b32 s13, exec_lo, s13
; %bb.800:                              ;   in Loop: Header=BB2_783 Depth=2
	v_cmp_lt_u32_e32 vcc_lo, 0xffffff, v113
	v_sub_nc_u32_e32 v103, v114, v115
	v_cndmask_b32_e64 v114, 0, 1, vcc_lo
	v_add_co_ci_u32_e64 v103, null, 0, v103, vcc_lo
	v_lshrrev_b32_e32 v113, v114, v113
; %bb.801:                              ;   in Loop: Header=BB2_783 Depth=2
	s_andn2_saveexec_b32 s13, s13
; %bb.802:                              ;   in Loop: Header=BB2_783 Depth=2
	v_bfe_u32 v103, v113, 23, 1
; %bb.803:                              ;   in Loop: Header=BB2_783 Depth=2
	s_or_b32 exec_lo, exec_lo, s13
	v_lshrrev_b32_e32 v113, 20, v113
	v_min_i32_e32 v114, 15, v103
	v_cmp_gt_i32_e32 vcc_lo, 16, v103
	v_and_b32_sdwa v112, v112, v85 dst_sel:DWORD dst_unused:UNUSED_PAD src0_sel:BYTE_3 src1_sel:DWORD
	v_lshlrev_b32_e32 v114, 3, v114
	v_cndmask_b32_e32 v113, 7, v113, vcc_lo
	v_and_b32_e32 v114, 0xf8, v114
	v_and_b32_e32 v115, 7, v113
	v_or_b32_e32 v103, v103, v113
	v_or3_b32 v112, v114, v112, v115
	v_cmp_ne_u32_e32 vcc_lo, 0, v103
	v_cndmask_b32_e32 v103, 0, v112, vcc_lo
.LBB2_804:                              ;   in Loop: Header=BB2_783 Depth=2
	s_or_b32 exec_lo, exec_lo, s42
.LBB2_805:                              ;   in Loop: Header=BB2_783 Depth=2
	s_or_b32 exec_lo, exec_lo, s41
	v_cmp_gt_i16_sdwa s41, v10, v84 src0_sel:BYTE_1 src1_sel:DWORD
	s_mov_b32 s13, 0
	s_and_saveexec_b32 s42, s41
	s_xor_b32 s41, exec_lo, s42
	s_cbranch_execz .LBB2_1335
; %bb.806:                              ;   in Loop: Header=BB2_783 Depth=2
	v_cmp_eq_u16_sdwa s43, v10, v85 src0_sel:BYTE_1 src1_sel:DWORD
	s_mov_b32 s13, -1
	s_and_saveexec_b32 s42, s43
; %bb.807:                              ;   in Loop: Header=BB2_783 Depth=2
	s_xor_b32 s13, exec_lo, -1
; %bb.808:                              ;   in Loop: Header=BB2_783 Depth=2
	s_or_b32 exec_lo, exec_lo, s42
	s_and_b32 s13, s13, exec_lo
	s_or_saveexec_b32 s41, s41
	v_mov_b32_e32 v112, 0x7f800001
	s_xor_b32 exec_lo, exec_lo, s41
	s_cbranch_execnz .LBB2_1336
.LBB2_809:                              ;   in Loop: Header=BB2_783 Depth=2
	s_or_b32 exec_lo, exec_lo, s41
	s_and_saveexec_b32 s41, s13
	s_cbranch_execz .LBB2_811
.LBB2_810:                              ;   in Loop: Header=BB2_783 Depth=2
	v_and_b32_sdwa v112, v86, v10 dst_sel:DWORD dst_unused:UNUSED_PAD src0_sel:DWORD src1_sel:BYTE_1
	v_and_b32_e32 v113, 7, v112
	v_bfe_u32 v116, v112, 3, 4
	v_ffbh_u32_e32 v114, v113
	v_cmp_eq_u32_e32 vcc_lo, 0, v116
	v_min_u32_e32 v114, 32, v114
	v_subrev_nc_u32_e32 v115, 28, v114
	v_sub_nc_u32_e32 v114, 29, v114
	v_lshlrev_b32_e32 v112, v115, v112
	v_lshlrev_b32_sdwa v115, v87, v10 dst_sel:DWORD dst_unused:UNUSED_PAD src0_sel:DWORD src1_sel:BYTE_1
	v_cndmask_b32_e32 v114, v116, v114, vcc_lo
	v_and_b32_e32 v112, 7, v112
	v_lshl_add_u32 v114, v114, 23, 0x3b800000
	v_cndmask_b32_e32 v112, v113, v112, vcc_lo
	v_and_b32_e32 v113, 0x80000000, v115
	v_lshlrev_b32_e32 v112, 20, v112
	v_or3_b32 v112, v113, v114, v112
.LBB2_811:                              ;   in Loop: Header=BB2_783 Depth=2
	s_or_b32 exec_lo, exec_lo, s41
	v_mul_f32_e32 v112, s40, v112
	v_mov_b32_e32 v114, 0x8000
	s_mov_b32 s41, exec_lo
	v_and_b32_e32 v113, 0x7f800000, v112
	v_cmpx_ne_u32_e32 0x7f800000, v113
	s_cbranch_execz .LBB2_819
; %bb.812:                              ;   in Loop: Header=BB2_783 Depth=2
	v_mov_b32_e32 v114, 0
	s_mov_b32 s42, exec_lo
	v_cmpx_ne_u32_e32 0, v112
	s_cbranch_execz .LBB2_818
; %bb.813:                              ;   in Loop: Header=BB2_783 Depth=2
	v_bfe_u32 v113, v112, 23, 8
	v_and_b32_e32 v114, 0x7fffff, v112
	v_sub_nc_u32_e32 v115, 0x78, v113
	v_cmp_gt_u32_e32 vcc_lo, 0x79, v113
	v_or_b32_e32 v116, 0x800000, v114
	v_cndmask_b32_e32 v115, 0, v115, vcc_lo
	v_cmp_eq_u32_e32 vcc_lo, 0, v113
	v_add_nc_u32_e32 v113, 0xffffff89, v113
	v_cndmask_b32_e64 v115, v115, 0x77, vcc_lo
	v_cndmask_b32_e32 v114, v116, v114, vcc_lo
	v_cndmask_b32_e64 v113, v113, 0xffffff8a, vcc_lo
	v_lshl_add_u32 v116, 0x100000, v115, -1
	v_lshrrev_b32_e32 v117, v115, v114
	v_lshlrev_b32_e64 v119, v115, 0x80000
	v_add_nc_u32_e32 v115, v115, v113
	v_and_b32_e32 v114, v116, v114
	v_bfe_u32 v118, v117, 20, 1
	v_cmp_eq_u32_e64 s13, v114, v119
	v_add_nc_u32_e32 v116, -1, v118
	v_cndmask_b32_e64 v114, 0, v116, s13
	v_lshrrev_b32_e32 v116, 23, v117
	s_mov_b32 s13, exec_lo
	v_add_nc_u32_e32 v114, v114, v117
	v_xor_b32_e32 v116, 1, v116
	v_and_b32_e32 v113, 0xfffff, v114
	v_add_nc_u32_e32 v114, v113, v117
                                        ; implicit-def: $vgpr113
	v_cmpx_ne_u32_e64 v115, v116
	s_xor_b32 s13, exec_lo, s13
; %bb.814:                              ;   in Loop: Header=BB2_783 Depth=2
	v_cmp_lt_u32_e32 vcc_lo, 0xffffff, v114
	v_sub_nc_u32_e32 v113, v115, v116
	v_cndmask_b32_e64 v115, 0, 1, vcc_lo
	v_add_co_ci_u32_e64 v113, null, 0, v113, vcc_lo
	v_lshrrev_b32_e32 v114, v115, v114
; %bb.815:                              ;   in Loop: Header=BB2_783 Depth=2
	s_andn2_saveexec_b32 s13, s13
; %bb.816:                              ;   in Loop: Header=BB2_783 Depth=2
	v_bfe_u32 v113, v114, 23, 1
; %bb.817:                              ;   in Loop: Header=BB2_783 Depth=2
	s_or_b32 exec_lo, exec_lo, s13
	v_lshrrev_b32_e32 v114, 20, v114
	v_min_i32_e32 v115, 15, v113
	v_cmp_gt_i32_e32 vcc_lo, 16, v113
	v_and_b32_sdwa v112, v112, v85 dst_sel:DWORD dst_unused:UNUSED_PAD src0_sel:BYTE_3 src1_sel:DWORD
	v_lshlrev_b32_e32 v115, 3, v115
	v_cndmask_b32_e32 v114, 7, v114, vcc_lo
	v_and_b32_e32 v115, 0xf8, v115
	v_and_b32_e32 v116, 7, v114
	v_or_b32_e32 v113, v113, v114
	v_or3_b32 v112, v112, v115, v116
	v_cmp_ne_u32_e32 vcc_lo, 0, v113
	v_lshlrev_b32_e32 v112, 8, v112
	v_cndmask_b32_e32 v114, 0, v112, vcc_lo
.LBB2_818:                              ;   in Loop: Header=BB2_783 Depth=2
	s_or_b32 exec_lo, exec_lo, s42
.LBB2_819:                              ;   in Loop: Header=BB2_783 Depth=2
	s_or_b32 exec_lo, exec_lo, s41
	v_and_b32_sdwa v113, v10, v96 dst_sel:DWORD dst_unused:UNUSED_PAD src0_sel:WORD_1 src1_sel:DWORD
	s_mov_b32 s13, 0
	s_mov_b32 s41, exec_lo
	v_cmpx_lt_i16_e32 0x7f, v113
	s_xor_b32 s41, exec_lo, s41
	s_cbranch_execz .LBB2_1337
; %bb.820:                              ;   in Loop: Header=BB2_783 Depth=2
	s_mov_b32 s13, -1
	s_mov_b32 s42, exec_lo
	v_cmpx_eq_u16_e32 0x80, v113
; %bb.821:                              ;   in Loop: Header=BB2_783 Depth=2
	s_xor_b32 s13, exec_lo, -1
; %bb.822:                              ;   in Loop: Header=BB2_783 Depth=2
	s_or_b32 exec_lo, exec_lo, s42
	s_and_b32 s13, s13, exec_lo
                                        ; implicit-def: $vgpr113
	s_or_saveexec_b32 s41, s41
	v_mov_b32_e32 v112, 0x7f800001
	s_xor_b32 exec_lo, exec_lo, s41
	s_cbranch_execnz .LBB2_1338
.LBB2_823:                              ;   in Loop: Header=BB2_783 Depth=2
	s_or_b32 exec_lo, exec_lo, s41
	s_and_saveexec_b32 s41, s13
	s_cbranch_execz .LBB2_825
.LBB2_824:                              ;   in Loop: Header=BB2_783 Depth=2
	v_bfe_u32 v112, v10, 16, 3
	v_bfe_u32 v116, v10, 19, 4
	v_lshlrev_b32_e32 v117, 8, v10
	v_ffbh_u32_e32 v113, v112
	v_cmp_eq_u32_e32 vcc_lo, 0, v116
	v_min_u32_e32 v113, 32, v113
	v_subrev_nc_u32_e32 v115, 28, v113
	v_sub_nc_u32_e32 v113, 29, v113
	v_lshlrev_b32_sdwa v115, v115, v10 dst_sel:DWORD dst_unused:UNUSED_PAD src0_sel:DWORD src1_sel:WORD_1
	v_cndmask_b32_e32 v113, v116, v113, vcc_lo
	v_and_b32_e32 v115, 7, v115
	v_lshl_add_u32 v113, v113, 23, 0x3b800000
	v_cndmask_b32_e32 v112, v112, v115, vcc_lo
	v_and_b32_e32 v115, 0x80000000, v117
	v_lshlrev_b32_e32 v112, 20, v112
	v_or3_b32 v112, v115, v113, v112
.LBB2_825:                              ;   in Loop: Header=BB2_783 Depth=2
	s_or_b32 exec_lo, exec_lo, s41
	v_mul_f32_e32 v112, s40, v112
	v_mov_b32_e32 v119, 0x80
	s_mov_b32 s41, exec_lo
	v_and_b32_e32 v113, 0x7f800000, v112
	v_cmpx_ne_u32_e32 0x7f800000, v113
	s_cbranch_execz .LBB2_833
; %bb.826:                              ;   in Loop: Header=BB2_783 Depth=2
	v_mov_b32_e32 v119, 0
	s_mov_b32 s42, exec_lo
	v_cmpx_ne_u32_e32 0, v112
	s_cbranch_execz .LBB2_832
; %bb.827:                              ;   in Loop: Header=BB2_783 Depth=2
	v_bfe_u32 v113, v112, 23, 8
	v_and_b32_e32 v115, 0x7fffff, v112
	v_sub_nc_u32_e32 v116, 0x78, v113
	v_cmp_gt_u32_e32 vcc_lo, 0x79, v113
	v_or_b32_e32 v117, 0x800000, v115
	v_cndmask_b32_e32 v116, 0, v116, vcc_lo
	v_cmp_eq_u32_e32 vcc_lo, 0, v113
	v_add_nc_u32_e32 v113, 0xffffff89, v113
	v_cndmask_b32_e64 v116, v116, 0x77, vcc_lo
	v_cndmask_b32_e32 v115, v117, v115, vcc_lo
	v_cndmask_b32_e64 v113, v113, 0xffffff8a, vcc_lo
	v_lshl_add_u32 v117, 0x100000, v116, -1
	v_lshrrev_b32_e32 v118, v116, v115
	v_lshlrev_b32_e64 v40, v116, 0x80000
	v_add_nc_u32_e32 v116, v116, v113
	v_and_b32_e32 v115, v117, v115
	v_bfe_u32 v119, v118, 20, 1
	v_cmp_eq_u32_e64 s13, v115, v40
	v_add_nc_u32_e32 v117, -1, v119
	v_cndmask_b32_e64 v115, 0, v117, s13
	v_lshrrev_b32_e32 v117, 23, v118
	s_mov_b32 s13, exec_lo
	v_add_nc_u32_e32 v115, v115, v118
	v_xor_b32_e32 v117, 1, v117
	v_and_b32_e32 v113, 0xfffff, v115
	v_add_nc_u32_e32 v115, v113, v118
                                        ; implicit-def: $vgpr113
	v_cmpx_ne_u32_e64 v116, v117
	s_xor_b32 s13, exec_lo, s13
; %bb.828:                              ;   in Loop: Header=BB2_783 Depth=2
	v_cmp_lt_u32_e32 vcc_lo, 0xffffff, v115
	v_sub_nc_u32_e32 v113, v116, v117
	v_cndmask_b32_e64 v116, 0, 1, vcc_lo
	v_add_co_ci_u32_e64 v113, null, 0, v113, vcc_lo
	v_lshrrev_b32_e32 v115, v116, v115
; %bb.829:                              ;   in Loop: Header=BB2_783 Depth=2
	s_andn2_saveexec_b32 s13, s13
; %bb.830:                              ;   in Loop: Header=BB2_783 Depth=2
	v_bfe_u32 v113, v115, 23, 1
; %bb.831:                              ;   in Loop: Header=BB2_783 Depth=2
	s_or_b32 exec_lo, exec_lo, s13
	v_lshrrev_b32_e32 v115, 20, v115
	v_min_i32_e32 v116, 15, v113
	v_cmp_gt_i32_e32 vcc_lo, 16, v113
	v_and_b32_sdwa v112, v112, v85 dst_sel:DWORD dst_unused:UNUSED_PAD src0_sel:BYTE_3 src1_sel:DWORD
	v_lshlrev_b32_e32 v116, 3, v116
	v_cndmask_b32_e32 v115, 7, v115, vcc_lo
	v_and_b32_e32 v116, 0xf8, v116
	v_and_b32_e32 v117, 7, v115
	v_or_b32_e32 v113, v113, v115
	v_or3_b32 v112, v116, v112, v117
	v_cmp_ne_u32_e32 vcc_lo, 0, v113
	v_cndmask_b32_e32 v119, 0, v112, vcc_lo
.LBB2_832:                              ;   in Loop: Header=BB2_783 Depth=2
	s_or_b32 exec_lo, exec_lo, s42
.LBB2_833:                              ;   in Loop: Header=BB2_783 Depth=2
	s_or_b32 exec_lo, exec_lo, s41
	v_cmp_gt_i16_sdwa s41, v10, v84 src0_sel:BYTE_3 src1_sel:DWORD
	s_mov_b32 s13, 0
	s_and_saveexec_b32 s42, s41
	s_xor_b32 s41, exec_lo, s42
	s_cbranch_execz .LBB2_1339
; %bb.834:                              ;   in Loop: Header=BB2_783 Depth=2
	v_cmp_eq_u16_sdwa s43, v10, v85 src0_sel:BYTE_3 src1_sel:DWORD
	s_mov_b32 s13, -1
	s_and_saveexec_b32 s42, s43
; %bb.835:                              ;   in Loop: Header=BB2_783 Depth=2
	s_xor_b32 s13, exec_lo, -1
; %bb.836:                              ;   in Loop: Header=BB2_783 Depth=2
	s_or_b32 exec_lo, exec_lo, s42
	s_and_b32 s13, s13, exec_lo
	s_or_saveexec_b32 s41, s41
	v_mov_b32_e32 v112, 0x7f800001
	s_xor_b32 exec_lo, exec_lo, s41
	s_cbranch_execnz .LBB2_1340
.LBB2_837:                              ;   in Loop: Header=BB2_783 Depth=2
	s_or_b32 exec_lo, exec_lo, s41
	s_and_saveexec_b32 s41, s13
	s_cbranch_execz .LBB2_839
.LBB2_838:                              ;   in Loop: Header=BB2_783 Depth=2
	v_bfe_u32 v112, v10, 24, 3
	v_bfe_u32 v116, v10, 27, 4
	v_ffbh_u32_e32 v113, v112
	v_cmp_eq_u32_e32 vcc_lo, 0, v116
	v_min_u32_e32 v113, 32, v113
	v_subrev_nc_u32_e32 v115, 28, v113
	v_sub_nc_u32_e32 v113, 29, v113
	v_lshlrev_b32_sdwa v115, v115, v10 dst_sel:DWORD dst_unused:UNUSED_PAD src0_sel:DWORD src1_sel:BYTE_3
	v_cndmask_b32_e32 v113, v116, v113, vcc_lo
	v_and_b32_e32 v10, 0x80000000, v10
	v_and_b32_e32 v115, 7, v115
	v_lshl_add_u32 v113, v113, 23, 0x3b800000
	v_cndmask_b32_e32 v112, v112, v115, vcc_lo
	v_lshlrev_b32_e32 v112, 20, v112
	v_or3_b32 v112, v10, v113, v112
.LBB2_839:                              ;   in Loop: Header=BB2_783 Depth=2
	s_or_b32 exec_lo, exec_lo, s41
	v_mul_f32_e32 v10, s40, v112
	v_mov_b32_e32 v46, 0x8000
	s_mov_b32 s41, exec_lo
	v_and_b32_e32 v112, 0x7f800000, v10
	v_cmpx_ne_u32_e32 0x7f800000, v112
	s_cbranch_execz .LBB2_847
; %bb.840:                              ;   in Loop: Header=BB2_783 Depth=2
	v_mov_b32_e32 v46, 0
	s_mov_b32 s42, exec_lo
	v_cmpx_ne_u32_e32 0, v10
	s_cbranch_execz .LBB2_846
; %bb.841:                              ;   in Loop: Header=BB2_783 Depth=2
	v_bfe_u32 v112, v10, 23, 8
	v_and_b32_e32 v113, 0x7fffff, v10
	v_sub_nc_u32_e32 v115, 0x78, v112
	v_cmp_gt_u32_e32 vcc_lo, 0x79, v112
	v_or_b32_e32 v116, 0x800000, v113
	v_cndmask_b32_e32 v115, 0, v115, vcc_lo
	v_cmp_eq_u32_e32 vcc_lo, 0, v112
	v_add_nc_u32_e32 v112, 0xffffff89, v112
	v_cndmask_b32_e64 v115, v115, 0x77, vcc_lo
	v_cndmask_b32_e32 v113, v116, v113, vcc_lo
	v_cndmask_b32_e64 v112, v112, 0xffffff8a, vcc_lo
	v_lshl_add_u32 v116, 0x100000, v115, -1
	v_lshrrev_b32_e32 v117, v115, v113
	v_lshlrev_b32_e64 v40, v115, 0x80000
	v_add_nc_u32_e32 v115, v115, v112
	v_and_b32_e32 v113, v116, v113
	v_bfe_u32 v118, v117, 20, 1
	v_cmp_eq_u32_e64 s13, v113, v40
	v_add_nc_u32_e32 v116, -1, v118
	v_cndmask_b32_e64 v113, 0, v116, s13
	v_lshrrev_b32_e32 v116, 23, v117
	s_mov_b32 s13, exec_lo
	v_add_nc_u32_e32 v113, v113, v117
	v_xor_b32_e32 v116, 1, v116
	v_and_b32_e32 v112, 0xfffff, v113
	v_add_nc_u32_e32 v113, v112, v117
                                        ; implicit-def: $vgpr112
	v_cmpx_ne_u32_e64 v115, v116
	s_xor_b32 s13, exec_lo, s13
; %bb.842:                              ;   in Loop: Header=BB2_783 Depth=2
	v_cmp_lt_u32_e32 vcc_lo, 0xffffff, v113
	v_sub_nc_u32_e32 v112, v115, v116
	v_cndmask_b32_e64 v115, 0, 1, vcc_lo
	v_add_co_ci_u32_e64 v112, null, 0, v112, vcc_lo
	v_lshrrev_b32_e32 v113, v115, v113
; %bb.843:                              ;   in Loop: Header=BB2_783 Depth=2
	s_andn2_saveexec_b32 s13, s13
; %bb.844:                              ;   in Loop: Header=BB2_783 Depth=2
	v_bfe_u32 v112, v113, 23, 1
; %bb.845:                              ;   in Loop: Header=BB2_783 Depth=2
	s_or_b32 exec_lo, exec_lo, s13
	v_lshrrev_b32_e32 v113, 20, v113
	v_min_i32_e32 v115, 15, v112
	v_cmp_gt_i32_e32 vcc_lo, 16, v112
	v_and_b32_sdwa v10, v10, v85 dst_sel:DWORD dst_unused:UNUSED_PAD src0_sel:BYTE_3 src1_sel:DWORD
	v_lshlrev_b32_e32 v115, 3, v115
	v_cndmask_b32_e32 v113, 7, v113, vcc_lo
	v_and_b32_e32 v115, 0xf8, v115
	v_and_b32_e32 v116, 7, v113
	v_or_b32_e32 v112, v112, v113
	v_or3_b32 v10, v10, v115, v116
	v_cmp_ne_u32_e32 vcc_lo, 0, v112
	v_lshlrev_b32_e32 v10, 8, v10
	v_cndmask_b32_e32 v46, 0, v10, vcc_lo
.LBB2_846:                              ;   in Loop: Header=BB2_783 Depth=2
	s_or_b32 exec_lo, exec_lo, s42
.LBB2_847:                              ;   in Loop: Header=BB2_783 Depth=2
	s_or_b32 exec_lo, exec_lo, s41
	v_cmp_gt_i16_sdwa s41, v11, v84 src0_sel:BYTE_0 src1_sel:DWORD
	s_mov_b32 s13, 0
	s_and_saveexec_b32 s42, s41
	s_xor_b32 s41, exec_lo, s42
	s_cbranch_execz .LBB2_1341
; %bb.848:                              ;   in Loop: Header=BB2_783 Depth=2
	v_cmp_eq_u16_sdwa s43, v11, v85 src0_sel:BYTE_0 src1_sel:DWORD
	s_mov_b32 s13, -1
	s_and_saveexec_b32 s42, s43
; %bb.849:                              ;   in Loop: Header=BB2_783 Depth=2
	s_xor_b32 s13, exec_lo, -1
; %bb.850:                              ;   in Loop: Header=BB2_783 Depth=2
	s_or_b32 exec_lo, exec_lo, s42
	s_and_b32 s13, s13, exec_lo
	s_or_saveexec_b32 s41, s41
	v_mov_b32_e32 v10, 0x7f800001
	s_xor_b32 exec_lo, exec_lo, s41
	s_cbranch_execnz .LBB2_1342
.LBB2_851:                              ;   in Loop: Header=BB2_783 Depth=2
	s_or_b32 exec_lo, exec_lo, s41
	s_and_saveexec_b32 s41, s13
	s_cbranch_execz .LBB2_853
.LBB2_852:                              ;   in Loop: Header=BB2_783 Depth=2
	v_and_b32_e32 v10, 7, v11
	v_bfe_u32 v115, v11, 3, 4
	v_lshlrev_b32_e32 v116, 24, v11
	v_ffbh_u32_e32 v112, v10
	v_cmp_eq_u32_e32 vcc_lo, 0, v115
	v_min_u32_e32 v112, 32, v112
	v_subrev_nc_u32_e32 v113, 28, v112
	v_sub_nc_u32_e32 v112, 29, v112
	v_lshlrev_b32_e32 v113, v113, v11
	v_cndmask_b32_e32 v112, v115, v112, vcc_lo
	v_and_b32_e32 v113, 7, v113
	v_lshl_add_u32 v112, v112, 23, 0x3b800000
	v_cndmask_b32_e32 v10, v10, v113, vcc_lo
	v_and_b32_e32 v113, 0x80000000, v116
	v_lshlrev_b32_e32 v10, 20, v10
	v_or3_b32 v10, v113, v112, v10
.LBB2_853:                              ;   in Loop: Header=BB2_783 Depth=2
	s_or_b32 exec_lo, exec_lo, s41
	v_mul_f32_e32 v10, s40, v10
	v_mov_b32_e32 v43, 0x80
	s_mov_b32 s41, exec_lo
	v_and_b32_e32 v112, 0x7f800000, v10
	v_cmpx_ne_u32_e32 0x7f800000, v112
	s_cbranch_execz .LBB2_861
; %bb.854:                              ;   in Loop: Header=BB2_783 Depth=2
	v_mov_b32_e32 v43, 0
	s_mov_b32 s42, exec_lo
	v_cmpx_ne_u32_e32 0, v10
	s_cbranch_execz .LBB2_860
; %bb.855:                              ;   in Loop: Header=BB2_783 Depth=2
	v_bfe_u32 v112, v10, 23, 8
	v_and_b32_e32 v113, 0x7fffff, v10
	v_sub_nc_u32_e32 v115, 0x78, v112
	v_cmp_gt_u32_e32 vcc_lo, 0x79, v112
	v_or_b32_e32 v116, 0x800000, v113
	v_cndmask_b32_e32 v115, 0, v115, vcc_lo
	v_cmp_eq_u32_e32 vcc_lo, 0, v112
	v_add_nc_u32_e32 v112, 0xffffff89, v112
	v_cndmask_b32_e64 v115, v115, 0x77, vcc_lo
	v_cndmask_b32_e32 v113, v116, v113, vcc_lo
	v_cndmask_b32_e64 v112, v112, 0xffffff8a, vcc_lo
	v_lshl_add_u32 v116, 0x100000, v115, -1
	v_lshrrev_b32_e32 v117, v115, v113
	v_lshlrev_b32_e64 v40, v115, 0x80000
	v_add_nc_u32_e32 v115, v115, v112
	v_and_b32_e32 v113, v116, v113
	v_bfe_u32 v118, v117, 20, 1
	v_cmp_eq_u32_e64 s13, v113, v40
	v_add_nc_u32_e32 v116, -1, v118
	v_cndmask_b32_e64 v113, 0, v116, s13
	v_lshrrev_b32_e32 v116, 23, v117
	s_mov_b32 s13, exec_lo
	v_add_nc_u32_e32 v113, v113, v117
	v_xor_b32_e32 v116, 1, v116
	v_and_b32_e32 v112, 0xfffff, v113
	v_add_nc_u32_e32 v113, v112, v117
                                        ; implicit-def: $vgpr112
	v_cmpx_ne_u32_e64 v115, v116
	s_xor_b32 s13, exec_lo, s13
; %bb.856:                              ;   in Loop: Header=BB2_783 Depth=2
	v_cmp_lt_u32_e32 vcc_lo, 0xffffff, v113
	v_sub_nc_u32_e32 v112, v115, v116
	v_cndmask_b32_e64 v115, 0, 1, vcc_lo
	v_add_co_ci_u32_e64 v112, null, 0, v112, vcc_lo
	v_lshrrev_b32_e32 v113, v115, v113
; %bb.857:                              ;   in Loop: Header=BB2_783 Depth=2
	s_andn2_saveexec_b32 s13, s13
; %bb.858:                              ;   in Loop: Header=BB2_783 Depth=2
	v_bfe_u32 v112, v113, 23, 1
; %bb.859:                              ;   in Loop: Header=BB2_783 Depth=2
	s_or_b32 exec_lo, exec_lo, s13
	v_lshrrev_b32_e32 v113, 20, v113
	v_min_i32_e32 v115, 15, v112
	v_cmp_gt_i32_e32 vcc_lo, 16, v112
	v_and_b32_sdwa v10, v10, v85 dst_sel:DWORD dst_unused:UNUSED_PAD src0_sel:BYTE_3 src1_sel:DWORD
	v_lshlrev_b32_e32 v115, 3, v115
	v_cndmask_b32_e32 v113, 7, v113, vcc_lo
	v_and_b32_e32 v115, 0xf8, v115
	v_and_b32_e32 v116, 7, v113
	v_or_b32_e32 v112, v112, v113
	v_or3_b32 v10, v115, v10, v116
	v_cmp_ne_u32_e32 vcc_lo, 0, v112
	v_cndmask_b32_e32 v43, 0, v10, vcc_lo
.LBB2_860:                              ;   in Loop: Header=BB2_783 Depth=2
	s_or_b32 exec_lo, exec_lo, s42
.LBB2_861:                              ;   in Loop: Header=BB2_783 Depth=2
	s_or_b32 exec_lo, exec_lo, s41
	v_cmp_gt_i16_sdwa s41, v11, v84 src0_sel:BYTE_1 src1_sel:DWORD
	s_mov_b32 s13, 0
	s_and_saveexec_b32 s42, s41
	s_xor_b32 s41, exec_lo, s42
	s_cbranch_execz .LBB2_1343
; %bb.862:                              ;   in Loop: Header=BB2_783 Depth=2
	v_cmp_eq_u16_sdwa s43, v11, v85 src0_sel:BYTE_1 src1_sel:DWORD
	s_mov_b32 s13, -1
	s_and_saveexec_b32 s42, s43
; %bb.863:                              ;   in Loop: Header=BB2_783 Depth=2
	s_xor_b32 s13, exec_lo, -1
; %bb.864:                              ;   in Loop: Header=BB2_783 Depth=2
	s_or_b32 exec_lo, exec_lo, s42
	s_and_b32 s13, s13, exec_lo
	s_or_saveexec_b32 s41, s41
	v_mov_b32_e32 v10, 0x7f800001
	s_xor_b32 exec_lo, exec_lo, s41
	s_cbranch_execnz .LBB2_1344
.LBB2_865:                              ;   in Loop: Header=BB2_783 Depth=2
	s_or_b32 exec_lo, exec_lo, s41
	s_and_saveexec_b32 s41, s13
	s_cbranch_execz .LBB2_867
.LBB2_866:                              ;   in Loop: Header=BB2_783 Depth=2
	v_and_b32_sdwa v10, v86, v11 dst_sel:DWORD dst_unused:UNUSED_PAD src0_sel:DWORD src1_sel:BYTE_1
	v_and_b32_e32 v112, 7, v10
	v_bfe_u32 v116, v10, 3, 4
	v_ffbh_u32_e32 v113, v112
	v_cmp_eq_u32_e32 vcc_lo, 0, v116
	v_min_u32_e32 v113, 32, v113
	v_subrev_nc_u32_e32 v115, 28, v113
	v_sub_nc_u32_e32 v113, 29, v113
	v_lshlrev_b32_e32 v10, v115, v10
	v_lshlrev_b32_sdwa v115, v87, v11 dst_sel:DWORD dst_unused:UNUSED_PAD src0_sel:DWORD src1_sel:BYTE_1
	v_cndmask_b32_e32 v113, v116, v113, vcc_lo
	v_and_b32_e32 v10, 7, v10
	v_lshl_add_u32 v113, v113, 23, 0x3b800000
	v_cndmask_b32_e32 v10, v112, v10, vcc_lo
	v_and_b32_e32 v112, 0x80000000, v115
	v_lshlrev_b32_e32 v10, 20, v10
	v_or3_b32 v10, v112, v113, v10
.LBB2_867:                              ;   in Loop: Header=BB2_783 Depth=2
	s_or_b32 exec_lo, exec_lo, s41
	v_mul_f32_e32 v10, s40, v10
	v_mov_b32_e32 v45, 0x8000
	s_mov_b32 s41, exec_lo
	v_and_b32_e32 v112, 0x7f800000, v10
	v_cmpx_ne_u32_e32 0x7f800000, v112
	s_cbranch_execz .LBB2_875
; %bb.868:                              ;   in Loop: Header=BB2_783 Depth=2
	v_mov_b32_e32 v45, 0
	s_mov_b32 s42, exec_lo
	v_cmpx_ne_u32_e32 0, v10
	s_cbranch_execz .LBB2_874
; %bb.869:                              ;   in Loop: Header=BB2_783 Depth=2
	v_bfe_u32 v112, v10, 23, 8
	v_and_b32_e32 v113, 0x7fffff, v10
	v_sub_nc_u32_e32 v115, 0x78, v112
	v_cmp_gt_u32_e32 vcc_lo, 0x79, v112
	v_or_b32_e32 v116, 0x800000, v113
	v_cndmask_b32_e32 v115, 0, v115, vcc_lo
	v_cmp_eq_u32_e32 vcc_lo, 0, v112
	v_add_nc_u32_e32 v112, 0xffffff89, v112
	v_cndmask_b32_e64 v115, v115, 0x77, vcc_lo
	v_cndmask_b32_e32 v113, v116, v113, vcc_lo
	v_cndmask_b32_e64 v112, v112, 0xffffff8a, vcc_lo
	v_lshl_add_u32 v116, 0x100000, v115, -1
	v_lshrrev_b32_e32 v117, v115, v113
	v_lshlrev_b32_e64 v40, v115, 0x80000
	v_add_nc_u32_e32 v115, v115, v112
	v_and_b32_e32 v113, v116, v113
	v_bfe_u32 v118, v117, 20, 1
	v_cmp_eq_u32_e64 s13, v113, v40
	v_add_nc_u32_e32 v116, -1, v118
	v_cndmask_b32_e64 v113, 0, v116, s13
	v_lshrrev_b32_e32 v116, 23, v117
	s_mov_b32 s13, exec_lo
	v_add_nc_u32_e32 v113, v113, v117
	v_xor_b32_e32 v116, 1, v116
	v_and_b32_e32 v112, 0xfffff, v113
	v_add_nc_u32_e32 v113, v112, v117
                                        ; implicit-def: $vgpr112
	v_cmpx_ne_u32_e64 v115, v116
	s_xor_b32 s13, exec_lo, s13
; %bb.870:                              ;   in Loop: Header=BB2_783 Depth=2
	v_cmp_lt_u32_e32 vcc_lo, 0xffffff, v113
	v_sub_nc_u32_e32 v112, v115, v116
	v_cndmask_b32_e64 v115, 0, 1, vcc_lo
	v_add_co_ci_u32_e64 v112, null, 0, v112, vcc_lo
	v_lshrrev_b32_e32 v113, v115, v113
; %bb.871:                              ;   in Loop: Header=BB2_783 Depth=2
	s_andn2_saveexec_b32 s13, s13
; %bb.872:                              ;   in Loop: Header=BB2_783 Depth=2
	v_bfe_u32 v112, v113, 23, 1
; %bb.873:                              ;   in Loop: Header=BB2_783 Depth=2
	s_or_b32 exec_lo, exec_lo, s13
	v_lshrrev_b32_e32 v113, 20, v113
	v_min_i32_e32 v115, 15, v112
	v_cmp_gt_i32_e32 vcc_lo, 16, v112
	v_and_b32_sdwa v10, v10, v85 dst_sel:DWORD dst_unused:UNUSED_PAD src0_sel:BYTE_3 src1_sel:DWORD
	v_lshlrev_b32_e32 v115, 3, v115
	v_cndmask_b32_e32 v113, 7, v113, vcc_lo
	v_and_b32_e32 v115, 0xf8, v115
	v_and_b32_e32 v116, 7, v113
	v_or_b32_e32 v112, v112, v113
	v_or3_b32 v10, v10, v115, v116
	v_cmp_ne_u32_e32 vcc_lo, 0, v112
	v_lshlrev_b32_e32 v10, 8, v10
	v_cndmask_b32_e32 v45, 0, v10, vcc_lo
.LBB2_874:                              ;   in Loop: Header=BB2_783 Depth=2
	s_or_b32 exec_lo, exec_lo, s42
.LBB2_875:                              ;   in Loop: Header=BB2_783 Depth=2
	s_or_b32 exec_lo, exec_lo, s41
	v_and_b32_sdwa v112, v11, v96 dst_sel:DWORD dst_unused:UNUSED_PAD src0_sel:WORD_1 src1_sel:DWORD
	s_mov_b32 s13, 0
	s_mov_b32 s41, exec_lo
	v_cmpx_lt_i16_e32 0x7f, v112
	s_xor_b32 s41, exec_lo, s41
	s_cbranch_execz .LBB2_1345
; %bb.876:                              ;   in Loop: Header=BB2_783 Depth=2
	s_mov_b32 s13, -1
	s_mov_b32 s42, exec_lo
	v_cmpx_eq_u16_e32 0x80, v112
; %bb.877:                              ;   in Loop: Header=BB2_783 Depth=2
	s_xor_b32 s13, exec_lo, -1
; %bb.878:                              ;   in Loop: Header=BB2_783 Depth=2
	s_or_b32 exec_lo, exec_lo, s42
	s_and_b32 s13, s13, exec_lo
                                        ; implicit-def: $vgpr112
	s_or_saveexec_b32 s41, s41
	v_mov_b32_e32 v10, 0x7f800001
	s_xor_b32 exec_lo, exec_lo, s41
	s_cbranch_execnz .LBB2_1346
.LBB2_879:                              ;   in Loop: Header=BB2_783 Depth=2
	s_or_b32 exec_lo, exec_lo, s41
	s_and_saveexec_b32 s41, s13
	s_cbranch_execz .LBB2_881
.LBB2_880:                              ;   in Loop: Header=BB2_783 Depth=2
	v_bfe_u32 v10, v11, 16, 3
	v_bfe_u32 v115, v11, 19, 4
	v_lshlrev_b32_e32 v116, 8, v11
	v_ffbh_u32_e32 v112, v10
	v_cmp_eq_u32_e32 vcc_lo, 0, v115
	v_min_u32_e32 v112, 32, v112
	v_subrev_nc_u32_e32 v113, 28, v112
	v_sub_nc_u32_e32 v112, 29, v112
	v_lshlrev_b32_sdwa v113, v113, v11 dst_sel:DWORD dst_unused:UNUSED_PAD src0_sel:DWORD src1_sel:WORD_1
	v_cndmask_b32_e32 v112, v115, v112, vcc_lo
	v_and_b32_e32 v113, 7, v113
	v_lshl_add_u32 v112, v112, 23, 0x3b800000
	v_cndmask_b32_e32 v10, v10, v113, vcc_lo
	v_and_b32_e32 v113, 0x80000000, v116
	v_lshlrev_b32_e32 v10, 20, v10
	v_or3_b32 v10, v113, v112, v10
.LBB2_881:                              ;   in Loop: Header=BB2_783 Depth=2
	s_or_b32 exec_lo, exec_lo, s41
	v_mul_f32_e32 v10, s40, v10
	v_mov_b32_e32 v41, 0x80
	s_mov_b32 s41, exec_lo
	v_and_b32_e32 v112, 0x7f800000, v10
	v_cmpx_ne_u32_e32 0x7f800000, v112
	s_cbranch_execz .LBB2_889
; %bb.882:                              ;   in Loop: Header=BB2_783 Depth=2
	v_mov_b32_e32 v41, 0
	s_mov_b32 s42, exec_lo
	v_cmpx_ne_u32_e32 0, v10
	s_cbranch_execz .LBB2_888
; %bb.883:                              ;   in Loop: Header=BB2_783 Depth=2
	v_bfe_u32 v112, v10, 23, 8
	v_and_b32_e32 v113, 0x7fffff, v10
	v_sub_nc_u32_e32 v115, 0x78, v112
	v_cmp_gt_u32_e32 vcc_lo, 0x79, v112
	v_or_b32_e32 v116, 0x800000, v113
	v_cndmask_b32_e32 v115, 0, v115, vcc_lo
	v_cmp_eq_u32_e32 vcc_lo, 0, v112
	v_add_nc_u32_e32 v112, 0xffffff89, v112
	v_cndmask_b32_e64 v115, v115, 0x77, vcc_lo
	v_cndmask_b32_e32 v113, v116, v113, vcc_lo
	v_cndmask_b32_e64 v112, v112, 0xffffff8a, vcc_lo
	v_lshl_add_u32 v116, 0x100000, v115, -1
	v_lshrrev_b32_e32 v117, v115, v113
	v_lshlrev_b32_e64 v40, v115, 0x80000
	v_add_nc_u32_e32 v115, v115, v112
	v_and_b32_e32 v113, v116, v113
	v_bfe_u32 v118, v117, 20, 1
	v_cmp_eq_u32_e64 s13, v113, v40
	v_add_nc_u32_e32 v116, -1, v118
	v_cndmask_b32_e64 v113, 0, v116, s13
	v_lshrrev_b32_e32 v116, 23, v117
	s_mov_b32 s13, exec_lo
	v_add_nc_u32_e32 v113, v113, v117
	v_xor_b32_e32 v116, 1, v116
	v_and_b32_e32 v112, 0xfffff, v113
	v_add_nc_u32_e32 v113, v112, v117
                                        ; implicit-def: $vgpr112
	v_cmpx_ne_u32_e64 v115, v116
	s_xor_b32 s13, exec_lo, s13
; %bb.884:                              ;   in Loop: Header=BB2_783 Depth=2
	v_cmp_lt_u32_e32 vcc_lo, 0xffffff, v113
	v_sub_nc_u32_e32 v112, v115, v116
	v_cndmask_b32_e64 v115, 0, 1, vcc_lo
	v_add_co_ci_u32_e64 v112, null, 0, v112, vcc_lo
	v_lshrrev_b32_e32 v113, v115, v113
; %bb.885:                              ;   in Loop: Header=BB2_783 Depth=2
	s_andn2_saveexec_b32 s13, s13
; %bb.886:                              ;   in Loop: Header=BB2_783 Depth=2
	v_bfe_u32 v112, v113, 23, 1
; %bb.887:                              ;   in Loop: Header=BB2_783 Depth=2
	s_or_b32 exec_lo, exec_lo, s13
	v_lshrrev_b32_e32 v113, 20, v113
	v_min_i32_e32 v115, 15, v112
	v_cmp_gt_i32_e32 vcc_lo, 16, v112
	v_and_b32_sdwa v10, v10, v85 dst_sel:DWORD dst_unused:UNUSED_PAD src0_sel:BYTE_3 src1_sel:DWORD
	v_lshlrev_b32_e32 v115, 3, v115
	v_cndmask_b32_e32 v113, 7, v113, vcc_lo
	v_and_b32_e32 v115, 0xf8, v115
	v_and_b32_e32 v116, 7, v113
	v_or_b32_e32 v112, v112, v113
	v_or3_b32 v10, v115, v10, v116
	v_cmp_ne_u32_e32 vcc_lo, 0, v112
	v_cndmask_b32_e32 v41, 0, v10, vcc_lo
.LBB2_888:                              ;   in Loop: Header=BB2_783 Depth=2
	s_or_b32 exec_lo, exec_lo, s42
.LBB2_889:                              ;   in Loop: Header=BB2_783 Depth=2
	s_or_b32 exec_lo, exec_lo, s41
	v_cmp_gt_i16_sdwa s41, v11, v84 src0_sel:BYTE_3 src1_sel:DWORD
	s_mov_b32 s13, 0
	s_and_saveexec_b32 s42, s41
	s_xor_b32 s41, exec_lo, s42
	s_cbranch_execz .LBB2_1347
; %bb.890:                              ;   in Loop: Header=BB2_783 Depth=2
	v_cmp_eq_u16_sdwa s43, v11, v85 src0_sel:BYTE_3 src1_sel:DWORD
	s_mov_b32 s13, -1
	s_and_saveexec_b32 s42, s43
; %bb.891:                              ;   in Loop: Header=BB2_783 Depth=2
	s_xor_b32 s13, exec_lo, -1
; %bb.892:                              ;   in Loop: Header=BB2_783 Depth=2
	s_or_b32 exec_lo, exec_lo, s42
	s_and_b32 s13, s13, exec_lo
	s_or_saveexec_b32 s41, s41
	v_mov_b32_e32 v10, 0x7f800001
	s_xor_b32 exec_lo, exec_lo, s41
	s_cbranch_execnz .LBB2_1348
.LBB2_893:                              ;   in Loop: Header=BB2_783 Depth=2
	s_or_b32 exec_lo, exec_lo, s41
	s_and_saveexec_b32 s41, s13
	s_cbranch_execz .LBB2_895
.LBB2_894:                              ;   in Loop: Header=BB2_783 Depth=2
	v_bfe_u32 v10, v11, 24, 3
	v_bfe_u32 v115, v11, 27, 4
	v_ffbh_u32_e32 v112, v10
	v_cmp_eq_u32_e32 vcc_lo, 0, v115
	v_min_u32_e32 v112, 32, v112
	v_subrev_nc_u32_e32 v113, 28, v112
	v_sub_nc_u32_e32 v112, 29, v112
	v_lshlrev_b32_sdwa v113, v113, v11 dst_sel:DWORD dst_unused:UNUSED_PAD src0_sel:DWORD src1_sel:BYTE_3
	v_cndmask_b32_e32 v112, v115, v112, vcc_lo
	v_and_b32_e32 v11, 0x80000000, v11
	v_and_b32_e32 v113, 7, v113
	v_lshl_add_u32 v112, v112, 23, 0x3b800000
	v_cndmask_b32_e32 v10, v10, v113, vcc_lo
	v_lshlrev_b32_e32 v10, 20, v10
	v_or3_b32 v10, v11, v112, v10
.LBB2_895:                              ;   in Loop: Header=BB2_783 Depth=2
	s_or_b32 exec_lo, exec_lo, s41
	v_mul_f32_e32 v10, s40, v10
	v_mov_b32_e32 v44, 0x8000
	s_mov_b32 s41, exec_lo
	v_and_b32_e32 v11, 0x7f800000, v10
	v_cmpx_ne_u32_e32 0x7f800000, v11
	s_cbranch_execz .LBB2_903
; %bb.896:                              ;   in Loop: Header=BB2_783 Depth=2
	v_mov_b32_e32 v44, 0
	s_mov_b32 s42, exec_lo
	v_cmpx_ne_u32_e32 0, v10
	s_cbranch_execz .LBB2_902
; %bb.897:                              ;   in Loop: Header=BB2_783 Depth=2
	v_bfe_u32 v11, v10, 23, 8
	v_and_b32_e32 v112, 0x7fffff, v10
	v_sub_nc_u32_e32 v113, 0x78, v11
	v_cmp_gt_u32_e32 vcc_lo, 0x79, v11
	v_or_b32_e32 v115, 0x800000, v112
	v_cndmask_b32_e32 v113, 0, v113, vcc_lo
	v_cmp_eq_u32_e32 vcc_lo, 0, v11
	v_add_nc_u32_e32 v11, 0xffffff89, v11
	v_cndmask_b32_e64 v113, v113, 0x77, vcc_lo
	v_cndmask_b32_e32 v112, v115, v112, vcc_lo
	v_cndmask_b32_e64 v11, v11, 0xffffff8a, vcc_lo
	v_lshl_add_u32 v115, 0x100000, v113, -1
	v_lshrrev_b32_e32 v116, v113, v112
	v_lshlrev_b32_e64 v118, v113, 0x80000
	v_add_nc_u32_e32 v113, v113, v11
	v_and_b32_e32 v112, v115, v112
	v_bfe_u32 v117, v116, 20, 1
	v_cmp_eq_u32_e64 s13, v112, v118
	v_add_nc_u32_e32 v115, -1, v117
	v_cndmask_b32_e64 v112, 0, v115, s13
	v_lshrrev_b32_e32 v115, 23, v116
	s_mov_b32 s13, exec_lo
	v_add_nc_u32_e32 v112, v112, v116
	v_xor_b32_e32 v115, 1, v115
	v_and_b32_e32 v11, 0xfffff, v112
	v_add_nc_u32_e32 v112, v11, v116
                                        ; implicit-def: $vgpr11
	v_cmpx_ne_u32_e64 v113, v115
	s_xor_b32 s13, exec_lo, s13
; %bb.898:                              ;   in Loop: Header=BB2_783 Depth=2
	v_cmp_lt_u32_e32 vcc_lo, 0xffffff, v112
	v_sub_nc_u32_e32 v11, v113, v115
	v_cndmask_b32_e64 v113, 0, 1, vcc_lo
	v_add_co_ci_u32_e64 v11, null, 0, v11, vcc_lo
	v_lshrrev_b32_e32 v112, v113, v112
; %bb.899:                              ;   in Loop: Header=BB2_783 Depth=2
	s_andn2_saveexec_b32 s13, s13
; %bb.900:                              ;   in Loop: Header=BB2_783 Depth=2
	v_bfe_u32 v11, v112, 23, 1
; %bb.901:                              ;   in Loop: Header=BB2_783 Depth=2
	s_or_b32 exec_lo, exec_lo, s13
	v_lshrrev_b32_e32 v112, 20, v112
	v_min_i32_e32 v113, 15, v11
	v_cmp_gt_i32_e32 vcc_lo, 16, v11
	v_and_b32_sdwa v10, v10, v85 dst_sel:DWORD dst_unused:UNUSED_PAD src0_sel:BYTE_3 src1_sel:DWORD
	v_lshlrev_b32_e32 v113, 3, v113
	v_cndmask_b32_e32 v112, 7, v112, vcc_lo
	v_and_b32_e32 v113, 0xf8, v113
	v_and_b32_e32 v115, 7, v112
	v_or_b32_e32 v11, v11, v112
	v_or3_b32 v10, v10, v113, v115
	v_cmp_ne_u32_e32 vcc_lo, 0, v11
	v_lshlrev_b32_e32 v10, 8, v10
	v_cndmask_b32_e32 v44, 0, v10, vcc_lo
.LBB2_902:                              ;   in Loop: Header=BB2_783 Depth=2
	s_or_b32 exec_lo, exec_lo, s42
.LBB2_903:                              ;   in Loop: Header=BB2_783 Depth=2
	s_or_b32 exec_lo, exec_lo, s41
	v_cmp_gt_i16_sdwa s41, v12, v84 src0_sel:BYTE_0 src1_sel:DWORD
	s_mov_b32 s13, 0
	s_and_saveexec_b32 s42, s41
	s_xor_b32 s41, exec_lo, s42
	s_cbranch_execz .LBB2_1349
; %bb.904:                              ;   in Loop: Header=BB2_783 Depth=2
	v_cmp_eq_u16_sdwa s43, v12, v85 src0_sel:BYTE_0 src1_sel:DWORD
	s_mov_b32 s13, -1
	s_and_saveexec_b32 s42, s43
; %bb.905:                              ;   in Loop: Header=BB2_783 Depth=2
	s_xor_b32 s13, exec_lo, -1
; %bb.906:                              ;   in Loop: Header=BB2_783 Depth=2
	s_or_b32 exec_lo, exec_lo, s42
	s_and_b32 s13, s13, exec_lo
	s_or_saveexec_b32 s41, s41
	v_mov_b32_e32 v10, 0x7f800001
	s_xor_b32 exec_lo, exec_lo, s41
	s_cbranch_execnz .LBB2_1350
.LBB2_907:                              ;   in Loop: Header=BB2_783 Depth=2
	s_or_b32 exec_lo, exec_lo, s41
	s_and_saveexec_b32 s41, s13
	s_cbranch_execz .LBB2_909
.LBB2_908:                              ;   in Loop: Header=BB2_783 Depth=2
	v_and_b32_e32 v10, 7, v12
	v_bfe_u32 v113, v12, 3, 4
	v_lshlrev_b32_e32 v115, 24, v12
	v_ffbh_u32_e32 v11, v10
	v_cmp_eq_u32_e32 vcc_lo, 0, v113
	v_min_u32_e32 v11, 32, v11
	v_subrev_nc_u32_e32 v112, 28, v11
	v_sub_nc_u32_e32 v11, 29, v11
	v_lshlrev_b32_e32 v112, v112, v12
	v_cndmask_b32_e32 v11, v113, v11, vcc_lo
	v_and_b32_e32 v112, 7, v112
	v_lshl_add_u32 v11, v11, 23, 0x3b800000
	v_cndmask_b32_e32 v10, v10, v112, vcc_lo
	v_and_b32_e32 v112, 0x80000000, v115
	v_lshlrev_b32_e32 v10, 20, v10
	v_or3_b32 v10, v112, v11, v10
.LBB2_909:                              ;   in Loop: Header=BB2_783 Depth=2
	s_or_b32 exec_lo, exec_lo, s41
	v_mul_f32_e32 v10, s40, v10
	v_mov_b32_e32 v118, 0x80
	s_mov_b32 s41, exec_lo
	v_and_b32_e32 v11, 0x7f800000, v10
	v_cmpx_ne_u32_e32 0x7f800000, v11
	s_cbranch_execz .LBB2_917
; %bb.910:                              ;   in Loop: Header=BB2_783 Depth=2
	v_mov_b32_e32 v118, 0
	s_mov_b32 s42, exec_lo
	v_cmpx_ne_u32_e32 0, v10
	s_cbranch_execz .LBB2_916
; %bb.911:                              ;   in Loop: Header=BB2_783 Depth=2
	v_bfe_u32 v11, v10, 23, 8
	v_and_b32_e32 v112, 0x7fffff, v10
	v_sub_nc_u32_e32 v113, 0x78, v11
	v_cmp_gt_u32_e32 vcc_lo, 0x79, v11
	v_or_b32_e32 v115, 0x800000, v112
	v_cndmask_b32_e32 v113, 0, v113, vcc_lo
	v_cmp_eq_u32_e32 vcc_lo, 0, v11
	v_add_nc_u32_e32 v11, 0xffffff89, v11
	v_cndmask_b32_e64 v113, v113, 0x77, vcc_lo
	v_cndmask_b32_e32 v112, v115, v112, vcc_lo
	v_cndmask_b32_e64 v11, v11, 0xffffff8a, vcc_lo
	v_lshl_add_u32 v115, 0x100000, v113, -1
	v_lshrrev_b32_e32 v116, v113, v112
	v_lshlrev_b32_e64 v118, v113, 0x80000
	v_add_nc_u32_e32 v113, v113, v11
	v_and_b32_e32 v112, v115, v112
	v_bfe_u32 v117, v116, 20, 1
	v_cmp_eq_u32_e64 s13, v112, v118
	v_add_nc_u32_e32 v115, -1, v117
	v_cndmask_b32_e64 v112, 0, v115, s13
	v_lshrrev_b32_e32 v115, 23, v116
	s_mov_b32 s13, exec_lo
	v_add_nc_u32_e32 v112, v112, v116
	v_xor_b32_e32 v115, 1, v115
	v_and_b32_e32 v11, 0xfffff, v112
	v_add_nc_u32_e32 v112, v11, v116
                                        ; implicit-def: $vgpr11
	v_cmpx_ne_u32_e64 v113, v115
	s_xor_b32 s13, exec_lo, s13
; %bb.912:                              ;   in Loop: Header=BB2_783 Depth=2
	v_cmp_lt_u32_e32 vcc_lo, 0xffffff, v112
	v_sub_nc_u32_e32 v11, v113, v115
	v_cndmask_b32_e64 v113, 0, 1, vcc_lo
	v_add_co_ci_u32_e64 v11, null, 0, v11, vcc_lo
	v_lshrrev_b32_e32 v112, v113, v112
; %bb.913:                              ;   in Loop: Header=BB2_783 Depth=2
	s_andn2_saveexec_b32 s13, s13
; %bb.914:                              ;   in Loop: Header=BB2_783 Depth=2
	v_bfe_u32 v11, v112, 23, 1
; %bb.915:                              ;   in Loop: Header=BB2_783 Depth=2
	s_or_b32 exec_lo, exec_lo, s13
	v_lshrrev_b32_e32 v112, 20, v112
	v_min_i32_e32 v113, 15, v11
	v_cmp_gt_i32_e32 vcc_lo, 16, v11
	v_and_b32_sdwa v10, v10, v85 dst_sel:DWORD dst_unused:UNUSED_PAD src0_sel:BYTE_3 src1_sel:DWORD
	v_lshlrev_b32_e32 v113, 3, v113
	v_cndmask_b32_e32 v112, 7, v112, vcc_lo
	v_and_b32_e32 v113, 0xf8, v113
	v_and_b32_e32 v115, 7, v112
	v_or_b32_e32 v11, v11, v112
	v_or3_b32 v10, v113, v10, v115
	v_cmp_ne_u32_e32 vcc_lo, 0, v11
	v_cndmask_b32_e32 v118, 0, v10, vcc_lo
.LBB2_916:                              ;   in Loop: Header=BB2_783 Depth=2
	s_or_b32 exec_lo, exec_lo, s42
.LBB2_917:                              ;   in Loop: Header=BB2_783 Depth=2
	s_or_b32 exec_lo, exec_lo, s41
	v_cmp_gt_i16_sdwa s41, v12, v84 src0_sel:BYTE_1 src1_sel:DWORD
	s_mov_b32 s13, 0
	s_and_saveexec_b32 s42, s41
	s_xor_b32 s41, exec_lo, s42
	s_cbranch_execz .LBB2_1351
; %bb.918:                              ;   in Loop: Header=BB2_783 Depth=2
	v_cmp_eq_u16_sdwa s43, v12, v85 src0_sel:BYTE_1 src1_sel:DWORD
	s_mov_b32 s13, -1
	s_and_saveexec_b32 s42, s43
; %bb.919:                              ;   in Loop: Header=BB2_783 Depth=2
	s_xor_b32 s13, exec_lo, -1
; %bb.920:                              ;   in Loop: Header=BB2_783 Depth=2
	s_or_b32 exec_lo, exec_lo, s42
	s_and_b32 s13, s13, exec_lo
	s_or_saveexec_b32 s41, s41
	v_mov_b32_e32 v10, 0x7f800001
	s_xor_b32 exec_lo, exec_lo, s41
	s_cbranch_execnz .LBB2_1352
.LBB2_921:                              ;   in Loop: Header=BB2_783 Depth=2
	s_or_b32 exec_lo, exec_lo, s41
	s_and_saveexec_b32 s41, s13
	s_cbranch_execz .LBB2_923
.LBB2_922:                              ;   in Loop: Header=BB2_783 Depth=2
	v_and_b32_sdwa v10, v86, v12 dst_sel:DWORD dst_unused:UNUSED_PAD src0_sel:DWORD src1_sel:BYTE_1
	v_and_b32_e32 v11, 7, v10
	v_bfe_u32 v115, v10, 3, 4
	v_ffbh_u32_e32 v112, v11
	v_cmp_eq_u32_e32 vcc_lo, 0, v115
	v_min_u32_e32 v112, 32, v112
	v_subrev_nc_u32_e32 v113, 28, v112
	v_sub_nc_u32_e32 v112, 29, v112
	v_lshlrev_b32_e32 v10, v113, v10
	v_lshlrev_b32_sdwa v113, v87, v12 dst_sel:DWORD dst_unused:UNUSED_PAD src0_sel:DWORD src1_sel:BYTE_1
	v_cndmask_b32_e32 v112, v115, v112, vcc_lo
	v_and_b32_e32 v10, 7, v10
	v_lshl_add_u32 v112, v112, 23, 0x3b800000
	v_cndmask_b32_e32 v10, v11, v10, vcc_lo
	v_and_b32_e32 v11, 0x80000000, v113
	v_lshlrev_b32_e32 v10, 20, v10
	v_or3_b32 v10, v11, v112, v10
.LBB2_923:                              ;   in Loop: Header=BB2_783 Depth=2
	s_or_b32 exec_lo, exec_lo, s41
	v_mul_f32_e32 v10, s40, v10
	v_mov_b32_e32 v42, 0x8000
	s_mov_b32 s41, exec_lo
	v_and_b32_e32 v11, 0x7f800000, v10
	v_cmpx_ne_u32_e32 0x7f800000, v11
	s_cbranch_execz .LBB2_931
; %bb.924:                              ;   in Loop: Header=BB2_783 Depth=2
	v_mov_b32_e32 v42, 0
	s_mov_b32 s42, exec_lo
	v_cmpx_ne_u32_e32 0, v10
	s_cbranch_execz .LBB2_930
; %bb.925:                              ;   in Loop: Header=BB2_783 Depth=2
	v_bfe_u32 v11, v10, 23, 8
	v_and_b32_e32 v112, 0x7fffff, v10
	v_sub_nc_u32_e32 v113, 0x78, v11
	v_cmp_gt_u32_e32 vcc_lo, 0x79, v11
	v_or_b32_e32 v115, 0x800000, v112
	v_cndmask_b32_e32 v113, 0, v113, vcc_lo
	v_cmp_eq_u32_e32 vcc_lo, 0, v11
	v_add_nc_u32_e32 v11, 0xffffff89, v11
	v_cndmask_b32_e64 v113, v113, 0x77, vcc_lo
	v_cndmask_b32_e32 v112, v115, v112, vcc_lo
	v_cndmask_b32_e64 v11, v11, 0xffffff8a, vcc_lo
	v_lshl_add_u32 v115, 0x100000, v113, -1
	v_lshrrev_b32_e32 v116, v113, v112
	v_lshlrev_b32_e64 v40, v113, 0x80000
	v_add_nc_u32_e32 v113, v113, v11
	v_and_b32_e32 v112, v115, v112
	v_bfe_u32 v117, v116, 20, 1
	v_cmp_eq_u32_e64 s13, v112, v40
	v_add_nc_u32_e32 v115, -1, v117
	v_cndmask_b32_e64 v112, 0, v115, s13
	v_lshrrev_b32_e32 v115, 23, v116
	s_mov_b32 s13, exec_lo
	v_add_nc_u32_e32 v112, v112, v116
	v_xor_b32_e32 v115, 1, v115
	v_and_b32_e32 v11, 0xfffff, v112
	v_add_nc_u32_e32 v112, v11, v116
                                        ; implicit-def: $vgpr11
	v_cmpx_ne_u32_e64 v113, v115
	s_xor_b32 s13, exec_lo, s13
; %bb.926:                              ;   in Loop: Header=BB2_783 Depth=2
	v_cmp_lt_u32_e32 vcc_lo, 0xffffff, v112
	v_sub_nc_u32_e32 v11, v113, v115
	v_cndmask_b32_e64 v113, 0, 1, vcc_lo
	v_add_co_ci_u32_e64 v11, null, 0, v11, vcc_lo
	v_lshrrev_b32_e32 v112, v113, v112
; %bb.927:                              ;   in Loop: Header=BB2_783 Depth=2
	s_andn2_saveexec_b32 s13, s13
; %bb.928:                              ;   in Loop: Header=BB2_783 Depth=2
	v_bfe_u32 v11, v112, 23, 1
; %bb.929:                              ;   in Loop: Header=BB2_783 Depth=2
	s_or_b32 exec_lo, exec_lo, s13
	v_lshrrev_b32_e32 v112, 20, v112
	v_min_i32_e32 v113, 15, v11
	v_cmp_gt_i32_e32 vcc_lo, 16, v11
	v_and_b32_sdwa v10, v10, v85 dst_sel:DWORD dst_unused:UNUSED_PAD src0_sel:BYTE_3 src1_sel:DWORD
	v_lshlrev_b32_e32 v113, 3, v113
	v_cndmask_b32_e32 v112, 7, v112, vcc_lo
	v_and_b32_e32 v113, 0xf8, v113
	v_and_b32_e32 v115, 7, v112
	v_or_b32_e32 v11, v11, v112
	v_or3_b32 v10, v10, v113, v115
	v_cmp_ne_u32_e32 vcc_lo, 0, v11
	v_lshlrev_b32_e32 v10, 8, v10
	v_cndmask_b32_e32 v42, 0, v10, vcc_lo
.LBB2_930:                              ;   in Loop: Header=BB2_783 Depth=2
	s_or_b32 exec_lo, exec_lo, s42
.LBB2_931:                              ;   in Loop: Header=BB2_783 Depth=2
	s_or_b32 exec_lo, exec_lo, s41
	v_and_b32_sdwa v11, v12, v96 dst_sel:DWORD dst_unused:UNUSED_PAD src0_sel:WORD_1 src1_sel:DWORD
	s_mov_b32 s13, 0
	s_mov_b32 s41, exec_lo
	v_cmpx_lt_i16_e32 0x7f, v11
	s_xor_b32 s41, exec_lo, s41
	s_cbranch_execz .LBB2_1353
; %bb.932:                              ;   in Loop: Header=BB2_783 Depth=2
	s_mov_b32 s13, -1
	s_mov_b32 s42, exec_lo
	v_cmpx_eq_u16_e32 0x80, v11
; %bb.933:                              ;   in Loop: Header=BB2_783 Depth=2
	s_xor_b32 s13, exec_lo, -1
; %bb.934:                              ;   in Loop: Header=BB2_783 Depth=2
	s_or_b32 exec_lo, exec_lo, s42
	s_and_b32 s13, s13, exec_lo
                                        ; implicit-def: $vgpr11
	s_or_saveexec_b32 s41, s41
	v_mov_b32_e32 v10, 0x7f800001
	s_xor_b32 exec_lo, exec_lo, s41
	s_cbranch_execnz .LBB2_1354
.LBB2_935:                              ;   in Loop: Header=BB2_783 Depth=2
	s_or_b32 exec_lo, exec_lo, s41
	s_and_saveexec_b32 s41, s13
	s_cbranch_execz .LBB2_937
.LBB2_936:                              ;   in Loop: Header=BB2_783 Depth=2
	v_bfe_u32 v10, v12, 16, 3
	v_bfe_u32 v113, v12, 19, 4
	v_lshlrev_b32_e32 v115, 8, v12
	v_ffbh_u32_e32 v11, v10
	v_cmp_eq_u32_e32 vcc_lo, 0, v113
	v_min_u32_e32 v11, 32, v11
	v_subrev_nc_u32_e32 v112, 28, v11
	v_sub_nc_u32_e32 v11, 29, v11
	v_lshlrev_b32_sdwa v112, v112, v12 dst_sel:DWORD dst_unused:UNUSED_PAD src0_sel:DWORD src1_sel:WORD_1
	v_cndmask_b32_e32 v11, v113, v11, vcc_lo
	v_and_b32_e32 v112, 7, v112
	v_lshl_add_u32 v11, v11, 23, 0x3b800000
	v_cndmask_b32_e32 v10, v10, v112, vcc_lo
	v_and_b32_e32 v112, 0x80000000, v115
	v_lshlrev_b32_e32 v10, 20, v10
	v_or3_b32 v10, v112, v11, v10
.LBB2_937:                              ;   in Loop: Header=BB2_783 Depth=2
	s_or_b32 exec_lo, exec_lo, s41
	v_mul_f32_e32 v10, s40, v10
	v_mov_b32_e32 v116, 0x80
	s_mov_b32 s41, exec_lo
	v_and_b32_e32 v11, 0x7f800000, v10
	v_cmpx_ne_u32_e32 0x7f800000, v11
	s_cbranch_execz .LBB2_945
; %bb.938:                              ;   in Loop: Header=BB2_783 Depth=2
	v_mov_b32_e32 v116, 0
	s_mov_b32 s42, exec_lo
	v_cmpx_ne_u32_e32 0, v10
	s_cbranch_execz .LBB2_944
; %bb.939:                              ;   in Loop: Header=BB2_783 Depth=2
	v_bfe_u32 v11, v10, 23, 8
	v_and_b32_e32 v112, 0x7fffff, v10
	v_sub_nc_u32_e32 v113, 0x78, v11
	v_cmp_gt_u32_e32 vcc_lo, 0x79, v11
	v_or_b32_e32 v115, 0x800000, v112
	v_cndmask_b32_e32 v113, 0, v113, vcc_lo
	v_cmp_eq_u32_e32 vcc_lo, 0, v11
	v_add_nc_u32_e32 v11, 0xffffff89, v11
	v_cndmask_b32_e64 v113, v113, 0x77, vcc_lo
	v_cndmask_b32_e32 v112, v115, v112, vcc_lo
	v_cndmask_b32_e64 v11, v11, 0xffffff8a, vcc_lo
	v_lshl_add_u32 v115, 0x100000, v113, -1
	v_lshrrev_b32_e32 v116, v113, v112
	v_lshlrev_b32_e64 v40, v113, 0x80000
	v_add_nc_u32_e32 v113, v113, v11
	v_and_b32_e32 v112, v115, v112
	v_bfe_u32 v117, v116, 20, 1
	v_cmp_eq_u32_e64 s13, v112, v40
	v_add_nc_u32_e32 v115, -1, v117
	v_cndmask_b32_e64 v112, 0, v115, s13
	v_lshrrev_b32_e32 v115, 23, v116
	s_mov_b32 s13, exec_lo
	v_add_nc_u32_e32 v112, v112, v116
	v_xor_b32_e32 v115, 1, v115
	v_and_b32_e32 v11, 0xfffff, v112
	v_add_nc_u32_e32 v112, v11, v116
                                        ; implicit-def: $vgpr11
	v_cmpx_ne_u32_e64 v113, v115
	s_xor_b32 s13, exec_lo, s13
; %bb.940:                              ;   in Loop: Header=BB2_783 Depth=2
	v_cmp_lt_u32_e32 vcc_lo, 0xffffff, v112
	v_sub_nc_u32_e32 v11, v113, v115
	v_cndmask_b32_e64 v113, 0, 1, vcc_lo
	v_add_co_ci_u32_e64 v11, null, 0, v11, vcc_lo
	v_lshrrev_b32_e32 v112, v113, v112
; %bb.941:                              ;   in Loop: Header=BB2_783 Depth=2
	s_andn2_saveexec_b32 s13, s13
; %bb.942:                              ;   in Loop: Header=BB2_783 Depth=2
	v_bfe_u32 v11, v112, 23, 1
; %bb.943:                              ;   in Loop: Header=BB2_783 Depth=2
	s_or_b32 exec_lo, exec_lo, s13
	v_lshrrev_b32_e32 v112, 20, v112
	v_min_i32_e32 v113, 15, v11
	v_cmp_gt_i32_e32 vcc_lo, 16, v11
	v_and_b32_sdwa v10, v10, v85 dst_sel:DWORD dst_unused:UNUSED_PAD src0_sel:BYTE_3 src1_sel:DWORD
	v_lshlrev_b32_e32 v113, 3, v113
	v_cndmask_b32_e32 v112, 7, v112, vcc_lo
	v_and_b32_e32 v113, 0xf8, v113
	v_and_b32_e32 v115, 7, v112
	v_or_b32_e32 v11, v11, v112
	v_or3_b32 v10, v113, v10, v115
	v_cmp_ne_u32_e32 vcc_lo, 0, v11
	v_cndmask_b32_e32 v116, 0, v10, vcc_lo
.LBB2_944:                              ;   in Loop: Header=BB2_783 Depth=2
	s_or_b32 exec_lo, exec_lo, s42
.LBB2_945:                              ;   in Loop: Header=BB2_783 Depth=2
	s_or_b32 exec_lo, exec_lo, s41
	v_cmp_gt_i16_sdwa s41, v12, v84 src0_sel:BYTE_3 src1_sel:DWORD
	s_mov_b32 s13, 0
	s_and_saveexec_b32 s42, s41
	s_xor_b32 s41, exec_lo, s42
	s_cbranch_execz .LBB2_1355
; %bb.946:                              ;   in Loop: Header=BB2_783 Depth=2
	v_cmp_eq_u16_sdwa s43, v12, v85 src0_sel:BYTE_3 src1_sel:DWORD
	s_mov_b32 s13, -1
	s_and_saveexec_b32 s42, s43
; %bb.947:                              ;   in Loop: Header=BB2_783 Depth=2
	s_xor_b32 s13, exec_lo, -1
; %bb.948:                              ;   in Loop: Header=BB2_783 Depth=2
	s_or_b32 exec_lo, exec_lo, s42
	s_and_b32 s13, s13, exec_lo
	s_or_saveexec_b32 s41, s41
	v_mov_b32_e32 v10, 0x7f800001
	s_xor_b32 exec_lo, exec_lo, s41
	s_cbranch_execnz .LBB2_1356
.LBB2_949:                              ;   in Loop: Header=BB2_783 Depth=2
	s_or_b32 exec_lo, exec_lo, s41
	s_and_saveexec_b32 s41, s13
	s_cbranch_execz .LBB2_951
.LBB2_950:                              ;   in Loop: Header=BB2_783 Depth=2
	v_bfe_u32 v10, v12, 24, 3
	v_bfe_u32 v113, v12, 27, 4
	v_ffbh_u32_e32 v11, v10
	v_cmp_eq_u32_e32 vcc_lo, 0, v113
	v_min_u32_e32 v11, 32, v11
	v_subrev_nc_u32_e32 v112, 28, v11
	v_sub_nc_u32_e32 v11, 29, v11
	v_lshlrev_b32_sdwa v112, v112, v12 dst_sel:DWORD dst_unused:UNUSED_PAD src0_sel:DWORD src1_sel:BYTE_3
	v_cndmask_b32_e32 v11, v113, v11, vcc_lo
	v_and_b32_e32 v12, 0x80000000, v12
	v_and_b32_e32 v112, 7, v112
	v_lshl_add_u32 v11, v11, 23, 0x3b800000
	v_cndmask_b32_e32 v10, v10, v112, vcc_lo
	v_lshlrev_b32_e32 v10, 20, v10
	v_or3_b32 v10, v12, v11, v10
.LBB2_951:                              ;   in Loop: Header=BB2_783 Depth=2
	s_or_b32 exec_lo, exec_lo, s41
	v_mul_f32_e32 v10, s40, v10
	v_mov_b32_e32 v40, 0x8000
	s_mov_b32 s41, exec_lo
	v_and_b32_e32 v11, 0x7f800000, v10
	v_cmpx_ne_u32_e32 0x7f800000, v11
	s_cbranch_execz .LBB2_959
; %bb.952:                              ;   in Loop: Header=BB2_783 Depth=2
	v_mov_b32_e32 v40, 0
	s_mov_b32 s42, exec_lo
	v_cmpx_ne_u32_e32 0, v10
	s_cbranch_execz .LBB2_958
; %bb.953:                              ;   in Loop: Header=BB2_783 Depth=2
	v_bfe_u32 v11, v10, 23, 8
	v_and_b32_e32 v12, 0x7fffff, v10
	v_sub_nc_u32_e32 v112, 0x78, v11
	v_cmp_gt_u32_e32 vcc_lo, 0x79, v11
	v_or_b32_e32 v113, 0x800000, v12
	v_cndmask_b32_e32 v112, 0, v112, vcc_lo
	v_cmp_eq_u32_e32 vcc_lo, 0, v11
	v_add_nc_u32_e32 v11, 0xffffff89, v11
	v_cndmask_b32_e64 v112, v112, 0x77, vcc_lo
	v_cndmask_b32_e32 v12, v113, v12, vcc_lo
	v_cndmask_b32_e64 v11, v11, 0xffffff8a, vcc_lo
	v_lshl_add_u32 v113, 0x100000, v112, -1
	v_lshrrev_b32_e32 v115, v112, v12
	v_lshlrev_b32_e64 v40, v112, 0x80000
	v_add_nc_u32_e32 v112, v112, v11
	v_and_b32_e32 v12, v113, v12
	v_bfe_u32 v117, v115, 20, 1
	v_cmp_eq_u32_e64 s13, v12, v40
	v_add_nc_u32_e32 v113, -1, v117
	v_cndmask_b32_e64 v12, 0, v113, s13
	v_lshrrev_b32_e32 v113, 23, v115
	s_mov_b32 s13, exec_lo
	v_add_nc_u32_e32 v12, v12, v115
	v_xor_b32_e32 v113, 1, v113
	v_and_b32_e32 v11, 0xfffff, v12
	v_add_nc_u32_e32 v12, v11, v115
                                        ; implicit-def: $vgpr11
	v_cmpx_ne_u32_e64 v112, v113
	s_xor_b32 s13, exec_lo, s13
; %bb.954:                              ;   in Loop: Header=BB2_783 Depth=2
	v_cmp_lt_u32_e32 vcc_lo, 0xffffff, v12
	v_sub_nc_u32_e32 v11, v112, v113
	v_cndmask_b32_e64 v112, 0, 1, vcc_lo
	v_add_co_ci_u32_e64 v11, null, 0, v11, vcc_lo
	v_lshrrev_b32_e32 v12, v112, v12
; %bb.955:                              ;   in Loop: Header=BB2_783 Depth=2
	s_andn2_saveexec_b32 s13, s13
; %bb.956:                              ;   in Loop: Header=BB2_783 Depth=2
	v_bfe_u32 v11, v12, 23, 1
; %bb.957:                              ;   in Loop: Header=BB2_783 Depth=2
	s_or_b32 exec_lo, exec_lo, s13
	v_lshrrev_b32_e32 v12, 20, v12
	v_min_i32_e32 v112, 15, v11
	v_cmp_gt_i32_e32 vcc_lo, 16, v11
	v_and_b32_sdwa v10, v10, v85 dst_sel:DWORD dst_unused:UNUSED_PAD src0_sel:BYTE_3 src1_sel:DWORD
	v_lshlrev_b32_e32 v112, 3, v112
	v_cndmask_b32_e32 v12, 7, v12, vcc_lo
	v_and_b32_e32 v112, 0xf8, v112
	v_and_b32_e32 v113, 7, v12
	v_or_b32_e32 v11, v11, v12
	v_or3_b32 v10, v10, v112, v113
	v_cmp_ne_u32_e32 vcc_lo, 0, v11
	v_lshlrev_b32_e32 v10, 8, v10
	v_cndmask_b32_e32 v40, 0, v10, vcc_lo
.LBB2_958:                              ;   in Loop: Header=BB2_783 Depth=2
	s_or_b32 exec_lo, exec_lo, s42
.LBB2_959:                              ;   in Loop: Header=BB2_783 Depth=2
	s_or_b32 exec_lo, exec_lo, s41
	v_cmp_gt_i16_sdwa s41, v13, v84 src0_sel:BYTE_0 src1_sel:DWORD
	s_mov_b32 s13, 0
	s_and_saveexec_b32 s42, s41
	s_xor_b32 s41, exec_lo, s42
	s_cbranch_execz .LBB2_1357
; %bb.960:                              ;   in Loop: Header=BB2_783 Depth=2
	v_cmp_eq_u16_sdwa s43, v13, v85 src0_sel:BYTE_0 src1_sel:DWORD
	s_mov_b32 s13, -1
	s_and_saveexec_b32 s42, s43
; %bb.961:                              ;   in Loop: Header=BB2_783 Depth=2
	s_xor_b32 s13, exec_lo, -1
; %bb.962:                              ;   in Loop: Header=BB2_783 Depth=2
	s_or_b32 exec_lo, exec_lo, s42
	s_and_b32 s13, s13, exec_lo
	s_or_saveexec_b32 s41, s41
	v_mov_b32_e32 v10, 0x7f800001
	s_xor_b32 exec_lo, exec_lo, s41
	s_cbranch_execnz .LBB2_1358
.LBB2_963:                              ;   in Loop: Header=BB2_783 Depth=2
	s_or_b32 exec_lo, exec_lo, s41
	s_and_saveexec_b32 s41, s13
	s_cbranch_execz .LBB2_965
.LBB2_964:                              ;   in Loop: Header=BB2_783 Depth=2
	v_and_b32_e32 v10, 7, v13
	v_bfe_u32 v112, v13, 3, 4
	v_lshlrev_b32_e32 v113, 24, v13
	v_ffbh_u32_e32 v11, v10
	v_cmp_eq_u32_e32 vcc_lo, 0, v112
	v_min_u32_e32 v11, 32, v11
	v_subrev_nc_u32_e32 v12, 28, v11
	v_sub_nc_u32_e32 v11, 29, v11
	v_lshlrev_b32_e32 v12, v12, v13
	v_cndmask_b32_e32 v11, v112, v11, vcc_lo
	v_and_b32_e32 v12, 7, v12
	v_lshl_add_u32 v11, v11, 23, 0x3b800000
	v_cndmask_b32_e32 v10, v10, v12, vcc_lo
	v_and_b32_e32 v12, 0x80000000, v113
	v_lshlrev_b32_e32 v10, 20, v10
	v_or3_b32 v10, v12, v11, v10
.LBB2_965:                              ;   in Loop: Header=BB2_783 Depth=2
	s_or_b32 exec_lo, exec_lo, s41
	v_mul_f32_e32 v10, s40, v10
	v_mov_b32_e32 v113, 0x80
	s_mov_b32 s41, exec_lo
	v_and_b32_e32 v11, 0x7f800000, v10
	v_cmpx_ne_u32_e32 0x7f800000, v11
	s_cbranch_execz .LBB2_973
; %bb.966:                              ;   in Loop: Header=BB2_783 Depth=2
	v_mov_b32_e32 v113, 0
	s_mov_b32 s42, exec_lo
	v_cmpx_ne_u32_e32 0, v10
	s_cbranch_execz .LBB2_972
; %bb.967:                              ;   in Loop: Header=BB2_783 Depth=2
	v_bfe_u32 v11, v10, 23, 8
	v_and_b32_e32 v12, 0x7fffff, v10
	v_sub_nc_u32_e32 v112, 0x78, v11
	v_cmp_gt_u32_e32 vcc_lo, 0x79, v11
	v_or_b32_e32 v113, 0x800000, v12
	v_cndmask_b32_e32 v112, 0, v112, vcc_lo
	v_cmp_eq_u32_e32 vcc_lo, 0, v11
	v_add_nc_u32_e32 v11, 0xffffff89, v11
	v_cndmask_b32_e64 v112, v112, 0x77, vcc_lo
	v_cndmask_b32_e32 v12, v113, v12, vcc_lo
	v_cndmask_b32_e64 v11, v11, 0xffffff8a, vcc_lo
	v_lshl_add_u32 v113, 0x100000, v112, -1
	v_lshrrev_b32_e32 v115, v112, v12
	v_lshlrev_b32_e64 v47, v112, 0x80000
	v_add_nc_u32_e32 v112, v112, v11
	v_and_b32_e32 v12, v113, v12
	v_bfe_u32 v117, v115, 20, 1
	v_cmp_eq_u32_e64 s13, v12, v47
	v_add_nc_u32_e32 v113, -1, v117
	v_cndmask_b32_e64 v12, 0, v113, s13
	v_lshrrev_b32_e32 v113, 23, v115
	s_mov_b32 s13, exec_lo
	v_add_nc_u32_e32 v12, v12, v115
	v_xor_b32_e32 v113, 1, v113
	v_and_b32_e32 v11, 0xfffff, v12
	v_add_nc_u32_e32 v12, v11, v115
                                        ; implicit-def: $vgpr11
	v_cmpx_ne_u32_e64 v112, v113
	s_xor_b32 s13, exec_lo, s13
; %bb.968:                              ;   in Loop: Header=BB2_783 Depth=2
	v_cmp_lt_u32_e32 vcc_lo, 0xffffff, v12
	v_sub_nc_u32_e32 v11, v112, v113
	v_cndmask_b32_e64 v112, 0, 1, vcc_lo
	v_add_co_ci_u32_e64 v11, null, 0, v11, vcc_lo
	v_lshrrev_b32_e32 v12, v112, v12
; %bb.969:                              ;   in Loop: Header=BB2_783 Depth=2
	s_andn2_saveexec_b32 s13, s13
; %bb.970:                              ;   in Loop: Header=BB2_783 Depth=2
	v_bfe_u32 v11, v12, 23, 1
; %bb.971:                              ;   in Loop: Header=BB2_783 Depth=2
	s_or_b32 exec_lo, exec_lo, s13
	v_lshrrev_b32_e32 v12, 20, v12
	v_min_i32_e32 v112, 15, v11
	v_cmp_gt_i32_e32 vcc_lo, 16, v11
	v_and_b32_sdwa v10, v10, v85 dst_sel:DWORD dst_unused:UNUSED_PAD src0_sel:BYTE_3 src1_sel:DWORD
	v_lshlrev_b32_e32 v112, 3, v112
	v_cndmask_b32_e32 v12, 7, v12, vcc_lo
	v_and_b32_e32 v112, 0xf8, v112
	v_and_b32_e32 v113, 7, v12
	v_or_b32_e32 v11, v11, v12
	v_or3_b32 v10, v112, v10, v113
	v_cmp_ne_u32_e32 vcc_lo, 0, v11
	v_cndmask_b32_e32 v113, 0, v10, vcc_lo
.LBB2_972:                              ;   in Loop: Header=BB2_783 Depth=2
	s_or_b32 exec_lo, exec_lo, s42
.LBB2_973:                              ;   in Loop: Header=BB2_783 Depth=2
	s_or_b32 exec_lo, exec_lo, s41
	v_cmp_gt_i16_sdwa s41, v13, v84 src0_sel:BYTE_1 src1_sel:DWORD
	s_mov_b32 s13, 0
	s_and_saveexec_b32 s42, s41
	s_xor_b32 s41, exec_lo, s42
	s_cbranch_execz .LBB2_1359
; %bb.974:                              ;   in Loop: Header=BB2_783 Depth=2
	v_cmp_eq_u16_sdwa s43, v13, v85 src0_sel:BYTE_1 src1_sel:DWORD
	s_mov_b32 s13, -1
	s_and_saveexec_b32 s42, s43
; %bb.975:                              ;   in Loop: Header=BB2_783 Depth=2
	s_xor_b32 s13, exec_lo, -1
; %bb.976:                              ;   in Loop: Header=BB2_783 Depth=2
	s_or_b32 exec_lo, exec_lo, s42
	s_and_b32 s13, s13, exec_lo
	s_or_saveexec_b32 s41, s41
	v_mov_b32_e32 v10, 0x7f800001
	s_xor_b32 exec_lo, exec_lo, s41
	s_cbranch_execnz .LBB2_1360
.LBB2_977:                              ;   in Loop: Header=BB2_783 Depth=2
	s_or_b32 exec_lo, exec_lo, s41
	s_and_saveexec_b32 s41, s13
	s_cbranch_execz .LBB2_979
.LBB2_978:                              ;   in Loop: Header=BB2_783 Depth=2
	v_and_b32_sdwa v10, v86, v13 dst_sel:DWORD dst_unused:UNUSED_PAD src0_sel:DWORD src1_sel:BYTE_1
	v_and_b32_e32 v11, 7, v10
	v_bfe_u32 v115, v10, 3, 4
	v_ffbh_u32_e32 v12, v11
	v_cmp_eq_u32_e32 vcc_lo, 0, v115
	v_min_u32_e32 v12, 32, v12
	v_subrev_nc_u32_e32 v112, 28, v12
	v_sub_nc_u32_e32 v12, 29, v12
	v_lshlrev_b32_e32 v10, v112, v10
	v_lshlrev_b32_sdwa v112, v87, v13 dst_sel:DWORD dst_unused:UNUSED_PAD src0_sel:DWORD src1_sel:BYTE_1
	v_cndmask_b32_e32 v12, v115, v12, vcc_lo
	v_and_b32_e32 v10, 7, v10
	v_lshl_add_u32 v12, v12, 23, 0x3b800000
	v_cndmask_b32_e32 v10, v11, v10, vcc_lo
	v_and_b32_e32 v11, 0x80000000, v112
	v_lshlrev_b32_e32 v10, 20, v10
	v_or3_b32 v10, v11, v12, v10
.LBB2_979:                              ;   in Loop: Header=BB2_783 Depth=2
	s_or_b32 exec_lo, exec_lo, s41
	v_mul_f32_e32 v10, s40, v10
	v_mov_b32_e32 v117, 0x8000
	s_mov_b32 s41, exec_lo
	v_and_b32_e32 v11, 0x7f800000, v10
	v_cmpx_ne_u32_e32 0x7f800000, v11
	s_cbranch_execz .LBB2_987
; %bb.980:                              ;   in Loop: Header=BB2_783 Depth=2
	v_mov_b32_e32 v117, 0
	s_mov_b32 s42, exec_lo
	v_cmpx_ne_u32_e32 0, v10
	s_cbranch_execz .LBB2_986
; %bb.981:                              ;   in Loop: Header=BB2_783 Depth=2
	v_bfe_u32 v11, v10, 23, 8
	v_and_b32_e32 v12, 0x7fffff, v10
	v_sub_nc_u32_e32 v112, 0x78, v11
	v_cmp_gt_u32_e32 vcc_lo, 0x79, v11
	v_or_b32_e32 v115, 0x800000, v12
	v_cndmask_b32_e32 v112, 0, v112, vcc_lo
	v_cmp_eq_u32_e32 vcc_lo, 0, v11
	v_add_nc_u32_e32 v11, 0xffffff89, v11
	v_cndmask_b32_e64 v112, v112, 0x77, vcc_lo
	v_cndmask_b32_e32 v12, v115, v12, vcc_lo
	v_cndmask_b32_e64 v11, v11, 0xffffff8a, vcc_lo
	v_lshl_add_u32 v115, 0x100000, v112, -1
	v_lshrrev_b32_e32 v117, v112, v12
	v_lshlrev_b32_e64 v56, v112, 0x80000
	v_add_nc_u32_e32 v112, v112, v11
	v_and_b32_e32 v12, v115, v12
	v_bfe_u32 v47, v117, 20, 1
	v_cmp_eq_u32_e64 s13, v12, v56
	v_add_nc_u32_e32 v115, -1, v47
	v_cndmask_b32_e64 v12, 0, v115, s13
	v_lshrrev_b32_e32 v115, 23, v117
	s_mov_b32 s13, exec_lo
	v_add_nc_u32_e32 v12, v12, v117
	v_xor_b32_e32 v115, 1, v115
	v_and_b32_e32 v11, 0xfffff, v12
	v_add_nc_u32_e32 v12, v11, v117
                                        ; implicit-def: $vgpr11
	v_cmpx_ne_u32_e64 v112, v115
	s_xor_b32 s13, exec_lo, s13
; %bb.982:                              ;   in Loop: Header=BB2_783 Depth=2
	v_cmp_lt_u32_e32 vcc_lo, 0xffffff, v12
	v_sub_nc_u32_e32 v11, v112, v115
	v_cndmask_b32_e64 v112, 0, 1, vcc_lo
	v_add_co_ci_u32_e64 v11, null, 0, v11, vcc_lo
	v_lshrrev_b32_e32 v12, v112, v12
; %bb.983:                              ;   in Loop: Header=BB2_783 Depth=2
	s_andn2_saveexec_b32 s13, s13
; %bb.984:                              ;   in Loop: Header=BB2_783 Depth=2
	v_bfe_u32 v11, v12, 23, 1
; %bb.985:                              ;   in Loop: Header=BB2_783 Depth=2
	s_or_b32 exec_lo, exec_lo, s13
	v_lshrrev_b32_e32 v12, 20, v12
	v_min_i32_e32 v112, 15, v11
	v_cmp_gt_i32_e32 vcc_lo, 16, v11
	v_and_b32_sdwa v10, v10, v85 dst_sel:DWORD dst_unused:UNUSED_PAD src0_sel:BYTE_3 src1_sel:DWORD
	v_lshlrev_b32_e32 v112, 3, v112
	v_cndmask_b32_e32 v12, 7, v12, vcc_lo
	v_and_b32_e32 v112, 0xf8, v112
	v_and_b32_e32 v115, 7, v12
	v_or_b32_e32 v11, v11, v12
	v_or3_b32 v10, v10, v112, v115
	v_cmp_ne_u32_e32 vcc_lo, 0, v11
	v_lshlrev_b32_e32 v10, 8, v10
	v_cndmask_b32_e32 v117, 0, v10, vcc_lo
.LBB2_986:                              ;   in Loop: Header=BB2_783 Depth=2
	s_or_b32 exec_lo, exec_lo, s42
.LBB2_987:                              ;   in Loop: Header=BB2_783 Depth=2
	s_or_b32 exec_lo, exec_lo, s41
	v_and_b32_sdwa v11, v13, v96 dst_sel:DWORD dst_unused:UNUSED_PAD src0_sel:WORD_1 src1_sel:DWORD
	s_mov_b32 s13, 0
	s_mov_b32 s41, exec_lo
	v_cmpx_lt_i16_e32 0x7f, v11
	s_xor_b32 s41, exec_lo, s41
	s_cbranch_execz .LBB2_1361
; %bb.988:                              ;   in Loop: Header=BB2_783 Depth=2
	s_mov_b32 s13, -1
	s_mov_b32 s42, exec_lo
	v_cmpx_eq_u16_e32 0x80, v11
; %bb.989:                              ;   in Loop: Header=BB2_783 Depth=2
	s_xor_b32 s13, exec_lo, -1
; %bb.990:                              ;   in Loop: Header=BB2_783 Depth=2
	s_or_b32 exec_lo, exec_lo, s42
	s_and_b32 s13, s13, exec_lo
                                        ; implicit-def: $vgpr11
	s_or_saveexec_b32 s41, s41
	v_mov_b32_e32 v10, 0x7f800001
	s_xor_b32 exec_lo, exec_lo, s41
	s_cbranch_execnz .LBB2_1362
.LBB2_991:                              ;   in Loop: Header=BB2_783 Depth=2
	s_or_b32 exec_lo, exec_lo, s41
	s_and_saveexec_b32 s41, s13
	s_cbranch_execz .LBB2_993
.LBB2_992:                              ;   in Loop: Header=BB2_783 Depth=2
	v_bfe_u32 v10, v13, 16, 3
	v_bfe_u32 v112, v13, 19, 4
	v_lshlrev_b32_e32 v115, 8, v13
	v_ffbh_u32_e32 v11, v10
	v_cmp_eq_u32_e32 vcc_lo, 0, v112
	v_min_u32_e32 v11, 32, v11
	v_subrev_nc_u32_e32 v12, 28, v11
	v_sub_nc_u32_e32 v11, 29, v11
	v_lshlrev_b32_sdwa v12, v12, v13 dst_sel:DWORD dst_unused:UNUSED_PAD src0_sel:DWORD src1_sel:WORD_1
	v_cndmask_b32_e32 v11, v112, v11, vcc_lo
	v_and_b32_e32 v12, 7, v12
	v_lshl_add_u32 v11, v11, 23, 0x3b800000
	v_cndmask_b32_e32 v10, v10, v12, vcc_lo
	v_and_b32_e32 v12, 0x80000000, v115
	v_lshlrev_b32_e32 v10, 20, v10
	v_or3_b32 v10, v12, v11, v10
.LBB2_993:                              ;   in Loop: Header=BB2_783 Depth=2
	s_or_b32 exec_lo, exec_lo, s41
	v_mul_f32_e32 v10, s40, v10
	v_mov_b32_e32 v112, 0x80
	s_mov_b32 s41, exec_lo
	v_and_b32_e32 v11, 0x7f800000, v10
	v_cmpx_ne_u32_e32 0x7f800000, v11
	s_cbranch_execz .LBB2_1001
; %bb.994:                              ;   in Loop: Header=BB2_783 Depth=2
	v_mov_b32_e32 v112, 0
	s_mov_b32 s42, exec_lo
	v_cmpx_ne_u32_e32 0, v10
	s_cbranch_execz .LBB2_1000
; %bb.995:                              ;   in Loop: Header=BB2_783 Depth=2
	v_bfe_u32 v11, v10, 23, 8
	v_and_b32_e32 v12, 0x7fffff, v10
	v_sub_nc_u32_e32 v112, 0x78, v11
	v_cmp_gt_u32_e32 vcc_lo, 0x79, v11
	v_or_b32_e32 v115, 0x800000, v12
	v_cndmask_b32_e32 v112, 0, v112, vcc_lo
	v_cmp_eq_u32_e32 vcc_lo, 0, v11
	v_add_nc_u32_e32 v11, 0xffffff89, v11
	v_cndmask_b32_e64 v112, v112, 0x77, vcc_lo
	v_cndmask_b32_e32 v12, v115, v12, vcc_lo
	v_cndmask_b32_e64 v11, v11, 0xffffff8a, vcc_lo
	v_lshl_add_u32 v115, 0x100000, v112, -1
	v_lshrrev_b32_e32 v47, v112, v12
	v_lshlrev_b32_e64 v57, v112, 0x80000
	v_add_nc_u32_e32 v112, v112, v11
	v_and_b32_e32 v12, v115, v12
	v_bfe_u32 v56, v47, 20, 1
	v_cmp_eq_u32_e64 s13, v12, v57
	v_add_nc_u32_e32 v115, -1, v56
	v_cndmask_b32_e64 v12, 0, v115, s13
	v_lshrrev_b32_e32 v115, 23, v47
	s_mov_b32 s13, exec_lo
	v_add_nc_u32_e32 v12, v12, v47
	v_xor_b32_e32 v115, 1, v115
	v_and_b32_e32 v11, 0xfffff, v12
	v_add_nc_u32_e32 v12, v11, v47
                                        ; implicit-def: $vgpr11
	v_cmpx_ne_u32_e64 v112, v115
	s_xor_b32 s13, exec_lo, s13
; %bb.996:                              ;   in Loop: Header=BB2_783 Depth=2
	v_cmp_lt_u32_e32 vcc_lo, 0xffffff, v12
	v_sub_nc_u32_e32 v11, v112, v115
	v_cndmask_b32_e64 v112, 0, 1, vcc_lo
	v_add_co_ci_u32_e64 v11, null, 0, v11, vcc_lo
	v_lshrrev_b32_e32 v12, v112, v12
; %bb.997:                              ;   in Loop: Header=BB2_783 Depth=2
	s_andn2_saveexec_b32 s13, s13
; %bb.998:                              ;   in Loop: Header=BB2_783 Depth=2
	v_bfe_u32 v11, v12, 23, 1
; %bb.999:                              ;   in Loop: Header=BB2_783 Depth=2
	s_or_b32 exec_lo, exec_lo, s13
	v_lshrrev_b32_e32 v12, 20, v12
	v_min_i32_e32 v112, 15, v11
	v_cmp_gt_i32_e32 vcc_lo, 16, v11
	v_and_b32_sdwa v10, v10, v85 dst_sel:DWORD dst_unused:UNUSED_PAD src0_sel:BYTE_3 src1_sel:DWORD
	v_lshlrev_b32_e32 v112, 3, v112
	v_cndmask_b32_e32 v12, 7, v12, vcc_lo
	v_and_b32_e32 v112, 0xf8, v112
	v_and_b32_e32 v115, 7, v12
	v_or_b32_e32 v11, v11, v12
	v_or3_b32 v10, v112, v10, v115
	v_cmp_ne_u32_e32 vcc_lo, 0, v11
	v_cndmask_b32_e32 v112, 0, v10, vcc_lo
.LBB2_1000:                             ;   in Loop: Header=BB2_783 Depth=2
	s_or_b32 exec_lo, exec_lo, s42
.LBB2_1001:                             ;   in Loop: Header=BB2_783 Depth=2
	s_or_b32 exec_lo, exec_lo, s41
	v_cmp_gt_i16_sdwa s41, v13, v84 src0_sel:BYTE_3 src1_sel:DWORD
	s_mov_b32 s13, 0
	s_and_saveexec_b32 s42, s41
	s_xor_b32 s41, exec_lo, s42
	s_cbranch_execz .LBB2_1363
; %bb.1002:                             ;   in Loop: Header=BB2_783 Depth=2
	v_cmp_eq_u16_sdwa s43, v13, v85 src0_sel:BYTE_3 src1_sel:DWORD
	s_mov_b32 s13, -1
	s_and_saveexec_b32 s42, s43
; %bb.1003:                             ;   in Loop: Header=BB2_783 Depth=2
	s_xor_b32 s13, exec_lo, -1
; %bb.1004:                             ;   in Loop: Header=BB2_783 Depth=2
	s_or_b32 exec_lo, exec_lo, s42
	s_and_b32 s13, s13, exec_lo
	s_or_saveexec_b32 s41, s41
	v_mov_b32_e32 v10, 0x7f800001
	s_xor_b32 exec_lo, exec_lo, s41
	s_cbranch_execnz .LBB2_1364
.LBB2_1005:                             ;   in Loop: Header=BB2_783 Depth=2
	s_or_b32 exec_lo, exec_lo, s41
	s_and_saveexec_b32 s41, s13
	s_cbranch_execz .LBB2_1007
.LBB2_1006:                             ;   in Loop: Header=BB2_783 Depth=2
	v_bfe_u32 v10, v13, 24, 3
	v_bfe_u32 v115, v13, 27, 4
	v_ffbh_u32_e32 v11, v10
	v_cmp_eq_u32_e32 vcc_lo, 0, v115
	v_min_u32_e32 v11, 32, v11
	v_subrev_nc_u32_e32 v12, 28, v11
	v_sub_nc_u32_e32 v11, 29, v11
	v_lshlrev_b32_sdwa v12, v12, v13 dst_sel:DWORD dst_unused:UNUSED_PAD src0_sel:DWORD src1_sel:BYTE_3
	v_cndmask_b32_e32 v11, v115, v11, vcc_lo
	v_and_b32_e32 v12, 7, v12
	v_lshl_add_u32 v11, v11, 23, 0x3b800000
	v_cndmask_b32_e32 v10, v10, v12, vcc_lo
	v_and_b32_e32 v12, 0x80000000, v13
	v_lshlrev_b32_e32 v10, 20, v10
	v_or3_b32 v10, v12, v11, v10
.LBB2_1007:                             ;   in Loop: Header=BB2_783 Depth=2
	s_or_b32 exec_lo, exec_lo, s41
	v_mul_f32_e32 v10, s40, v10
	v_mov_b32_e32 v115, 0x8000
	s_mov_b32 s40, exec_lo
	v_and_b32_e32 v11, 0x7f800000, v10
	v_cmpx_ne_u32_e32 0x7f800000, v11
	s_cbranch_execz .LBB2_1015
; %bb.1008:                             ;   in Loop: Header=BB2_783 Depth=2
	v_mov_b32_e32 v115, 0
	s_mov_b32 s41, exec_lo
	v_cmpx_ne_u32_e32 0, v10
	s_cbranch_execz .LBB2_1014
; %bb.1009:                             ;   in Loop: Header=BB2_783 Depth=2
	v_bfe_u32 v11, v10, 23, 8
	v_and_b32_e32 v12, 0x7fffff, v10
	v_sub_nc_u32_e32 v13, 0x78, v11
	v_cmp_gt_u32_e32 vcc_lo, 0x79, v11
	v_or_b32_e32 v115, 0x800000, v12
	v_cndmask_b32_e32 v13, 0, v13, vcc_lo
	v_cmp_eq_u32_e32 vcc_lo, 0, v11
	v_add_nc_u32_e32 v11, 0xffffff89, v11
	v_cndmask_b32_e64 v13, v13, 0x77, vcc_lo
	v_cndmask_b32_e32 v12, v115, v12, vcc_lo
	v_cndmask_b32_e64 v11, v11, 0xffffff8a, vcc_lo
	v_lshl_add_u32 v115, 0x100000, v13, -1
	v_lshrrev_b32_e32 v47, v13, v12
	v_lshlrev_b32_e64 v57, v13, 0x80000
	v_add_nc_u32_e32 v13, v13, v11
	v_and_b32_e32 v12, v115, v12
	v_bfe_u32 v56, v47, 20, 1
	v_cmp_eq_u32_e64 s13, v12, v57
	v_add_nc_u32_e32 v115, -1, v56
	v_cndmask_b32_e64 v12, 0, v115, s13
	v_lshrrev_b32_e32 v115, 23, v47
	s_mov_b32 s13, exec_lo
	v_add_nc_u32_e32 v12, v12, v47
	v_xor_b32_e32 v115, 1, v115
	v_and_b32_e32 v11, 0xfffff, v12
	v_add_nc_u32_e32 v12, v11, v47
                                        ; implicit-def: $vgpr11
	v_cmpx_ne_u32_e64 v13, v115
	s_xor_b32 s13, exec_lo, s13
; %bb.1010:                             ;   in Loop: Header=BB2_783 Depth=2
	v_cmp_lt_u32_e32 vcc_lo, 0xffffff, v12
	v_sub_nc_u32_e32 v11, v13, v115
	v_cndmask_b32_e64 v13, 0, 1, vcc_lo
	v_add_co_ci_u32_e64 v11, null, 0, v11, vcc_lo
	v_lshrrev_b32_e32 v12, v13, v12
; %bb.1011:                             ;   in Loop: Header=BB2_783 Depth=2
	s_andn2_saveexec_b32 s13, s13
; %bb.1012:                             ;   in Loop: Header=BB2_783 Depth=2
	v_bfe_u32 v11, v12, 23, 1
; %bb.1013:                             ;   in Loop: Header=BB2_783 Depth=2
	s_or_b32 exec_lo, exec_lo, s13
	v_lshrrev_b32_e32 v12, 20, v12
	v_min_i32_e32 v13, 15, v11
	v_cmp_gt_i32_e32 vcc_lo, 16, v11
	v_and_b32_sdwa v10, v10, v85 dst_sel:DWORD dst_unused:UNUSED_PAD src0_sel:BYTE_3 src1_sel:DWORD
	v_lshlrev_b32_e32 v13, 3, v13
	v_cndmask_b32_e32 v12, 7, v12, vcc_lo
	v_and_b32_e32 v13, 0xf8, v13
	v_and_b32_e32 v115, 7, v12
	v_or_b32_e32 v11, v11, v12
	v_or3_b32 v10, v10, v13, v115
	v_cmp_ne_u32_e32 vcc_lo, 0, v11
	v_lshlrev_b32_e32 v10, 8, v10
	v_cndmask_b32_e32 v115, 0, v10, vcc_lo
.LBB2_1014:                             ;   in Loop: Header=BB2_783 Depth=2
	s_or_b32 exec_lo, exec_lo, s41
.LBB2_1015:                             ;   in Loop: Header=BB2_783 Depth=2
	s_or_b32 exec_lo, exec_lo, s40
	global_load_dwordx4 v[10:13], v[54:55], off slc
	v_or_b32_e32 v47, v114, v103
	s_mov_b32 s13, 0
	v_cmp_gt_i16_sdwa s40, v47, v84 src0_sel:BYTE_0 src1_sel:DWORD
	s_and_saveexec_b32 s41, s40
	s_xor_b32 s40, exec_lo, s41
	s_cbranch_execz .LBB2_1365
; %bb.1016:                             ;   in Loop: Header=BB2_783 Depth=2
	v_cmp_eq_u16_sdwa s42, v47, v85 src0_sel:BYTE_0 src1_sel:DWORD
	s_mov_b32 s13, -1
	s_and_saveexec_b32 s41, s42
; %bb.1017:                             ;   in Loop: Header=BB2_783 Depth=2
	s_xor_b32 s13, exec_lo, -1
; %bb.1018:                             ;   in Loop: Header=BB2_783 Depth=2
	s_or_b32 exec_lo, exec_lo, s41
	s_and_b32 s13, s13, exec_lo
	s_or_saveexec_b32 s40, s40
	v_mov_b32_e32 v103, 0x7f800001
	s_xor_b32 exec_lo, exec_lo, s40
	s_cbranch_execnz .LBB2_1366
.LBB2_1019:                             ;   in Loop: Header=BB2_783 Depth=2
	s_or_b32 exec_lo, exec_lo, s40
	s_and_saveexec_b32 s40, s13
	s_cbranch_execz .LBB2_1021
.LBB2_1020:                             ;   in Loop: Header=BB2_783 Depth=2
	v_and_b32_e32 v103, 7, v47
	v_bfe_u32 v57, v47, 3, 4
	v_lshlrev_b32_e32 v58, 24, v47
	v_ffbh_u32_e32 v114, v103
	v_cmp_eq_u32_e32 vcc_lo, 0, v57
	v_min_u32_e32 v114, 32, v114
	v_subrev_nc_u32_e32 v56, 28, v114
	v_sub_nc_u32_e32 v114, 29, v114
	v_lshlrev_b32_e32 v56, v56, v47
	v_cndmask_b32_e32 v114, v57, v114, vcc_lo
	v_and_b32_e32 v56, 7, v56
	v_lshl_add_u32 v114, v114, 23, 0x3b800000
	v_cndmask_b32_e32 v103, v103, v56, vcc_lo
	v_and_b32_e32 v56, 0x80000000, v58
	v_lshlrev_b32_e32 v103, 20, v103
	v_or3_b32 v103, v56, v114, v103
.LBB2_1021:                             ;   in Loop: Header=BB2_783 Depth=2
	s_or_b32 exec_lo, exec_lo, s40
	s_waitcnt vmcnt(0)
	v_cmp_gt_i16_sdwa s40, v10, v84 src0_sel:BYTE_0 src1_sel:DWORD
	s_mov_b32 s13, 0
	s_and_saveexec_b32 s41, s40
	s_xor_b32 s40, exec_lo, s41
	s_cbranch_execz .LBB2_1367
; %bb.1022:                             ;   in Loop: Header=BB2_783 Depth=2
	v_cmp_eq_u16_sdwa s42, v10, v85 src0_sel:BYTE_0 src1_sel:DWORD
	s_mov_b32 s13, -1
	s_and_saveexec_b32 s41, s42
; %bb.1023:                             ;   in Loop: Header=BB2_783 Depth=2
	s_xor_b32 s13, exec_lo, -1
; %bb.1024:                             ;   in Loop: Header=BB2_783 Depth=2
	s_or_b32 exec_lo, exec_lo, s41
	s_and_b32 s13, s13, exec_lo
	s_or_saveexec_b32 s40, s40
	v_mov_b32_e32 v114, 0x7f800001
	s_xor_b32 exec_lo, exec_lo, s40
	s_cbranch_execnz .LBB2_1368
.LBB2_1025:                             ;   in Loop: Header=BB2_783 Depth=2
	s_or_b32 exec_lo, exec_lo, s40
	s_and_saveexec_b32 s40, s13
	s_cbranch_execz .LBB2_1027
.LBB2_1026:                             ;   in Loop: Header=BB2_783 Depth=2
	v_and_b32_e32 v114, 7, v10
	v_bfe_u32 v58, v10, 3, 4
	v_lshlrev_b32_e32 v59, 24, v10
	v_ffbh_u32_e32 v56, v114
	v_cmp_eq_u32_e32 vcc_lo, 0, v58
	v_min_u32_e32 v56, 32, v56
	v_subrev_nc_u32_e32 v57, 28, v56
	v_sub_nc_u32_e32 v56, 29, v56
	v_lshlrev_b32_e32 v57, v57, v10
	v_cndmask_b32_e32 v56, v58, v56, vcc_lo
	v_and_b32_e32 v57, 7, v57
	v_lshl_add_u32 v56, v56, 23, 0x3b800000
	v_cndmask_b32_e32 v114, v114, v57, vcc_lo
	v_and_b32_e32 v57, 0x80000000, v59
	v_lshlrev_b32_e32 v114, 20, v114
	v_or3_b32 v114, v57, v56, v114
.LBB2_1027:                             ;   in Loop: Header=BB2_783 Depth=2
	s_or_b32 exec_lo, exec_lo, s40
	v_add_f32_e32 v114, v103, v114
	v_and_b32_e32 v103, 0x7f800000, v114
	v_cmp_ne_u32_e32 vcc_lo, 0x7f800000, v103
	v_mov_b32_e32 v103, 0x80
	s_and_saveexec_b32 s40, vcc_lo
	s_cbranch_execz .LBB2_1035
; %bb.1028:                             ;   in Loop: Header=BB2_783 Depth=2
	v_mov_b32_e32 v103, 0
	s_mov_b32 s41, exec_lo
	v_cmpx_ne_u32_e32 0, v114
	s_cbranch_execz .LBB2_1034
; %bb.1029:                             ;   in Loop: Header=BB2_783 Depth=2
	v_bfe_u32 v103, v114, 23, 8
	v_and_b32_e32 v56, 0x7fffff, v114
	v_sub_nc_u32_e32 v57, 0x78, v103
	v_cmp_gt_u32_e32 vcc_lo, 0x79, v103
	v_or_b32_e32 v58, 0x800000, v56
	v_cndmask_b32_e32 v57, 0, v57, vcc_lo
	v_cmp_eq_u32_e32 vcc_lo, 0, v103
	v_add_nc_u32_e32 v103, 0xffffff89, v103
	v_cndmask_b32_e64 v57, v57, 0x77, vcc_lo
	v_cndmask_b32_e32 v56, v58, v56, vcc_lo
	v_cndmask_b32_e64 v103, v103, 0xffffff8a, vcc_lo
	v_lshl_add_u32 v58, 0x100000, v57, -1
	v_lshrrev_b32_e32 v59, v57, v56
	v_lshlrev_b32_e64 v61, v57, 0x80000
	v_add_nc_u32_e32 v57, v57, v103
	v_and_b32_e32 v56, v58, v56
	v_bfe_u32 v60, v59, 20, 1
	v_cmp_eq_u32_e64 s13, v56, v61
	v_add_nc_u32_e32 v58, -1, v60
	v_cndmask_b32_e64 v56, 0, v58, s13
	v_lshrrev_b32_e32 v58, 23, v59
	s_mov_b32 s13, exec_lo
	v_add_nc_u32_e32 v56, v56, v59
	v_xor_b32_e32 v58, 1, v58
	v_and_b32_e32 v103, 0xfffff, v56
	v_add_nc_u32_e32 v56, v103, v59
                                        ; implicit-def: $vgpr103
	v_cmpx_ne_u32_e64 v57, v58
	s_xor_b32 s13, exec_lo, s13
; %bb.1030:                             ;   in Loop: Header=BB2_783 Depth=2
	v_cmp_lt_u32_e32 vcc_lo, 0xffffff, v56
	v_sub_nc_u32_e32 v103, v57, v58
	v_cndmask_b32_e64 v57, 0, 1, vcc_lo
	v_add_co_ci_u32_e64 v103, null, 0, v103, vcc_lo
	v_lshrrev_b32_e32 v56, v57, v56
; %bb.1031:                             ;   in Loop: Header=BB2_783 Depth=2
	s_andn2_saveexec_b32 s13, s13
; %bb.1032:                             ;   in Loop: Header=BB2_783 Depth=2
	v_bfe_u32 v103, v56, 23, 1
; %bb.1033:                             ;   in Loop: Header=BB2_783 Depth=2
	s_or_b32 exec_lo, exec_lo, s13
	v_lshrrev_b32_e32 v56, 20, v56
	v_min_i32_e32 v57, 15, v103
	v_cmp_gt_i32_e32 vcc_lo, 16, v103
	v_and_b32_sdwa v114, v114, v85 dst_sel:DWORD dst_unused:UNUSED_PAD src0_sel:BYTE_3 src1_sel:DWORD
	v_lshlrev_b32_e32 v57, 3, v57
	v_cndmask_b32_e32 v56, 7, v56, vcc_lo
	v_and_b32_e32 v57, 0xf8, v57
	v_and_b32_e32 v58, 7, v56
	v_or_b32_e32 v103, v103, v56
	v_or3_b32 v114, v57, v114, v58
	v_cmp_ne_u32_e32 vcc_lo, 0, v103
	v_cndmask_b32_e32 v103, 0, v114, vcc_lo
.LBB2_1034:                             ;   in Loop: Header=BB2_783 Depth=2
	s_or_b32 exec_lo, exec_lo, s41
.LBB2_1035:                             ;   in Loop: Header=BB2_783 Depth=2
	s_or_b32 exec_lo, exec_lo, s40
	v_cmp_gt_i16_sdwa s40, v47, v84 src0_sel:BYTE_1 src1_sel:DWORD
	s_mov_b32 s13, 0
	s_and_saveexec_b32 s41, s40
	s_xor_b32 s40, exec_lo, s41
	s_cbranch_execz .LBB2_1369
; %bb.1036:                             ;   in Loop: Header=BB2_783 Depth=2
	v_cmp_eq_u16_sdwa s42, v47, v85 src0_sel:BYTE_1 src1_sel:DWORD
	s_mov_b32 s13, -1
	s_and_saveexec_b32 s41, s42
; %bb.1037:                             ;   in Loop: Header=BB2_783 Depth=2
	s_xor_b32 s13, exec_lo, -1
; %bb.1038:                             ;   in Loop: Header=BB2_783 Depth=2
	s_or_b32 exec_lo, exec_lo, s41
	s_and_b32 s13, s13, exec_lo
	s_or_saveexec_b32 s40, s40
	v_mov_b32_e32 v114, 0x7f800001
	s_xor_b32 exec_lo, exec_lo, s40
	s_cbranch_execnz .LBB2_1370
.LBB2_1039:                             ;   in Loop: Header=BB2_783 Depth=2
	s_or_b32 exec_lo, exec_lo, s40
	s_and_saveexec_b32 s40, s13
	s_cbranch_execz .LBB2_1041
.LBB2_1040:                             ;   in Loop: Header=BB2_783 Depth=2
	v_and_b32_sdwa v114, v86, v47 dst_sel:DWORD dst_unused:UNUSED_PAD src0_sel:DWORD src1_sel:BYTE_1
	v_and_b32_e32 v56, 7, v114
	v_bfe_u32 v59, v114, 3, 4
	v_ffbh_u32_e32 v57, v56
	v_cmp_eq_u32_e32 vcc_lo, 0, v59
	v_min_u32_e32 v57, 32, v57
	v_subrev_nc_u32_e32 v58, 28, v57
	v_sub_nc_u32_e32 v57, 29, v57
	v_lshlrev_b32_e32 v114, v58, v114
	v_lshlrev_b32_sdwa v58, v87, v47 dst_sel:DWORD dst_unused:UNUSED_PAD src0_sel:DWORD src1_sel:BYTE_1
	v_cndmask_b32_e32 v57, v59, v57, vcc_lo
	v_and_b32_e32 v114, 7, v114
	v_lshl_add_u32 v57, v57, 23, 0x3b800000
	v_cndmask_b32_e32 v114, v56, v114, vcc_lo
	v_and_b32_e32 v56, 0x80000000, v58
	v_lshlrev_b32_e32 v114, 20, v114
	v_or3_b32 v114, v56, v57, v114
.LBB2_1041:                             ;   in Loop: Header=BB2_783 Depth=2
	s_or_b32 exec_lo, exec_lo, s40
	v_cmp_gt_i16_sdwa s40, v10, v84 src0_sel:BYTE_1 src1_sel:DWORD
	s_mov_b32 s13, 0
	s_and_saveexec_b32 s41, s40
	s_xor_b32 s40, exec_lo, s41
	s_cbranch_execz .LBB2_1371
; %bb.1042:                             ;   in Loop: Header=BB2_783 Depth=2
	v_cmp_eq_u16_sdwa s42, v10, v85 src0_sel:BYTE_1 src1_sel:DWORD
	s_mov_b32 s13, -1
	s_and_saveexec_b32 s41, s42
; %bb.1043:                             ;   in Loop: Header=BB2_783 Depth=2
	s_xor_b32 s13, exec_lo, -1
; %bb.1044:                             ;   in Loop: Header=BB2_783 Depth=2
	s_or_b32 exec_lo, exec_lo, s41
	s_and_b32 s13, s13, exec_lo
	s_or_saveexec_b32 s40, s40
	v_mov_b32_e32 v56, 0x7f800001
	s_xor_b32 exec_lo, exec_lo, s40
	s_cbranch_execnz .LBB2_1372
.LBB2_1045:                             ;   in Loop: Header=BB2_783 Depth=2
	s_or_b32 exec_lo, exec_lo, s40
	s_and_saveexec_b32 s40, s13
	s_cbranch_execz .LBB2_1047
.LBB2_1046:                             ;   in Loop: Header=BB2_783 Depth=2
	v_and_b32_sdwa v56, v86, v10 dst_sel:DWORD dst_unused:UNUSED_PAD src0_sel:DWORD src1_sel:BYTE_1
	v_and_b32_e32 v57, 7, v56
	v_bfe_u32 v60, v56, 3, 4
	v_ffbh_u32_e32 v58, v57
	v_cmp_eq_u32_e32 vcc_lo, 0, v60
	v_min_u32_e32 v58, 32, v58
	v_subrev_nc_u32_e32 v59, 28, v58
	v_sub_nc_u32_e32 v58, 29, v58
	v_lshlrev_b32_e32 v56, v59, v56
	v_lshlrev_b32_sdwa v59, v87, v10 dst_sel:DWORD dst_unused:UNUSED_PAD src0_sel:DWORD src1_sel:BYTE_1
	v_cndmask_b32_e32 v58, v60, v58, vcc_lo
	v_and_b32_e32 v56, 7, v56
	v_lshl_add_u32 v58, v58, 23, 0x3b800000
	v_cndmask_b32_e32 v56, v57, v56, vcc_lo
	v_and_b32_e32 v57, 0x80000000, v59
	v_lshlrev_b32_e32 v56, 20, v56
	v_or3_b32 v56, v57, v58, v56
.LBB2_1047:                             ;   in Loop: Header=BB2_783 Depth=2
	s_or_b32 exec_lo, exec_lo, s40
	v_add_f32_e32 v56, v114, v56
	v_and_b32_e32 v114, 0x7f800000, v56
	v_cmp_ne_u32_e32 vcc_lo, 0x7f800000, v114
	v_mov_b32_e32 v114, 0x8000
	s_and_saveexec_b32 s40, vcc_lo
	s_cbranch_execz .LBB2_1055
; %bb.1048:                             ;   in Loop: Header=BB2_783 Depth=2
	v_mov_b32_e32 v114, 0
	s_mov_b32 s41, exec_lo
	v_cmpx_ne_u32_e32 0, v56
	s_cbranch_execz .LBB2_1054
; %bb.1049:                             ;   in Loop: Header=BB2_783 Depth=2
	v_bfe_u32 v114, v56, 23, 8
	v_and_b32_e32 v57, 0x7fffff, v56
	v_sub_nc_u32_e32 v58, 0x78, v114
	v_cmp_gt_u32_e32 vcc_lo, 0x79, v114
	v_or_b32_e32 v59, 0x800000, v57
	v_cndmask_b32_e32 v58, 0, v58, vcc_lo
	v_cmp_eq_u32_e32 vcc_lo, 0, v114
	v_add_nc_u32_e32 v114, 0xffffff89, v114
	v_cndmask_b32_e64 v58, v58, 0x77, vcc_lo
	v_cndmask_b32_e32 v57, v59, v57, vcc_lo
	v_cndmask_b32_e64 v114, v114, 0xffffff8a, vcc_lo
	v_lshl_add_u32 v59, 0x100000, v58, -1
	v_lshrrev_b32_e32 v60, v58, v57
	v_lshlrev_b32_e64 v62, v58, 0x80000
	v_add_nc_u32_e32 v58, v58, v114
	v_and_b32_e32 v57, v59, v57
	v_bfe_u32 v61, v60, 20, 1
	v_cmp_eq_u32_e64 s13, v57, v62
	v_add_nc_u32_e32 v59, -1, v61
	v_cndmask_b32_e64 v57, 0, v59, s13
	v_lshrrev_b32_e32 v59, 23, v60
	s_mov_b32 s13, exec_lo
	v_add_nc_u32_e32 v57, v57, v60
	v_xor_b32_e32 v59, 1, v59
	v_and_b32_e32 v114, 0xfffff, v57
	v_add_nc_u32_e32 v57, v114, v60
                                        ; implicit-def: $vgpr114
	v_cmpx_ne_u32_e64 v58, v59
	s_xor_b32 s13, exec_lo, s13
; %bb.1050:                             ;   in Loop: Header=BB2_783 Depth=2
	v_cmp_lt_u32_e32 vcc_lo, 0xffffff, v57
	v_sub_nc_u32_e32 v114, v58, v59
	v_cndmask_b32_e64 v58, 0, 1, vcc_lo
	v_add_co_ci_u32_e64 v114, null, 0, v114, vcc_lo
	v_lshrrev_b32_e32 v57, v58, v57
; %bb.1051:                             ;   in Loop: Header=BB2_783 Depth=2
	s_andn2_saveexec_b32 s13, s13
; %bb.1052:                             ;   in Loop: Header=BB2_783 Depth=2
	v_bfe_u32 v114, v57, 23, 1
; %bb.1053:                             ;   in Loop: Header=BB2_783 Depth=2
	s_or_b32 exec_lo, exec_lo, s13
	v_lshrrev_b32_e32 v57, 20, v57
	v_min_i32_e32 v58, 15, v114
	v_cmp_gt_i32_e32 vcc_lo, 16, v114
	v_and_b32_sdwa v56, v56, v85 dst_sel:DWORD dst_unused:UNUSED_PAD src0_sel:BYTE_3 src1_sel:DWORD
	v_lshlrev_b32_e32 v58, 3, v58
	v_cndmask_b32_e32 v57, 7, v57, vcc_lo
	v_and_b32_e32 v58, 0xf8, v58
	v_and_b32_e32 v59, 7, v57
	v_or_b32_e32 v114, v114, v57
	v_or3_b32 v56, v56, v58, v59
	v_cmp_ne_u32_e32 vcc_lo, 0, v114
	v_lshlrev_b32_e32 v56, 8, v56
	v_cndmask_b32_e32 v114, 0, v56, vcc_lo
.LBB2_1054:                             ;   in Loop: Header=BB2_783 Depth=2
	s_or_b32 exec_lo, exec_lo, s41
.LBB2_1055:                             ;   in Loop: Header=BB2_783 Depth=2
	s_or_b32 exec_lo, exec_lo, s40
	v_or_b32_e32 v46, v46, v119
	s_mov_b32 s13, 0
	v_cmp_gt_i16_sdwa s40, v46, v84 src0_sel:BYTE_0 src1_sel:DWORD
	s_and_saveexec_b32 s41, s40
	s_xor_b32 s40, exec_lo, s41
	s_cbranch_execz .LBB2_1373
; %bb.1056:                             ;   in Loop: Header=BB2_783 Depth=2
	v_cmp_eq_u16_sdwa s42, v46, v85 src0_sel:BYTE_0 src1_sel:DWORD
	s_mov_b32 s13, -1
	s_and_saveexec_b32 s41, s42
; %bb.1057:                             ;   in Loop: Header=BB2_783 Depth=2
	s_xor_b32 s13, exec_lo, -1
; %bb.1058:                             ;   in Loop: Header=BB2_783 Depth=2
	s_or_b32 exec_lo, exec_lo, s41
	s_and_b32 s13, s13, exec_lo
	s_or_saveexec_b32 s40, s40
	v_mov_b32_e32 v119, 0x7f800001
	s_xor_b32 exec_lo, exec_lo, s40
	s_cbranch_execnz .LBB2_1374
.LBB2_1059:                             ;   in Loop: Header=BB2_783 Depth=2
	s_or_b32 exec_lo, exec_lo, s40
	v_lshl_or_b32 v46, v46, 16, v47
	s_and_saveexec_b32 s40, s13
	s_cbranch_execz .LBB2_1061
.LBB2_1060:                             ;   in Loop: Header=BB2_783 Depth=2
	v_bfe_u32 v119, v46, 16, 3
	v_bfe_u32 v57, v46, 19, 4
	v_lshlrev_b32_e32 v58, 8, v46
	v_ffbh_u32_e32 v47, v119
	v_cmp_eq_u32_e32 vcc_lo, 0, v57
	v_min_u32_e32 v47, 32, v47
	v_subrev_nc_u32_e32 v56, 28, v47
	v_sub_nc_u32_e32 v47, 29, v47
	v_lshlrev_b32_sdwa v56, v56, v46 dst_sel:DWORD dst_unused:UNUSED_PAD src0_sel:DWORD src1_sel:WORD_1
	v_cndmask_b32_e32 v47, v57, v47, vcc_lo
	v_and_b32_e32 v56, 7, v56
	v_lshl_add_u32 v47, v47, 23, 0x3b800000
	v_cndmask_b32_e32 v119, v119, v56, vcc_lo
	v_and_b32_e32 v56, 0x80000000, v58
	v_lshlrev_b32_e32 v119, 20, v119
	v_or3_b32 v119, v56, v47, v119
.LBB2_1061:                             ;   in Loop: Header=BB2_783 Depth=2
	s_or_b32 exec_lo, exec_lo, s40
	v_and_b32_sdwa v56, v10, v96 dst_sel:DWORD dst_unused:UNUSED_PAD src0_sel:WORD_1 src1_sel:DWORD
	s_mov_b32 s13, 0
	s_mov_b32 s40, exec_lo
	v_cmpx_lt_i16_e32 0x7f, v56
	s_xor_b32 s40, exec_lo, s40
	s_cbranch_execz .LBB2_1375
; %bb.1062:                             ;   in Loop: Header=BB2_783 Depth=2
	s_mov_b32 s13, -1
	s_mov_b32 s41, exec_lo
	v_cmpx_eq_u16_e32 0x80, v56
; %bb.1063:                             ;   in Loop: Header=BB2_783 Depth=2
	s_xor_b32 s13, exec_lo, -1
; %bb.1064:                             ;   in Loop: Header=BB2_783 Depth=2
	s_or_b32 exec_lo, exec_lo, s41
	s_and_b32 s13, s13, exec_lo
                                        ; implicit-def: $vgpr56
	s_or_saveexec_b32 s40, s40
	v_mov_b32_e32 v47, 0x7f800001
	s_xor_b32 exec_lo, exec_lo, s40
	s_cbranch_execnz .LBB2_1376
.LBB2_1065:                             ;   in Loop: Header=BB2_783 Depth=2
	s_or_b32 exec_lo, exec_lo, s40
	s_and_saveexec_b32 s40, s13
	s_cbranch_execz .LBB2_1067
.LBB2_1066:                             ;   in Loop: Header=BB2_783 Depth=2
	v_and_b32_sdwa v47, v10, v97 dst_sel:DWORD dst_unused:UNUSED_PAD src0_sel:WORD_1 src1_sel:DWORD
	v_bfe_u32 v58, v10, 19, 4
	v_lshlrev_b32_sdwa v59, v87, v10 dst_sel:DWORD dst_unused:UNUSED_PAD src0_sel:DWORD src1_sel:WORD_1
	v_ffbh_u32_e32 v56, v47
	v_cmp_eq_u32_e32 vcc_lo, 0, v58
	v_min_u32_e32 v56, 32, v56
	v_subrev_nc_u32_e32 v57, 28, v56
	v_sub_nc_u32_e32 v56, 29, v56
	v_lshlrev_b32_sdwa v57, v57, v10 dst_sel:DWORD dst_unused:UNUSED_PAD src0_sel:DWORD src1_sel:WORD_1
	v_cndmask_b32_e32 v56, v58, v56, vcc_lo
	v_and_b32_e32 v57, 7, v57
	v_lshl_add_u32 v56, v56, 23, 0x3b800000
	v_cndmask_b32_e32 v47, v47, v57, vcc_lo
	v_and_b32_e32 v57, 0x80000000, v59
	v_lshlrev_b32_e32 v47, 20, v47
	v_or3_b32 v47, v57, v56, v47
.LBB2_1067:                             ;   in Loop: Header=BB2_783 Depth=2
	s_or_b32 exec_lo, exec_lo, s40
	v_add_f32_e32 v47, v119, v47
	v_and_b32_e32 v119, 0x7f800000, v47
	v_cmp_ne_u32_e32 vcc_lo, 0x7f800000, v119
	v_mov_b32_e32 v119, 0x80
	s_and_saveexec_b32 s40, vcc_lo
	s_cbranch_execz .LBB2_1075
; %bb.1068:                             ;   in Loop: Header=BB2_783 Depth=2
	v_mov_b32_e32 v119, 0
	s_mov_b32 s41, exec_lo
	v_cmpx_ne_u32_e32 0, v47
	s_cbranch_execz .LBB2_1074
; %bb.1069:                             ;   in Loop: Header=BB2_783 Depth=2
	v_bfe_u32 v119, v47, 23, 8
	v_and_b32_e32 v56, 0x7fffff, v47
	v_sub_nc_u32_e32 v57, 0x78, v119
	v_cmp_gt_u32_e32 vcc_lo, 0x79, v119
	v_or_b32_e32 v58, 0x800000, v56
	v_cndmask_b32_e32 v57, 0, v57, vcc_lo
	v_cmp_eq_u32_e32 vcc_lo, 0, v119
	v_add_nc_u32_e32 v119, 0xffffff89, v119
	v_cndmask_b32_e64 v57, v57, 0x77, vcc_lo
	v_cndmask_b32_e32 v56, v58, v56, vcc_lo
	v_cndmask_b32_e64 v119, v119, 0xffffff8a, vcc_lo
	v_lshl_add_u32 v58, 0x100000, v57, -1
	v_lshrrev_b32_e32 v59, v57, v56
	v_lshlrev_b32_e64 v61, v57, 0x80000
	v_add_nc_u32_e32 v57, v57, v119
	v_and_b32_e32 v56, v58, v56
	v_bfe_u32 v60, v59, 20, 1
	v_cmp_eq_u32_e64 s13, v56, v61
	v_add_nc_u32_e32 v58, -1, v60
	v_cndmask_b32_e64 v56, 0, v58, s13
	v_lshrrev_b32_e32 v58, 23, v59
	s_mov_b32 s13, exec_lo
	v_add_nc_u32_e32 v56, v56, v59
	v_xor_b32_e32 v58, 1, v58
	v_and_b32_e32 v119, 0xfffff, v56
	v_add_nc_u32_e32 v56, v119, v59
                                        ; implicit-def: $vgpr119
	v_cmpx_ne_u32_e64 v57, v58
	s_xor_b32 s13, exec_lo, s13
; %bb.1070:                             ;   in Loop: Header=BB2_783 Depth=2
	v_cmp_lt_u32_e32 vcc_lo, 0xffffff, v56
	v_sub_nc_u32_e32 v119, v57, v58
	v_cndmask_b32_e64 v57, 0, 1, vcc_lo
	v_add_co_ci_u32_e64 v119, null, 0, v119, vcc_lo
	v_lshrrev_b32_e32 v56, v57, v56
; %bb.1071:                             ;   in Loop: Header=BB2_783 Depth=2
	s_andn2_saveexec_b32 s13, s13
; %bb.1072:                             ;   in Loop: Header=BB2_783 Depth=2
	v_bfe_u32 v119, v56, 23, 1
; %bb.1073:                             ;   in Loop: Header=BB2_783 Depth=2
	s_or_b32 exec_lo, exec_lo, s13
	v_lshrrev_b32_e32 v56, 20, v56
	v_min_i32_e32 v57, 15, v119
	v_cmp_gt_i32_e32 vcc_lo, 16, v119
	v_and_b32_sdwa v47, v47, v85 dst_sel:DWORD dst_unused:UNUSED_PAD src0_sel:BYTE_3 src1_sel:DWORD
	v_lshlrev_b32_e32 v57, 3, v57
	v_cndmask_b32_e32 v56, 7, v56, vcc_lo
	v_and_b32_e32 v57, 0xf8, v57
	v_and_b32_e32 v58, 7, v56
	v_or_b32_e32 v119, v119, v56
	v_or3_b32 v47, v57, v47, v58
	v_cmp_ne_u32_e32 vcc_lo, 0, v119
	v_cndmask_b32_e32 v119, 0, v47, vcc_lo
.LBB2_1074:                             ;   in Loop: Header=BB2_783 Depth=2
	s_or_b32 exec_lo, exec_lo, s41
.LBB2_1075:                             ;   in Loop: Header=BB2_783 Depth=2
	s_or_b32 exec_lo, exec_lo, s40
	v_cmp_gt_i16_sdwa s40, v46, v84 src0_sel:BYTE_3 src1_sel:DWORD
	s_mov_b32 s13, 0
	s_and_saveexec_b32 s41, s40
	s_xor_b32 s40, exec_lo, s41
	s_cbranch_execz .LBB2_1377
; %bb.1076:                             ;   in Loop: Header=BB2_783 Depth=2
	v_cmp_eq_u16_sdwa s42, v46, v85 src0_sel:BYTE_3 src1_sel:DWORD
	s_mov_b32 s13, -1
	s_and_saveexec_b32 s41, s42
; %bb.1077:                             ;   in Loop: Header=BB2_783 Depth=2
	s_xor_b32 s13, exec_lo, -1
; %bb.1078:                             ;   in Loop: Header=BB2_783 Depth=2
	s_or_b32 exec_lo, exec_lo, s41
	s_and_b32 s13, s13, exec_lo
	s_or_saveexec_b32 s40, s40
	v_mov_b32_e32 v47, 0x7f800001
	s_xor_b32 exec_lo, exec_lo, s40
	s_cbranch_execnz .LBB2_1378
.LBB2_1079:                             ;   in Loop: Header=BB2_783 Depth=2
	s_or_b32 exec_lo, exec_lo, s40
	s_and_saveexec_b32 s40, s13
	s_cbranch_execz .LBB2_1081
.LBB2_1080:                             ;   in Loop: Header=BB2_783 Depth=2
	v_bfe_u32 v47, v46, 24, 3
	v_bfe_u32 v58, v46, 27, 4
	v_ffbh_u32_e32 v56, v47
	v_cmp_eq_u32_e32 vcc_lo, 0, v58
	v_min_u32_e32 v56, 32, v56
	v_subrev_nc_u32_e32 v57, 28, v56
	v_sub_nc_u32_e32 v56, 29, v56
	v_lshlrev_b32_sdwa v57, v57, v46 dst_sel:DWORD dst_unused:UNUSED_PAD src0_sel:DWORD src1_sel:BYTE_3
	v_cndmask_b32_e32 v56, v58, v56, vcc_lo
	v_and_b32_e32 v46, 0x80000000, v46
	v_and_b32_e32 v57, 7, v57
	v_lshl_add_u32 v56, v56, 23, 0x3b800000
	v_cndmask_b32_e32 v47, v47, v57, vcc_lo
	v_lshlrev_b32_e32 v47, 20, v47
	v_or3_b32 v47, v46, v56, v47
.LBB2_1081:                             ;   in Loop: Header=BB2_783 Depth=2
	s_or_b32 exec_lo, exec_lo, s40
	v_cmp_gt_i16_sdwa s40, v10, v84 src0_sel:BYTE_3 src1_sel:DWORD
	s_mov_b32 s13, 0
	s_and_saveexec_b32 s41, s40
	s_xor_b32 s40, exec_lo, s41
	s_cbranch_execz .LBB2_1379
; %bb.1082:                             ;   in Loop: Header=BB2_783 Depth=2
	v_cmp_eq_u16_sdwa s42, v10, v85 src0_sel:BYTE_3 src1_sel:DWORD
	s_mov_b32 s13, -1
	s_and_saveexec_b32 s41, s42
; %bb.1083:                             ;   in Loop: Header=BB2_783 Depth=2
	s_xor_b32 s13, exec_lo, -1
; %bb.1084:                             ;   in Loop: Header=BB2_783 Depth=2
	s_or_b32 exec_lo, exec_lo, s41
	s_and_b32 s13, s13, exec_lo
	s_or_saveexec_b32 s40, s40
	v_mov_b32_e32 v46, 0x7f800001
	s_xor_b32 exec_lo, exec_lo, s40
	s_cbranch_execnz .LBB2_1380
.LBB2_1085:                             ;   in Loop: Header=BB2_783 Depth=2
	s_or_b32 exec_lo, exec_lo, s40
	s_and_saveexec_b32 s40, s13
	s_cbranch_execz .LBB2_1087
.LBB2_1086:                             ;   in Loop: Header=BB2_783 Depth=2
	v_and_b32_sdwa v46, v10, v97 dst_sel:DWORD dst_unused:UNUSED_PAD src0_sel:BYTE_3 src1_sel:DWORD
	v_bfe_u32 v58, v10, 27, 4
	v_ffbh_u32_e32 v56, v46
	v_cmp_eq_u32_e32 vcc_lo, 0, v58
	v_min_u32_e32 v56, 32, v56
	v_subrev_nc_u32_e32 v57, 28, v56
	v_sub_nc_u32_e32 v56, 29, v56
	v_lshlrev_b32_sdwa v57, v57, v10 dst_sel:DWORD dst_unused:UNUSED_PAD src0_sel:DWORD src1_sel:BYTE_3
	v_cndmask_b32_e32 v56, v58, v56, vcc_lo
	v_and_b32_e32 v10, 0x80000000, v10
	v_and_b32_e32 v57, 7, v57
	v_lshl_add_u32 v56, v56, 23, 0x3b800000
	v_cndmask_b32_e32 v46, v46, v57, vcc_lo
	v_lshlrev_b32_e32 v46, 20, v46
	v_or3_b32 v46, v10, v56, v46
.LBB2_1087:                             ;   in Loop: Header=BB2_783 Depth=2
	s_or_b32 exec_lo, exec_lo, s40
	v_add_f32_e32 v46, v47, v46
	v_and_b32_e32 v10, 0x7f800000, v46
	v_cmp_ne_u32_e32 vcc_lo, 0x7f800000, v10
	v_mov_b32_e32 v10, 0x8000
	s_and_saveexec_b32 s40, vcc_lo
	s_cbranch_execz .LBB2_1095
; %bb.1088:                             ;   in Loop: Header=BB2_783 Depth=2
	v_mov_b32_e32 v10, 0
	s_mov_b32 s41, exec_lo
	v_cmpx_ne_u32_e32 0, v46
	s_cbranch_execz .LBB2_1094
; %bb.1089:                             ;   in Loop: Header=BB2_783 Depth=2
	v_bfe_u32 v10, v46, 23, 8
	v_and_b32_e32 v47, 0x7fffff, v46
	v_sub_nc_u32_e32 v56, 0x78, v10
	v_cmp_gt_u32_e32 vcc_lo, 0x79, v10
	v_or_b32_e32 v57, 0x800000, v47
	v_cndmask_b32_e32 v56, 0, v56, vcc_lo
	v_cmp_eq_u32_e32 vcc_lo, 0, v10
	v_add_nc_u32_e32 v10, 0xffffff89, v10
	v_cndmask_b32_e64 v56, v56, 0x77, vcc_lo
	v_cndmask_b32_e32 v47, v57, v47, vcc_lo
	v_cndmask_b32_e64 v10, v10, 0xffffff8a, vcc_lo
	v_lshl_add_u32 v57, 0x100000, v56, -1
	v_lshrrev_b32_e32 v58, v56, v47
	v_lshlrev_b32_e64 v60, v56, 0x80000
	v_add_nc_u32_e32 v56, v56, v10
	v_and_b32_e32 v47, v57, v47
	v_bfe_u32 v59, v58, 20, 1
	v_cmp_eq_u32_e64 s13, v47, v60
	v_add_nc_u32_e32 v57, -1, v59
	v_cndmask_b32_e64 v47, 0, v57, s13
	v_lshrrev_b32_e32 v57, 23, v58
	s_mov_b32 s13, exec_lo
	v_add_nc_u32_e32 v47, v47, v58
	v_xor_b32_e32 v57, 1, v57
	v_and_b32_e32 v10, 0xfffff, v47
	v_add_nc_u32_e32 v47, v10, v58
                                        ; implicit-def: $vgpr10
	v_cmpx_ne_u32_e64 v56, v57
	s_xor_b32 s13, exec_lo, s13
; %bb.1090:                             ;   in Loop: Header=BB2_783 Depth=2
	v_cmp_lt_u32_e32 vcc_lo, 0xffffff, v47
	v_sub_nc_u32_e32 v10, v56, v57
	v_cndmask_b32_e64 v56, 0, 1, vcc_lo
	v_add_co_ci_u32_e64 v10, null, 0, v10, vcc_lo
	v_lshrrev_b32_e32 v47, v56, v47
; %bb.1091:                             ;   in Loop: Header=BB2_783 Depth=2
	s_andn2_saveexec_b32 s13, s13
; %bb.1092:                             ;   in Loop: Header=BB2_783 Depth=2
	v_bfe_u32 v10, v47, 23, 1
; %bb.1093:                             ;   in Loop: Header=BB2_783 Depth=2
	s_or_b32 exec_lo, exec_lo, s13
	v_lshrrev_b32_e32 v47, 20, v47
	v_min_i32_e32 v56, 15, v10
	v_cmp_gt_i32_e32 vcc_lo, 16, v10
	v_and_b32_sdwa v46, v46, v85 dst_sel:DWORD dst_unused:UNUSED_PAD src0_sel:BYTE_3 src1_sel:DWORD
	v_lshlrev_b32_e32 v56, 3, v56
	v_cndmask_b32_e32 v47, 7, v47, vcc_lo
	v_and_b32_e32 v56, 0xf8, v56
	v_and_b32_e32 v57, 7, v47
	v_or_b32_e32 v10, v10, v47
	v_or3_b32 v46, v46, v56, v57
	v_cmp_ne_u32_e32 vcc_lo, 0, v10
	v_lshlrev_b32_e32 v46, 8, v46
	v_cndmask_b32_e32 v10, 0, v46, vcc_lo
.LBB2_1094:                             ;   in Loop: Header=BB2_783 Depth=2
	s_or_b32 exec_lo, exec_lo, s41
.LBB2_1095:                             ;   in Loop: Header=BB2_783 Depth=2
	s_or_b32 exec_lo, exec_lo, s40
	v_or_b32_e32 v46, v45, v43
	s_mov_b32 s13, 0
	v_cmp_gt_i16_sdwa s40, v46, v84 src0_sel:BYTE_0 src1_sel:DWORD
	s_and_saveexec_b32 s41, s40
	s_xor_b32 s40, exec_lo, s41
	s_cbranch_execz .LBB2_1381
; %bb.1096:                             ;   in Loop: Header=BB2_783 Depth=2
	v_cmp_eq_u16_sdwa s42, v46, v85 src0_sel:BYTE_0 src1_sel:DWORD
	s_mov_b32 s13, -1
	s_and_saveexec_b32 s41, s42
; %bb.1097:                             ;   in Loop: Header=BB2_783 Depth=2
	s_xor_b32 s13, exec_lo, -1
; %bb.1098:                             ;   in Loop: Header=BB2_783 Depth=2
	s_or_b32 exec_lo, exec_lo, s41
	s_and_b32 s13, s13, exec_lo
	s_or_saveexec_b32 s40, s40
	v_mov_b32_e32 v43, 0x7f800001
	s_xor_b32 exec_lo, exec_lo, s40
	s_cbranch_execnz .LBB2_1382
.LBB2_1099:                             ;   in Loop: Header=BB2_783 Depth=2
	s_or_b32 exec_lo, exec_lo, s40
	s_and_saveexec_b32 s40, s13
	s_cbranch_execz .LBB2_1101
.LBB2_1100:                             ;   in Loop: Header=BB2_783 Depth=2
	v_and_b32_e32 v43, 7, v46
	v_bfe_u32 v56, v46, 3, 4
	v_lshlrev_b32_e32 v57, 24, v46
	v_ffbh_u32_e32 v45, v43
	v_cmp_eq_u32_e32 vcc_lo, 0, v56
	v_min_u32_e32 v45, 32, v45
	v_subrev_nc_u32_e32 v47, 28, v45
	v_sub_nc_u32_e32 v45, 29, v45
	v_lshlrev_b32_e32 v47, v47, v46
	v_cndmask_b32_e32 v45, v56, v45, vcc_lo
	v_and_b32_e32 v47, 7, v47
	v_lshl_add_u32 v45, v45, 23, 0x3b800000
	v_cndmask_b32_e32 v43, v43, v47, vcc_lo
	v_and_b32_e32 v47, 0x80000000, v57
	v_lshlrev_b32_e32 v43, 20, v43
	v_or3_b32 v43, v47, v45, v43
.LBB2_1101:                             ;   in Loop: Header=BB2_783 Depth=2
	s_or_b32 exec_lo, exec_lo, s40
	v_cmp_gt_i16_sdwa s40, v11, v84 src0_sel:BYTE_0 src1_sel:DWORD
	s_mov_b32 s13, 0
	s_and_saveexec_b32 s41, s40
	s_xor_b32 s40, exec_lo, s41
	s_cbranch_execz .LBB2_1383
; %bb.1102:                             ;   in Loop: Header=BB2_783 Depth=2
	v_cmp_eq_u16_sdwa s42, v11, v85 src0_sel:BYTE_0 src1_sel:DWORD
	s_mov_b32 s13, -1
	s_and_saveexec_b32 s41, s42
; %bb.1103:                             ;   in Loop: Header=BB2_783 Depth=2
	s_xor_b32 s13, exec_lo, -1
; %bb.1104:                             ;   in Loop: Header=BB2_783 Depth=2
	s_or_b32 exec_lo, exec_lo, s41
	s_and_b32 s13, s13, exec_lo
	s_or_saveexec_b32 s40, s40
	v_mov_b32_e32 v45, 0x7f800001
	s_xor_b32 exec_lo, exec_lo, s40
	s_cbranch_execnz .LBB2_1384
.LBB2_1105:                             ;   in Loop: Header=BB2_783 Depth=2
	s_or_b32 exec_lo, exec_lo, s40
	s_and_saveexec_b32 s40, s13
	s_cbranch_execz .LBB2_1107
.LBB2_1106:                             ;   in Loop: Header=BB2_783 Depth=2
	v_and_b32_e32 v45, 7, v11
	v_bfe_u32 v57, v11, 3, 4
	v_lshlrev_b32_e32 v58, 24, v11
	v_ffbh_u32_e32 v47, v45
	v_cmp_eq_u32_e32 vcc_lo, 0, v57
	v_min_u32_e32 v47, 32, v47
	v_subrev_nc_u32_e32 v56, 28, v47
	v_sub_nc_u32_e32 v47, 29, v47
	v_lshlrev_b32_e32 v56, v56, v11
	v_cndmask_b32_e32 v47, v57, v47, vcc_lo
	v_and_b32_e32 v56, 7, v56
	v_lshl_add_u32 v47, v47, 23, 0x3b800000
	v_cndmask_b32_e32 v45, v45, v56, vcc_lo
	v_and_b32_e32 v56, 0x80000000, v58
	v_lshlrev_b32_e32 v45, 20, v45
	v_or3_b32 v45, v56, v47, v45
.LBB2_1107:                             ;   in Loop: Header=BB2_783 Depth=2
	s_or_b32 exec_lo, exec_lo, s40
	v_add_f32_e32 v45, v43, v45
	v_and_b32_e32 v43, 0x7f800000, v45
	v_cmp_ne_u32_e32 vcc_lo, 0x7f800000, v43
	v_mov_b32_e32 v43, 0x80
	s_and_saveexec_b32 s40, vcc_lo
	s_cbranch_execz .LBB2_1115
; %bb.1108:                             ;   in Loop: Header=BB2_783 Depth=2
	v_mov_b32_e32 v43, 0
	s_mov_b32 s41, exec_lo
	v_cmpx_ne_u32_e32 0, v45
	s_cbranch_execz .LBB2_1114
; %bb.1109:                             ;   in Loop: Header=BB2_783 Depth=2
	v_bfe_u32 v43, v45, 23, 8
	v_and_b32_e32 v47, 0x7fffff, v45
	v_sub_nc_u32_e32 v56, 0x78, v43
	v_cmp_gt_u32_e32 vcc_lo, 0x79, v43
	v_or_b32_e32 v57, 0x800000, v47
	v_cndmask_b32_e32 v56, 0, v56, vcc_lo
	v_cmp_eq_u32_e32 vcc_lo, 0, v43
	v_add_nc_u32_e32 v43, 0xffffff89, v43
	v_cndmask_b32_e64 v56, v56, 0x77, vcc_lo
	v_cndmask_b32_e32 v47, v57, v47, vcc_lo
	v_cndmask_b32_e64 v43, v43, 0xffffff8a, vcc_lo
	v_lshl_add_u32 v57, 0x100000, v56, -1
	v_lshrrev_b32_e32 v58, v56, v47
	v_lshlrev_b32_e64 v60, v56, 0x80000
	v_add_nc_u32_e32 v56, v56, v43
	v_and_b32_e32 v47, v57, v47
	v_bfe_u32 v59, v58, 20, 1
	v_cmp_eq_u32_e64 s13, v47, v60
	v_add_nc_u32_e32 v57, -1, v59
	v_cndmask_b32_e64 v47, 0, v57, s13
	v_lshrrev_b32_e32 v57, 23, v58
	s_mov_b32 s13, exec_lo
	v_add_nc_u32_e32 v47, v47, v58
	v_xor_b32_e32 v57, 1, v57
	v_and_b32_e32 v43, 0xfffff, v47
	v_add_nc_u32_e32 v47, v43, v58
                                        ; implicit-def: $vgpr43
	v_cmpx_ne_u32_e64 v56, v57
	s_xor_b32 s13, exec_lo, s13
; %bb.1110:                             ;   in Loop: Header=BB2_783 Depth=2
	v_cmp_lt_u32_e32 vcc_lo, 0xffffff, v47
	v_sub_nc_u32_e32 v43, v56, v57
	v_cndmask_b32_e64 v56, 0, 1, vcc_lo
	v_add_co_ci_u32_e64 v43, null, 0, v43, vcc_lo
	v_lshrrev_b32_e32 v47, v56, v47
; %bb.1111:                             ;   in Loop: Header=BB2_783 Depth=2
	s_andn2_saveexec_b32 s13, s13
; %bb.1112:                             ;   in Loop: Header=BB2_783 Depth=2
	v_bfe_u32 v43, v47, 23, 1
; %bb.1113:                             ;   in Loop: Header=BB2_783 Depth=2
	s_or_b32 exec_lo, exec_lo, s13
	v_lshrrev_b32_e32 v47, 20, v47
	v_min_i32_e32 v56, 15, v43
	v_cmp_gt_i32_e32 vcc_lo, 16, v43
	v_and_b32_sdwa v45, v45, v85 dst_sel:DWORD dst_unused:UNUSED_PAD src0_sel:BYTE_3 src1_sel:DWORD
	v_lshlrev_b32_e32 v56, 3, v56
	v_cndmask_b32_e32 v47, 7, v47, vcc_lo
	v_and_b32_e32 v56, 0xf8, v56
	v_and_b32_e32 v57, 7, v47
	v_or_b32_e32 v43, v43, v47
	v_or3_b32 v45, v56, v45, v57
	v_cmp_ne_u32_e32 vcc_lo, 0, v43
	v_cndmask_b32_e32 v43, 0, v45, vcc_lo
.LBB2_1114:                             ;   in Loop: Header=BB2_783 Depth=2
	s_or_b32 exec_lo, exec_lo, s41
.LBB2_1115:                             ;   in Loop: Header=BB2_783 Depth=2
	s_or_b32 exec_lo, exec_lo, s40
	v_cmp_gt_i16_sdwa s40, v46, v84 src0_sel:BYTE_1 src1_sel:DWORD
	s_mov_b32 s13, 0
	s_and_saveexec_b32 s41, s40
	s_xor_b32 s40, exec_lo, s41
	s_cbranch_execz .LBB2_1385
; %bb.1116:                             ;   in Loop: Header=BB2_783 Depth=2
	v_cmp_eq_u16_sdwa s42, v46, v85 src0_sel:BYTE_1 src1_sel:DWORD
	s_mov_b32 s13, -1
	s_and_saveexec_b32 s41, s42
; %bb.1117:                             ;   in Loop: Header=BB2_783 Depth=2
	s_xor_b32 s13, exec_lo, -1
; %bb.1118:                             ;   in Loop: Header=BB2_783 Depth=2
	s_or_b32 exec_lo, exec_lo, s41
	s_and_b32 s13, s13, exec_lo
	s_or_saveexec_b32 s40, s40
	v_mov_b32_e32 v45, 0x7f800001
	s_xor_b32 exec_lo, exec_lo, s40
	s_cbranch_execnz .LBB2_1386
.LBB2_1119:                             ;   in Loop: Header=BB2_783 Depth=2
	s_or_b32 exec_lo, exec_lo, s40
	s_and_saveexec_b32 s40, s13
	s_cbranch_execz .LBB2_1121
.LBB2_1120:                             ;   in Loop: Header=BB2_783 Depth=2
	v_and_b32_sdwa v45, v86, v46 dst_sel:DWORD dst_unused:UNUSED_PAD src0_sel:DWORD src1_sel:BYTE_1
	v_and_b32_e32 v47, 7, v45
	v_bfe_u32 v58, v45, 3, 4
	v_ffbh_u32_e32 v56, v47
	v_cmp_eq_u32_e32 vcc_lo, 0, v58
	v_min_u32_e32 v56, 32, v56
	v_subrev_nc_u32_e32 v57, 28, v56
	v_sub_nc_u32_e32 v56, 29, v56
	v_lshlrev_b32_e32 v45, v57, v45
	v_lshlrev_b32_sdwa v57, v87, v46 dst_sel:DWORD dst_unused:UNUSED_PAD src0_sel:DWORD src1_sel:BYTE_1
	v_cndmask_b32_e32 v56, v58, v56, vcc_lo
	v_and_b32_e32 v45, 7, v45
	v_lshl_add_u32 v56, v56, 23, 0x3b800000
	v_cndmask_b32_e32 v45, v47, v45, vcc_lo
	v_and_b32_e32 v47, 0x80000000, v57
	v_lshlrev_b32_e32 v45, 20, v45
	v_or3_b32 v45, v47, v56, v45
.LBB2_1121:                             ;   in Loop: Header=BB2_783 Depth=2
	s_or_b32 exec_lo, exec_lo, s40
	v_cmp_gt_i16_sdwa s40, v11, v84 src0_sel:BYTE_1 src1_sel:DWORD
	s_mov_b32 s13, 0
	s_and_saveexec_b32 s41, s40
	s_xor_b32 s40, exec_lo, s41
	s_cbranch_execz .LBB2_1387
; %bb.1122:                             ;   in Loop: Header=BB2_783 Depth=2
	v_cmp_eq_u16_sdwa s42, v11, v85 src0_sel:BYTE_1 src1_sel:DWORD
	s_mov_b32 s13, -1
	s_and_saveexec_b32 s41, s42
; %bb.1123:                             ;   in Loop: Header=BB2_783 Depth=2
	s_xor_b32 s13, exec_lo, -1
; %bb.1124:                             ;   in Loop: Header=BB2_783 Depth=2
	s_or_b32 exec_lo, exec_lo, s41
	s_and_b32 s13, s13, exec_lo
	s_or_saveexec_b32 s40, s40
	v_mov_b32_e32 v47, 0x7f800001
	s_xor_b32 exec_lo, exec_lo, s40
	s_cbranch_execnz .LBB2_1388
.LBB2_1125:                             ;   in Loop: Header=BB2_783 Depth=2
	s_or_b32 exec_lo, exec_lo, s40
	s_and_saveexec_b32 s40, s13
	s_cbranch_execz .LBB2_1127
.LBB2_1126:                             ;   in Loop: Header=BB2_783 Depth=2
	v_and_b32_sdwa v47, v86, v11 dst_sel:DWORD dst_unused:UNUSED_PAD src0_sel:DWORD src1_sel:BYTE_1
	v_and_b32_e32 v56, 7, v47
	v_bfe_u32 v59, v47, 3, 4
	v_ffbh_u32_e32 v57, v56
	v_cmp_eq_u32_e32 vcc_lo, 0, v59
	v_min_u32_e32 v57, 32, v57
	v_subrev_nc_u32_e32 v58, 28, v57
	v_sub_nc_u32_e32 v57, 29, v57
	v_lshlrev_b32_e32 v47, v58, v47
	v_lshlrev_b32_sdwa v58, v87, v11 dst_sel:DWORD dst_unused:UNUSED_PAD src0_sel:DWORD src1_sel:BYTE_1
	v_cndmask_b32_e32 v57, v59, v57, vcc_lo
	v_and_b32_e32 v47, 7, v47
	v_lshl_add_u32 v57, v57, 23, 0x3b800000
	v_cndmask_b32_e32 v47, v56, v47, vcc_lo
	v_and_b32_e32 v56, 0x80000000, v58
	v_lshlrev_b32_e32 v47, 20, v47
	v_or3_b32 v47, v56, v57, v47
.LBB2_1127:                             ;   in Loop: Header=BB2_783 Depth=2
	s_or_b32 exec_lo, exec_lo, s40
	v_add_f32_e32 v47, v45, v47
	v_and_b32_e32 v45, 0x7f800000, v47
	v_cmp_ne_u32_e32 vcc_lo, 0x7f800000, v45
	v_mov_b32_e32 v45, 0x8000
	s_and_saveexec_b32 s40, vcc_lo
	s_cbranch_execz .LBB2_1135
; %bb.1128:                             ;   in Loop: Header=BB2_783 Depth=2
	v_mov_b32_e32 v45, 0
	s_mov_b32 s41, exec_lo
	v_cmpx_ne_u32_e32 0, v47
	s_cbranch_execz .LBB2_1134
; %bb.1129:                             ;   in Loop: Header=BB2_783 Depth=2
	v_bfe_u32 v45, v47, 23, 8
	v_and_b32_e32 v56, 0x7fffff, v47
	v_sub_nc_u32_e32 v57, 0x78, v45
	v_cmp_gt_u32_e32 vcc_lo, 0x79, v45
	v_or_b32_e32 v58, 0x800000, v56
	v_cndmask_b32_e32 v57, 0, v57, vcc_lo
	v_cmp_eq_u32_e32 vcc_lo, 0, v45
	v_add_nc_u32_e32 v45, 0xffffff89, v45
	v_cndmask_b32_e64 v57, v57, 0x77, vcc_lo
	v_cndmask_b32_e32 v56, v58, v56, vcc_lo
	v_cndmask_b32_e64 v45, v45, 0xffffff8a, vcc_lo
	v_lshl_add_u32 v58, 0x100000, v57, -1
	v_lshrrev_b32_e32 v59, v57, v56
	v_lshlrev_b32_e64 v61, v57, 0x80000
	v_add_nc_u32_e32 v57, v57, v45
	v_and_b32_e32 v56, v58, v56
	v_bfe_u32 v60, v59, 20, 1
	v_cmp_eq_u32_e64 s13, v56, v61
	v_add_nc_u32_e32 v58, -1, v60
	v_cndmask_b32_e64 v56, 0, v58, s13
	v_lshrrev_b32_e32 v58, 23, v59
	s_mov_b32 s13, exec_lo
	v_add_nc_u32_e32 v56, v56, v59
	v_xor_b32_e32 v58, 1, v58
	v_and_b32_e32 v45, 0xfffff, v56
	v_add_nc_u32_e32 v56, v45, v59
                                        ; implicit-def: $vgpr45
	v_cmpx_ne_u32_e64 v57, v58
	s_xor_b32 s13, exec_lo, s13
; %bb.1130:                             ;   in Loop: Header=BB2_783 Depth=2
	v_cmp_lt_u32_e32 vcc_lo, 0xffffff, v56
	v_sub_nc_u32_e32 v45, v57, v58
	v_cndmask_b32_e64 v57, 0, 1, vcc_lo
	v_add_co_ci_u32_e64 v45, null, 0, v45, vcc_lo
	v_lshrrev_b32_e32 v56, v57, v56
; %bb.1131:                             ;   in Loop: Header=BB2_783 Depth=2
	s_andn2_saveexec_b32 s13, s13
; %bb.1132:                             ;   in Loop: Header=BB2_783 Depth=2
	v_bfe_u32 v45, v56, 23, 1
; %bb.1133:                             ;   in Loop: Header=BB2_783 Depth=2
	s_or_b32 exec_lo, exec_lo, s13
	v_lshrrev_b32_e32 v56, 20, v56
	v_min_i32_e32 v57, 15, v45
	v_cmp_gt_i32_e32 vcc_lo, 16, v45
	v_and_b32_sdwa v47, v47, v85 dst_sel:DWORD dst_unused:UNUSED_PAD src0_sel:BYTE_3 src1_sel:DWORD
	v_lshlrev_b32_e32 v57, 3, v57
	v_cndmask_b32_e32 v56, 7, v56, vcc_lo
	v_and_b32_e32 v57, 0xf8, v57
	v_and_b32_e32 v58, 7, v56
	v_or_b32_e32 v45, v45, v56
	v_or3_b32 v47, v47, v57, v58
	v_cmp_ne_u32_e32 vcc_lo, 0, v45
	v_lshlrev_b32_e32 v47, 8, v47
	v_cndmask_b32_e32 v45, 0, v47, vcc_lo
.LBB2_1134:                             ;   in Loop: Header=BB2_783 Depth=2
	s_or_b32 exec_lo, exec_lo, s41
.LBB2_1135:                             ;   in Loop: Header=BB2_783 Depth=2
	s_or_b32 exec_lo, exec_lo, s40
	v_or_b32_e32 v44, v44, v41
	s_mov_b32 s13, 0
	v_cmp_gt_i16_sdwa s40, v44, v84 src0_sel:BYTE_0 src1_sel:DWORD
	s_and_saveexec_b32 s41, s40
	s_xor_b32 s40, exec_lo, s41
	s_cbranch_execz .LBB2_1389
; %bb.1136:                             ;   in Loop: Header=BB2_783 Depth=2
	v_cmp_eq_u16_sdwa s42, v44, v85 src0_sel:BYTE_0 src1_sel:DWORD
	s_mov_b32 s13, -1
	s_and_saveexec_b32 s41, s42
; %bb.1137:                             ;   in Loop: Header=BB2_783 Depth=2
	s_xor_b32 s13, exec_lo, -1
; %bb.1138:                             ;   in Loop: Header=BB2_783 Depth=2
	s_or_b32 exec_lo, exec_lo, s41
	s_and_b32 s13, s13, exec_lo
	s_or_saveexec_b32 s40, s40
	v_mov_b32_e32 v41, 0x7f800001
	s_xor_b32 exec_lo, exec_lo, s40
	s_cbranch_execnz .LBB2_1390
.LBB2_1139:                             ;   in Loop: Header=BB2_783 Depth=2
	s_or_b32 exec_lo, exec_lo, s40
	v_lshl_or_b32 v44, v44, 16, v46
	s_and_saveexec_b32 s40, s13
	s_cbranch_execz .LBB2_1141
.LBB2_1140:                             ;   in Loop: Header=BB2_783 Depth=2
	v_bfe_u32 v41, v44, 16, 3
	v_bfe_u32 v56, v44, 19, 4
	v_lshlrev_b32_e32 v57, 8, v44
	v_ffbh_u32_e32 v46, v41
	v_cmp_eq_u32_e32 vcc_lo, 0, v56
	v_min_u32_e32 v46, 32, v46
	v_subrev_nc_u32_e32 v47, 28, v46
	v_sub_nc_u32_e32 v46, 29, v46
	v_lshlrev_b32_sdwa v47, v47, v44 dst_sel:DWORD dst_unused:UNUSED_PAD src0_sel:DWORD src1_sel:WORD_1
	v_cndmask_b32_e32 v46, v56, v46, vcc_lo
	v_and_b32_e32 v47, 7, v47
	v_lshl_add_u32 v46, v46, 23, 0x3b800000
	v_cndmask_b32_e32 v41, v41, v47, vcc_lo
	v_and_b32_e32 v47, 0x80000000, v57
	v_lshlrev_b32_e32 v41, 20, v41
	v_or3_b32 v41, v47, v46, v41
.LBB2_1141:                             ;   in Loop: Header=BB2_783 Depth=2
	s_or_b32 exec_lo, exec_lo, s40
	v_and_b32_sdwa v47, v11, v96 dst_sel:DWORD dst_unused:UNUSED_PAD src0_sel:WORD_1 src1_sel:DWORD
	s_mov_b32 s13, 0
	s_mov_b32 s40, exec_lo
	v_cmpx_lt_i16_e32 0x7f, v47
	s_xor_b32 s40, exec_lo, s40
	s_cbranch_execz .LBB2_1391
; %bb.1142:                             ;   in Loop: Header=BB2_783 Depth=2
	s_mov_b32 s13, -1
	s_mov_b32 s41, exec_lo
	v_cmpx_eq_u16_e32 0x80, v47
; %bb.1143:                             ;   in Loop: Header=BB2_783 Depth=2
	s_xor_b32 s13, exec_lo, -1
; %bb.1144:                             ;   in Loop: Header=BB2_783 Depth=2
	s_or_b32 exec_lo, exec_lo, s41
	s_and_b32 s13, s13, exec_lo
                                        ; implicit-def: $vgpr47
	s_or_saveexec_b32 s40, s40
	v_mov_b32_e32 v46, 0x7f800001
	s_xor_b32 exec_lo, exec_lo, s40
	s_cbranch_execnz .LBB2_1392
.LBB2_1145:                             ;   in Loop: Header=BB2_783 Depth=2
	s_or_b32 exec_lo, exec_lo, s40
	s_and_saveexec_b32 s40, s13
	s_cbranch_execz .LBB2_1147
.LBB2_1146:                             ;   in Loop: Header=BB2_783 Depth=2
	v_and_b32_sdwa v46, v11, v97 dst_sel:DWORD dst_unused:UNUSED_PAD src0_sel:WORD_1 src1_sel:DWORD
	v_bfe_u32 v57, v11, 19, 4
	v_lshlrev_b32_sdwa v58, v87, v11 dst_sel:DWORD dst_unused:UNUSED_PAD src0_sel:DWORD src1_sel:WORD_1
	v_ffbh_u32_e32 v47, v46
	v_cmp_eq_u32_e32 vcc_lo, 0, v57
	v_min_u32_e32 v47, 32, v47
	v_subrev_nc_u32_e32 v56, 28, v47
	v_sub_nc_u32_e32 v47, 29, v47
	v_lshlrev_b32_sdwa v56, v56, v11 dst_sel:DWORD dst_unused:UNUSED_PAD src0_sel:DWORD src1_sel:WORD_1
	v_cndmask_b32_e32 v47, v57, v47, vcc_lo
	v_and_b32_e32 v56, 7, v56
	v_lshl_add_u32 v47, v47, 23, 0x3b800000
	v_cndmask_b32_e32 v46, v46, v56, vcc_lo
	v_and_b32_e32 v56, 0x80000000, v58
	v_lshlrev_b32_e32 v46, 20, v46
	v_or3_b32 v46, v56, v47, v46
.LBB2_1147:                             ;   in Loop: Header=BB2_783 Depth=2
	s_or_b32 exec_lo, exec_lo, s40
	v_add_f32_e32 v46, v41, v46
	v_and_b32_e32 v41, 0x7f800000, v46
	v_cmp_ne_u32_e32 vcc_lo, 0x7f800000, v41
	v_mov_b32_e32 v41, 0x80
	s_and_saveexec_b32 s40, vcc_lo
	s_cbranch_execz .LBB2_1155
; %bb.1148:                             ;   in Loop: Header=BB2_783 Depth=2
	v_mov_b32_e32 v41, 0
	s_mov_b32 s41, exec_lo
	v_cmpx_ne_u32_e32 0, v46
	s_cbranch_execz .LBB2_1154
; %bb.1149:                             ;   in Loop: Header=BB2_783 Depth=2
	v_bfe_u32 v41, v46, 23, 8
	v_and_b32_e32 v47, 0x7fffff, v46
	v_sub_nc_u32_e32 v56, 0x78, v41
	v_cmp_gt_u32_e32 vcc_lo, 0x79, v41
	v_or_b32_e32 v57, 0x800000, v47
	v_cndmask_b32_e32 v56, 0, v56, vcc_lo
	v_cmp_eq_u32_e32 vcc_lo, 0, v41
	v_add_nc_u32_e32 v41, 0xffffff89, v41
	v_cndmask_b32_e64 v56, v56, 0x77, vcc_lo
	v_cndmask_b32_e32 v47, v57, v47, vcc_lo
	v_cndmask_b32_e64 v41, v41, 0xffffff8a, vcc_lo
	v_lshl_add_u32 v57, 0x100000, v56, -1
	v_lshrrev_b32_e32 v58, v56, v47
	v_lshlrev_b32_e64 v60, v56, 0x80000
	v_add_nc_u32_e32 v56, v56, v41
	v_and_b32_e32 v47, v57, v47
	v_bfe_u32 v59, v58, 20, 1
	v_cmp_eq_u32_e64 s13, v47, v60
	v_add_nc_u32_e32 v57, -1, v59
	v_cndmask_b32_e64 v47, 0, v57, s13
	v_lshrrev_b32_e32 v57, 23, v58
	s_mov_b32 s13, exec_lo
	v_add_nc_u32_e32 v47, v47, v58
	v_xor_b32_e32 v57, 1, v57
	v_and_b32_e32 v41, 0xfffff, v47
	v_add_nc_u32_e32 v47, v41, v58
                                        ; implicit-def: $vgpr41
	v_cmpx_ne_u32_e64 v56, v57
	s_xor_b32 s13, exec_lo, s13
; %bb.1150:                             ;   in Loop: Header=BB2_783 Depth=2
	v_cmp_lt_u32_e32 vcc_lo, 0xffffff, v47
	v_sub_nc_u32_e32 v41, v56, v57
	v_cndmask_b32_e64 v56, 0, 1, vcc_lo
	v_add_co_ci_u32_e64 v41, null, 0, v41, vcc_lo
	v_lshrrev_b32_e32 v47, v56, v47
; %bb.1151:                             ;   in Loop: Header=BB2_783 Depth=2
	s_andn2_saveexec_b32 s13, s13
; %bb.1152:                             ;   in Loop: Header=BB2_783 Depth=2
	v_bfe_u32 v41, v47, 23, 1
; %bb.1153:                             ;   in Loop: Header=BB2_783 Depth=2
	s_or_b32 exec_lo, exec_lo, s13
	v_lshrrev_b32_e32 v47, 20, v47
	v_min_i32_e32 v56, 15, v41
	v_cmp_gt_i32_e32 vcc_lo, 16, v41
	v_and_b32_sdwa v46, v46, v85 dst_sel:DWORD dst_unused:UNUSED_PAD src0_sel:BYTE_3 src1_sel:DWORD
	v_lshlrev_b32_e32 v56, 3, v56
	v_cndmask_b32_e32 v47, 7, v47, vcc_lo
	v_and_b32_e32 v56, 0xf8, v56
	v_and_b32_e32 v57, 7, v47
	v_or_b32_e32 v41, v41, v47
	v_or3_b32 v46, v56, v46, v57
	v_cmp_ne_u32_e32 vcc_lo, 0, v41
	v_cndmask_b32_e32 v41, 0, v46, vcc_lo
.LBB2_1154:                             ;   in Loop: Header=BB2_783 Depth=2
	s_or_b32 exec_lo, exec_lo, s41
.LBB2_1155:                             ;   in Loop: Header=BB2_783 Depth=2
	s_or_b32 exec_lo, exec_lo, s40
	v_cmp_gt_i16_sdwa s40, v44, v84 src0_sel:BYTE_3 src1_sel:DWORD
	s_mov_b32 s13, 0
	s_and_saveexec_b32 s41, s40
	s_xor_b32 s40, exec_lo, s41
	s_cbranch_execz .LBB2_1393
; %bb.1156:                             ;   in Loop: Header=BB2_783 Depth=2
	v_cmp_eq_u16_sdwa s42, v44, v85 src0_sel:BYTE_3 src1_sel:DWORD
	s_mov_b32 s13, -1
	s_and_saveexec_b32 s41, s42
; %bb.1157:                             ;   in Loop: Header=BB2_783 Depth=2
	s_xor_b32 s13, exec_lo, -1
; %bb.1158:                             ;   in Loop: Header=BB2_783 Depth=2
	s_or_b32 exec_lo, exec_lo, s41
	s_and_b32 s13, s13, exec_lo
	s_or_saveexec_b32 s40, s40
	v_mov_b32_e32 v46, 0x7f800001
	s_xor_b32 exec_lo, exec_lo, s40
	s_cbranch_execnz .LBB2_1394
.LBB2_1159:                             ;   in Loop: Header=BB2_783 Depth=2
	s_or_b32 exec_lo, exec_lo, s40
	s_and_saveexec_b32 s40, s13
	s_cbranch_execz .LBB2_1161
.LBB2_1160:                             ;   in Loop: Header=BB2_783 Depth=2
	v_bfe_u32 v46, v44, 24, 3
	v_bfe_u32 v57, v44, 27, 4
	v_ffbh_u32_e32 v47, v46
	v_cmp_eq_u32_e32 vcc_lo, 0, v57
	v_min_u32_e32 v47, 32, v47
	v_subrev_nc_u32_e32 v56, 28, v47
	v_sub_nc_u32_e32 v47, 29, v47
	v_lshlrev_b32_sdwa v56, v56, v44 dst_sel:DWORD dst_unused:UNUSED_PAD src0_sel:DWORD src1_sel:BYTE_3
	v_cndmask_b32_e32 v47, v57, v47, vcc_lo
	v_and_b32_e32 v44, 0x80000000, v44
	v_and_b32_e32 v56, 7, v56
	v_lshl_add_u32 v47, v47, 23, 0x3b800000
	v_cndmask_b32_e32 v46, v46, v56, vcc_lo
	v_lshlrev_b32_e32 v46, 20, v46
	v_or3_b32 v46, v44, v47, v46
.LBB2_1161:                             ;   in Loop: Header=BB2_783 Depth=2
	s_or_b32 exec_lo, exec_lo, s40
	v_cmp_gt_i16_sdwa s40, v11, v84 src0_sel:BYTE_3 src1_sel:DWORD
	s_mov_b32 s13, 0
	s_and_saveexec_b32 s41, s40
	s_xor_b32 s40, exec_lo, s41
	s_cbranch_execz .LBB2_1395
; %bb.1162:                             ;   in Loop: Header=BB2_783 Depth=2
	v_cmp_eq_u16_sdwa s42, v11, v85 src0_sel:BYTE_3 src1_sel:DWORD
	s_mov_b32 s13, -1
	s_and_saveexec_b32 s41, s42
; %bb.1163:                             ;   in Loop: Header=BB2_783 Depth=2
	s_xor_b32 s13, exec_lo, -1
; %bb.1164:                             ;   in Loop: Header=BB2_783 Depth=2
	s_or_b32 exec_lo, exec_lo, s41
	s_and_b32 s13, s13, exec_lo
	s_or_saveexec_b32 s40, s40
	v_mov_b32_e32 v44, 0x7f800001
	s_xor_b32 exec_lo, exec_lo, s40
	s_cbranch_execnz .LBB2_1396
.LBB2_1165:                             ;   in Loop: Header=BB2_783 Depth=2
	s_or_b32 exec_lo, exec_lo, s40
	s_and_saveexec_b32 s40, s13
	s_cbranch_execz .LBB2_1167
.LBB2_1166:                             ;   in Loop: Header=BB2_783 Depth=2
	v_and_b32_sdwa v44, v11, v97 dst_sel:DWORD dst_unused:UNUSED_PAD src0_sel:BYTE_3 src1_sel:DWORD
	v_bfe_u32 v57, v11, 27, 4
	v_ffbh_u32_e32 v47, v44
	v_cmp_eq_u32_e32 vcc_lo, 0, v57
	v_min_u32_e32 v47, 32, v47
	v_subrev_nc_u32_e32 v56, 28, v47
	v_sub_nc_u32_e32 v47, 29, v47
	v_lshlrev_b32_sdwa v56, v56, v11 dst_sel:DWORD dst_unused:UNUSED_PAD src0_sel:DWORD src1_sel:BYTE_3
	v_cndmask_b32_e32 v47, v57, v47, vcc_lo
	v_and_b32_e32 v11, 0x80000000, v11
	v_and_b32_e32 v56, 7, v56
	v_lshl_add_u32 v47, v47, 23, 0x3b800000
	v_cndmask_b32_e32 v44, v44, v56, vcc_lo
	v_lshlrev_b32_e32 v44, 20, v44
	v_or3_b32 v44, v11, v47, v44
.LBB2_1167:                             ;   in Loop: Header=BB2_783 Depth=2
	s_or_b32 exec_lo, exec_lo, s40
	v_add_f32_e32 v44, v46, v44
	v_and_b32_e32 v11, 0x7f800000, v44
	v_cmp_ne_u32_e32 vcc_lo, 0x7f800000, v11
	v_mov_b32_e32 v11, 0x8000
	s_and_saveexec_b32 s40, vcc_lo
	s_cbranch_execz .LBB2_1175
; %bb.1168:                             ;   in Loop: Header=BB2_783 Depth=2
	v_mov_b32_e32 v11, 0
	s_mov_b32 s41, exec_lo
	v_cmpx_ne_u32_e32 0, v44
	s_cbranch_execz .LBB2_1174
; %bb.1169:                             ;   in Loop: Header=BB2_783 Depth=2
	v_bfe_u32 v11, v44, 23, 8
	v_and_b32_e32 v46, 0x7fffff, v44
	v_sub_nc_u32_e32 v47, 0x78, v11
	v_cmp_gt_u32_e32 vcc_lo, 0x79, v11
	v_or_b32_e32 v56, 0x800000, v46
	v_cndmask_b32_e32 v47, 0, v47, vcc_lo
	v_cmp_eq_u32_e32 vcc_lo, 0, v11
	v_add_nc_u32_e32 v11, 0xffffff89, v11
	v_cndmask_b32_e64 v47, v47, 0x77, vcc_lo
	v_cndmask_b32_e32 v46, v56, v46, vcc_lo
	v_cndmask_b32_e64 v11, v11, 0xffffff8a, vcc_lo
	v_lshl_add_u32 v56, 0x100000, v47, -1
	v_lshrrev_b32_e32 v57, v47, v46
	v_lshlrev_b32_e64 v59, v47, 0x80000
	v_add_nc_u32_e32 v47, v47, v11
	v_and_b32_e32 v46, v56, v46
	v_bfe_u32 v58, v57, 20, 1
	v_cmp_eq_u32_e64 s13, v46, v59
	v_add_nc_u32_e32 v56, -1, v58
	v_cndmask_b32_e64 v46, 0, v56, s13
	v_lshrrev_b32_e32 v56, 23, v57
	s_mov_b32 s13, exec_lo
	v_add_nc_u32_e32 v46, v46, v57
	v_xor_b32_e32 v56, 1, v56
	v_and_b32_e32 v11, 0xfffff, v46
	v_add_nc_u32_e32 v46, v11, v57
                                        ; implicit-def: $vgpr11
	v_cmpx_ne_u32_e64 v47, v56
	s_xor_b32 s13, exec_lo, s13
; %bb.1170:                             ;   in Loop: Header=BB2_783 Depth=2
	v_cmp_lt_u32_e32 vcc_lo, 0xffffff, v46
	v_sub_nc_u32_e32 v11, v47, v56
	v_cndmask_b32_e64 v47, 0, 1, vcc_lo
	v_add_co_ci_u32_e64 v11, null, 0, v11, vcc_lo
	v_lshrrev_b32_e32 v46, v47, v46
; %bb.1171:                             ;   in Loop: Header=BB2_783 Depth=2
	s_andn2_saveexec_b32 s13, s13
; %bb.1172:                             ;   in Loop: Header=BB2_783 Depth=2
	v_bfe_u32 v11, v46, 23, 1
; %bb.1173:                             ;   in Loop: Header=BB2_783 Depth=2
	s_or_b32 exec_lo, exec_lo, s13
	v_lshrrev_b32_e32 v46, 20, v46
	v_min_i32_e32 v47, 15, v11
	v_cmp_gt_i32_e32 vcc_lo, 16, v11
	v_and_b32_sdwa v44, v44, v85 dst_sel:DWORD dst_unused:UNUSED_PAD src0_sel:BYTE_3 src1_sel:DWORD
	v_lshlrev_b32_e32 v47, 3, v47
	v_cndmask_b32_e32 v46, 7, v46, vcc_lo
	v_and_b32_e32 v47, 0xf8, v47
	v_and_b32_e32 v56, 7, v46
	v_or_b32_e32 v11, v11, v46
	v_or3_b32 v44, v44, v47, v56
	v_cmp_ne_u32_e32 vcc_lo, 0, v11
	v_lshlrev_b32_e32 v44, 8, v44
	v_cndmask_b32_e32 v11, 0, v44, vcc_lo
.LBB2_1174:                             ;   in Loop: Header=BB2_783 Depth=2
	s_or_b32 exec_lo, exec_lo, s41
.LBB2_1175:                             ;   in Loop: Header=BB2_783 Depth=2
	s_or_b32 exec_lo, exec_lo, s40
	v_or_b32_e32 v44, v42, v118
	s_mov_b32 s13, 0
	v_cmp_gt_i16_sdwa s40, v44, v84 src0_sel:BYTE_0 src1_sel:DWORD
	s_and_saveexec_b32 s41, s40
	s_xor_b32 s40, exec_lo, s41
	s_cbranch_execz .LBB2_1397
; %bb.1176:                             ;   in Loop: Header=BB2_783 Depth=2
	v_cmp_eq_u16_sdwa s42, v44, v85 src0_sel:BYTE_0 src1_sel:DWORD
	s_mov_b32 s13, -1
	s_and_saveexec_b32 s41, s42
; %bb.1177:                             ;   in Loop: Header=BB2_783 Depth=2
	s_xor_b32 s13, exec_lo, -1
; %bb.1178:                             ;   in Loop: Header=BB2_783 Depth=2
	s_or_b32 exec_lo, exec_lo, s41
	s_and_b32 s13, s13, exec_lo
	s_or_saveexec_b32 s40, s40
	v_mov_b32_e32 v118, 0x7f800001
	s_xor_b32 exec_lo, exec_lo, s40
	s_cbranch_execnz .LBB2_1398
.LBB2_1179:                             ;   in Loop: Header=BB2_783 Depth=2
	s_or_b32 exec_lo, exec_lo, s40
	s_and_saveexec_b32 s40, s13
	s_cbranch_execz .LBB2_1181
.LBB2_1180:                             ;   in Loop: Header=BB2_783 Depth=2
	v_and_b32_e32 v118, 7, v44
	v_bfe_u32 v47, v44, 3, 4
	v_lshlrev_b32_e32 v56, 24, v44
	v_ffbh_u32_e32 v42, v118
	v_cmp_eq_u32_e32 vcc_lo, 0, v47
	v_min_u32_e32 v42, 32, v42
	v_subrev_nc_u32_e32 v46, 28, v42
	v_sub_nc_u32_e32 v42, 29, v42
	v_lshlrev_b32_e32 v46, v46, v44
	v_cndmask_b32_e32 v42, v47, v42, vcc_lo
	v_and_b32_e32 v46, 7, v46
	v_lshl_add_u32 v42, v42, 23, 0x3b800000
	v_cndmask_b32_e32 v118, v118, v46, vcc_lo
	v_and_b32_e32 v46, 0x80000000, v56
	v_lshlrev_b32_e32 v118, 20, v118
	v_or3_b32 v118, v46, v42, v118
.LBB2_1181:                             ;   in Loop: Header=BB2_783 Depth=2
	s_or_b32 exec_lo, exec_lo, s40
	v_cmp_gt_i16_sdwa s40, v12, v84 src0_sel:BYTE_0 src1_sel:DWORD
	s_mov_b32 s13, 0
	s_and_saveexec_b32 s41, s40
	s_xor_b32 s40, exec_lo, s41
	s_cbranch_execz .LBB2_1399
; %bb.1182:                             ;   in Loop: Header=BB2_783 Depth=2
	v_cmp_eq_u16_sdwa s42, v12, v85 src0_sel:BYTE_0 src1_sel:DWORD
	s_mov_b32 s13, -1
	s_and_saveexec_b32 s41, s42
; %bb.1183:                             ;   in Loop: Header=BB2_783 Depth=2
	s_xor_b32 s13, exec_lo, -1
; %bb.1184:                             ;   in Loop: Header=BB2_783 Depth=2
	s_or_b32 exec_lo, exec_lo, s41
	s_and_b32 s13, s13, exec_lo
	s_or_saveexec_b32 s40, s40
	v_mov_b32_e32 v42, 0x7f800001
	s_xor_b32 exec_lo, exec_lo, s40
	s_cbranch_execnz .LBB2_1400
.LBB2_1185:                             ;   in Loop: Header=BB2_783 Depth=2
	s_or_b32 exec_lo, exec_lo, s40
	s_and_saveexec_b32 s40, s13
	s_cbranch_execz .LBB2_1187
.LBB2_1186:                             ;   in Loop: Header=BB2_783 Depth=2
	v_and_b32_e32 v42, 7, v12
	v_bfe_u32 v56, v12, 3, 4
	v_lshlrev_b32_e32 v57, 24, v12
	v_ffbh_u32_e32 v46, v42
	v_cmp_eq_u32_e32 vcc_lo, 0, v56
	v_min_u32_e32 v46, 32, v46
	v_subrev_nc_u32_e32 v47, 28, v46
	v_sub_nc_u32_e32 v46, 29, v46
	v_lshlrev_b32_e32 v47, v47, v12
	v_cndmask_b32_e32 v46, v56, v46, vcc_lo
	v_and_b32_e32 v47, 7, v47
	v_lshl_add_u32 v46, v46, 23, 0x3b800000
	v_cndmask_b32_e32 v42, v42, v47, vcc_lo
	v_and_b32_e32 v47, 0x80000000, v57
	v_lshlrev_b32_e32 v42, 20, v42
	v_or3_b32 v42, v47, v46, v42
.LBB2_1187:                             ;   in Loop: Header=BB2_783 Depth=2
	s_or_b32 exec_lo, exec_lo, s40
	v_add_f32_e32 v42, v118, v42
	v_and_b32_e32 v118, 0x7f800000, v42
	v_cmp_ne_u32_e32 vcc_lo, 0x7f800000, v118
	v_mov_b32_e32 v118, 0x80
	s_and_saveexec_b32 s40, vcc_lo
	s_cbranch_execz .LBB2_1195
; %bb.1188:                             ;   in Loop: Header=BB2_783 Depth=2
	v_mov_b32_e32 v118, 0
	s_mov_b32 s41, exec_lo
	v_cmpx_ne_u32_e32 0, v42
	s_cbranch_execz .LBB2_1194
; %bb.1189:                             ;   in Loop: Header=BB2_783 Depth=2
	v_bfe_u32 v118, v42, 23, 8
	v_and_b32_e32 v46, 0x7fffff, v42
	v_sub_nc_u32_e32 v47, 0x78, v118
	v_cmp_gt_u32_e32 vcc_lo, 0x79, v118
	v_or_b32_e32 v56, 0x800000, v46
	v_cndmask_b32_e32 v47, 0, v47, vcc_lo
	v_cmp_eq_u32_e32 vcc_lo, 0, v118
	v_add_nc_u32_e32 v118, 0xffffff89, v118
	v_cndmask_b32_e64 v47, v47, 0x77, vcc_lo
	v_cndmask_b32_e32 v46, v56, v46, vcc_lo
	v_cndmask_b32_e64 v118, v118, 0xffffff8a, vcc_lo
	v_lshl_add_u32 v56, 0x100000, v47, -1
	v_lshrrev_b32_e32 v57, v47, v46
	v_lshlrev_b32_e64 v59, v47, 0x80000
	v_add_nc_u32_e32 v47, v47, v118
	v_and_b32_e32 v46, v56, v46
	v_bfe_u32 v58, v57, 20, 1
	v_cmp_eq_u32_e64 s13, v46, v59
	v_add_nc_u32_e32 v56, -1, v58
	v_cndmask_b32_e64 v46, 0, v56, s13
	v_lshrrev_b32_e32 v56, 23, v57
	s_mov_b32 s13, exec_lo
	v_add_nc_u32_e32 v46, v46, v57
	v_xor_b32_e32 v56, 1, v56
	v_and_b32_e32 v118, 0xfffff, v46
	v_add_nc_u32_e32 v46, v118, v57
                                        ; implicit-def: $vgpr118
	v_cmpx_ne_u32_e64 v47, v56
	s_xor_b32 s13, exec_lo, s13
; %bb.1190:                             ;   in Loop: Header=BB2_783 Depth=2
	v_cmp_lt_u32_e32 vcc_lo, 0xffffff, v46
	v_sub_nc_u32_e32 v118, v47, v56
	v_cndmask_b32_e64 v47, 0, 1, vcc_lo
	v_add_co_ci_u32_e64 v118, null, 0, v118, vcc_lo
	v_lshrrev_b32_e32 v46, v47, v46
; %bb.1191:                             ;   in Loop: Header=BB2_783 Depth=2
	s_andn2_saveexec_b32 s13, s13
; %bb.1192:                             ;   in Loop: Header=BB2_783 Depth=2
	v_bfe_u32 v118, v46, 23, 1
; %bb.1193:                             ;   in Loop: Header=BB2_783 Depth=2
	s_or_b32 exec_lo, exec_lo, s13
	v_lshrrev_b32_e32 v46, 20, v46
	v_min_i32_e32 v47, 15, v118
	v_cmp_gt_i32_e32 vcc_lo, 16, v118
	v_and_b32_sdwa v42, v42, v85 dst_sel:DWORD dst_unused:UNUSED_PAD src0_sel:BYTE_3 src1_sel:DWORD
	v_lshlrev_b32_e32 v47, 3, v47
	v_cndmask_b32_e32 v46, 7, v46, vcc_lo
	v_and_b32_e32 v47, 0xf8, v47
	v_and_b32_e32 v56, 7, v46
	v_or_b32_e32 v118, v118, v46
	v_or3_b32 v42, v47, v42, v56
	v_cmp_ne_u32_e32 vcc_lo, 0, v118
	v_cndmask_b32_e32 v118, 0, v42, vcc_lo
.LBB2_1194:                             ;   in Loop: Header=BB2_783 Depth=2
	s_or_b32 exec_lo, exec_lo, s41
.LBB2_1195:                             ;   in Loop: Header=BB2_783 Depth=2
	s_or_b32 exec_lo, exec_lo, s40
	v_cmp_gt_i16_sdwa s40, v44, v84 src0_sel:BYTE_1 src1_sel:DWORD
	s_mov_b32 s13, 0
	s_and_saveexec_b32 s41, s40
	s_xor_b32 s40, exec_lo, s41
	s_cbranch_execz .LBB2_1401
; %bb.1196:                             ;   in Loop: Header=BB2_783 Depth=2
	v_cmp_eq_u16_sdwa s42, v44, v85 src0_sel:BYTE_1 src1_sel:DWORD
	s_mov_b32 s13, -1
	s_and_saveexec_b32 s41, s42
; %bb.1197:                             ;   in Loop: Header=BB2_783 Depth=2
	s_xor_b32 s13, exec_lo, -1
; %bb.1198:                             ;   in Loop: Header=BB2_783 Depth=2
	s_or_b32 exec_lo, exec_lo, s41
	s_and_b32 s13, s13, exec_lo
	s_or_saveexec_b32 s40, s40
	v_mov_b32_e32 v42, 0x7f800001
	s_xor_b32 exec_lo, exec_lo, s40
	s_cbranch_execnz .LBB2_1402
.LBB2_1199:                             ;   in Loop: Header=BB2_783 Depth=2
	s_or_b32 exec_lo, exec_lo, s40
	s_and_saveexec_b32 s40, s13
	s_cbranch_execz .LBB2_1201
.LBB2_1200:                             ;   in Loop: Header=BB2_783 Depth=2
	v_and_b32_sdwa v42, v86, v44 dst_sel:DWORD dst_unused:UNUSED_PAD src0_sel:DWORD src1_sel:BYTE_1
	v_and_b32_e32 v46, 7, v42
	v_bfe_u32 v57, v42, 3, 4
	v_ffbh_u32_e32 v47, v46
	v_cmp_eq_u32_e32 vcc_lo, 0, v57
	v_min_u32_e32 v47, 32, v47
	v_subrev_nc_u32_e32 v56, 28, v47
	v_sub_nc_u32_e32 v47, 29, v47
	v_lshlrev_b32_e32 v42, v56, v42
	v_lshlrev_b32_sdwa v56, v87, v44 dst_sel:DWORD dst_unused:UNUSED_PAD src0_sel:DWORD src1_sel:BYTE_1
	v_cndmask_b32_e32 v47, v57, v47, vcc_lo
	v_and_b32_e32 v42, 7, v42
	v_lshl_add_u32 v47, v47, 23, 0x3b800000
	v_cndmask_b32_e32 v42, v46, v42, vcc_lo
	v_and_b32_e32 v46, 0x80000000, v56
	v_lshlrev_b32_e32 v42, 20, v42
	v_or3_b32 v42, v46, v47, v42
.LBB2_1201:                             ;   in Loop: Header=BB2_783 Depth=2
	s_or_b32 exec_lo, exec_lo, s40
	v_cmp_gt_i16_sdwa s40, v12, v84 src0_sel:BYTE_1 src1_sel:DWORD
	s_mov_b32 s13, 0
	s_and_saveexec_b32 s41, s40
	s_xor_b32 s40, exec_lo, s41
	s_cbranch_execz .LBB2_1403
; %bb.1202:                             ;   in Loop: Header=BB2_783 Depth=2
	v_cmp_eq_u16_sdwa s42, v12, v85 src0_sel:BYTE_1 src1_sel:DWORD
	s_mov_b32 s13, -1
	s_and_saveexec_b32 s41, s42
; %bb.1203:                             ;   in Loop: Header=BB2_783 Depth=2
	s_xor_b32 s13, exec_lo, -1
; %bb.1204:                             ;   in Loop: Header=BB2_783 Depth=2
	s_or_b32 exec_lo, exec_lo, s41
	s_and_b32 s13, s13, exec_lo
	s_or_saveexec_b32 s40, s40
	v_mov_b32_e32 v46, 0x7f800001
	s_xor_b32 exec_lo, exec_lo, s40
	s_cbranch_execnz .LBB2_1404
.LBB2_1205:                             ;   in Loop: Header=BB2_783 Depth=2
	s_or_b32 exec_lo, exec_lo, s40
	s_and_saveexec_b32 s40, s13
	s_cbranch_execz .LBB2_1207
.LBB2_1206:                             ;   in Loop: Header=BB2_783 Depth=2
	v_and_b32_sdwa v46, v86, v12 dst_sel:DWORD dst_unused:UNUSED_PAD src0_sel:DWORD src1_sel:BYTE_1
	v_and_b32_e32 v47, 7, v46
	v_bfe_u32 v58, v46, 3, 4
	v_ffbh_u32_e32 v56, v47
	v_cmp_eq_u32_e32 vcc_lo, 0, v58
	v_min_u32_e32 v56, 32, v56
	v_subrev_nc_u32_e32 v57, 28, v56
	v_sub_nc_u32_e32 v56, 29, v56
	v_lshlrev_b32_e32 v46, v57, v46
	v_lshlrev_b32_sdwa v57, v87, v12 dst_sel:DWORD dst_unused:UNUSED_PAD src0_sel:DWORD src1_sel:BYTE_1
	v_cndmask_b32_e32 v56, v58, v56, vcc_lo
	v_and_b32_e32 v46, 7, v46
	v_lshl_add_u32 v56, v56, 23, 0x3b800000
	v_cndmask_b32_e32 v46, v47, v46, vcc_lo
	v_and_b32_e32 v47, 0x80000000, v57
	v_lshlrev_b32_e32 v46, 20, v46
	v_or3_b32 v46, v47, v56, v46
.LBB2_1207:                             ;   in Loop: Header=BB2_783 Depth=2
	s_or_b32 exec_lo, exec_lo, s40
	v_add_f32_e32 v46, v42, v46
	v_and_b32_e32 v42, 0x7f800000, v46
	v_cmp_ne_u32_e32 vcc_lo, 0x7f800000, v42
	v_mov_b32_e32 v42, 0x8000
	s_and_saveexec_b32 s40, vcc_lo
	s_cbranch_execz .LBB2_1215
; %bb.1208:                             ;   in Loop: Header=BB2_783 Depth=2
	v_mov_b32_e32 v42, 0
	s_mov_b32 s41, exec_lo
	v_cmpx_ne_u32_e32 0, v46
	s_cbranch_execz .LBB2_1214
; %bb.1209:                             ;   in Loop: Header=BB2_783 Depth=2
	v_bfe_u32 v42, v46, 23, 8
	v_and_b32_e32 v47, 0x7fffff, v46
	v_sub_nc_u32_e32 v56, 0x78, v42
	v_cmp_gt_u32_e32 vcc_lo, 0x79, v42
	v_or_b32_e32 v57, 0x800000, v47
	v_cndmask_b32_e32 v56, 0, v56, vcc_lo
	v_cmp_eq_u32_e32 vcc_lo, 0, v42
	v_add_nc_u32_e32 v42, 0xffffff89, v42
	v_cndmask_b32_e64 v56, v56, 0x77, vcc_lo
	v_cndmask_b32_e32 v47, v57, v47, vcc_lo
	v_cndmask_b32_e64 v42, v42, 0xffffff8a, vcc_lo
	v_lshl_add_u32 v57, 0x100000, v56, -1
	v_lshrrev_b32_e32 v58, v56, v47
	v_lshlrev_b32_e64 v60, v56, 0x80000
	v_add_nc_u32_e32 v56, v56, v42
	v_and_b32_e32 v47, v57, v47
	v_bfe_u32 v59, v58, 20, 1
	v_cmp_eq_u32_e64 s13, v47, v60
	v_add_nc_u32_e32 v57, -1, v59
	v_cndmask_b32_e64 v47, 0, v57, s13
	v_lshrrev_b32_e32 v57, 23, v58
	s_mov_b32 s13, exec_lo
	v_add_nc_u32_e32 v47, v47, v58
	v_xor_b32_e32 v57, 1, v57
	v_and_b32_e32 v42, 0xfffff, v47
	v_add_nc_u32_e32 v47, v42, v58
                                        ; implicit-def: $vgpr42
	v_cmpx_ne_u32_e64 v56, v57
	s_xor_b32 s13, exec_lo, s13
; %bb.1210:                             ;   in Loop: Header=BB2_783 Depth=2
	v_cmp_lt_u32_e32 vcc_lo, 0xffffff, v47
	v_sub_nc_u32_e32 v42, v56, v57
	v_cndmask_b32_e64 v56, 0, 1, vcc_lo
	v_add_co_ci_u32_e64 v42, null, 0, v42, vcc_lo
	v_lshrrev_b32_e32 v47, v56, v47
; %bb.1211:                             ;   in Loop: Header=BB2_783 Depth=2
	s_andn2_saveexec_b32 s13, s13
; %bb.1212:                             ;   in Loop: Header=BB2_783 Depth=2
	v_bfe_u32 v42, v47, 23, 1
; %bb.1213:                             ;   in Loop: Header=BB2_783 Depth=2
	s_or_b32 exec_lo, exec_lo, s13
	v_lshrrev_b32_e32 v47, 20, v47
	v_min_i32_e32 v56, 15, v42
	v_cmp_gt_i32_e32 vcc_lo, 16, v42
	v_and_b32_sdwa v46, v46, v85 dst_sel:DWORD dst_unused:UNUSED_PAD src0_sel:BYTE_3 src1_sel:DWORD
	v_lshlrev_b32_e32 v56, 3, v56
	v_cndmask_b32_e32 v47, 7, v47, vcc_lo
	v_and_b32_e32 v56, 0xf8, v56
	v_and_b32_e32 v57, 7, v47
	v_or_b32_e32 v42, v42, v47
	v_or3_b32 v46, v46, v56, v57
	v_cmp_ne_u32_e32 vcc_lo, 0, v42
	v_lshlrev_b32_e32 v46, 8, v46
	v_cndmask_b32_e32 v42, 0, v46, vcc_lo
.LBB2_1214:                             ;   in Loop: Header=BB2_783 Depth=2
	s_or_b32 exec_lo, exec_lo, s41
.LBB2_1215:                             ;   in Loop: Header=BB2_783 Depth=2
	s_or_b32 exec_lo, exec_lo, s40
	v_or_b32_e32 v40, v40, v116
	s_mov_b32 s13, 0
	v_cmp_gt_i16_sdwa s40, v40, v84 src0_sel:BYTE_0 src1_sel:DWORD
	s_and_saveexec_b32 s41, s40
	s_xor_b32 s40, exec_lo, s41
	s_cbranch_execz .LBB2_1405
; %bb.1216:                             ;   in Loop: Header=BB2_783 Depth=2
	v_cmp_eq_u16_sdwa s42, v40, v85 src0_sel:BYTE_0 src1_sel:DWORD
	s_mov_b32 s13, -1
	s_and_saveexec_b32 s41, s42
; %bb.1217:                             ;   in Loop: Header=BB2_783 Depth=2
	s_xor_b32 s13, exec_lo, -1
; %bb.1218:                             ;   in Loop: Header=BB2_783 Depth=2
	s_or_b32 exec_lo, exec_lo, s41
	s_and_b32 s13, s13, exec_lo
	s_or_saveexec_b32 s40, s40
	v_mov_b32_e32 v116, 0x7f800001
	s_xor_b32 exec_lo, exec_lo, s40
	s_cbranch_execnz .LBB2_1406
.LBB2_1219:                             ;   in Loop: Header=BB2_783 Depth=2
	s_or_b32 exec_lo, exec_lo, s40
	v_lshl_or_b32 v40, v40, 16, v44
	s_and_saveexec_b32 s40, s13
	s_cbranch_execz .LBB2_1221
.LBB2_1220:                             ;   in Loop: Header=BB2_783 Depth=2
	v_bfe_u32 v116, v40, 16, 3
	v_bfe_u32 v47, v40, 19, 4
	v_lshlrev_b32_e32 v56, 8, v40
	v_ffbh_u32_e32 v44, v116
	v_cmp_eq_u32_e32 vcc_lo, 0, v47
	v_min_u32_e32 v44, 32, v44
	v_subrev_nc_u32_e32 v46, 28, v44
	v_sub_nc_u32_e32 v44, 29, v44
	v_lshlrev_b32_sdwa v46, v46, v40 dst_sel:DWORD dst_unused:UNUSED_PAD src0_sel:DWORD src1_sel:WORD_1
	v_cndmask_b32_e32 v44, v47, v44, vcc_lo
	v_and_b32_e32 v46, 7, v46
	v_lshl_add_u32 v44, v44, 23, 0x3b800000
	v_cndmask_b32_e32 v116, v116, v46, vcc_lo
	v_and_b32_e32 v46, 0x80000000, v56
	v_lshlrev_b32_e32 v116, 20, v116
	v_or3_b32 v116, v46, v44, v116
.LBB2_1221:                             ;   in Loop: Header=BB2_783 Depth=2
	s_or_b32 exec_lo, exec_lo, s40
	v_and_b32_sdwa v46, v12, v96 dst_sel:DWORD dst_unused:UNUSED_PAD src0_sel:WORD_1 src1_sel:DWORD
	s_mov_b32 s13, 0
	s_mov_b32 s40, exec_lo
	v_cmpx_lt_i16_e32 0x7f, v46
	s_xor_b32 s40, exec_lo, s40
	s_cbranch_execz .LBB2_1407
; %bb.1222:                             ;   in Loop: Header=BB2_783 Depth=2
	s_mov_b32 s13, -1
	s_mov_b32 s41, exec_lo
	v_cmpx_eq_u16_e32 0x80, v46
; %bb.1223:                             ;   in Loop: Header=BB2_783 Depth=2
	s_xor_b32 s13, exec_lo, -1
; %bb.1224:                             ;   in Loop: Header=BB2_783 Depth=2
	s_or_b32 exec_lo, exec_lo, s41
	s_and_b32 s13, s13, exec_lo
                                        ; implicit-def: $vgpr46
	s_or_saveexec_b32 s40, s40
	v_mov_b32_e32 v44, 0x7f800001
	s_xor_b32 exec_lo, exec_lo, s40
	s_cbranch_execnz .LBB2_1408
.LBB2_1225:                             ;   in Loop: Header=BB2_783 Depth=2
	s_or_b32 exec_lo, exec_lo, s40
	s_and_saveexec_b32 s40, s13
	s_cbranch_execz .LBB2_1227
.LBB2_1226:                             ;   in Loop: Header=BB2_783 Depth=2
	v_and_b32_sdwa v44, v12, v97 dst_sel:DWORD dst_unused:UNUSED_PAD src0_sel:WORD_1 src1_sel:DWORD
	v_bfe_u32 v56, v12, 19, 4
	v_lshlrev_b32_sdwa v57, v87, v12 dst_sel:DWORD dst_unused:UNUSED_PAD src0_sel:DWORD src1_sel:WORD_1
	v_ffbh_u32_e32 v46, v44
	v_cmp_eq_u32_e32 vcc_lo, 0, v56
	v_min_u32_e32 v46, 32, v46
	v_subrev_nc_u32_e32 v47, 28, v46
	v_sub_nc_u32_e32 v46, 29, v46
	v_lshlrev_b32_sdwa v47, v47, v12 dst_sel:DWORD dst_unused:UNUSED_PAD src0_sel:DWORD src1_sel:WORD_1
	v_cndmask_b32_e32 v46, v56, v46, vcc_lo
	v_and_b32_e32 v47, 7, v47
	v_lshl_add_u32 v46, v46, 23, 0x3b800000
	v_cndmask_b32_e32 v44, v44, v47, vcc_lo
	v_and_b32_e32 v47, 0x80000000, v57
	v_lshlrev_b32_e32 v44, 20, v44
	v_or3_b32 v44, v47, v46, v44
.LBB2_1227:                             ;   in Loop: Header=BB2_783 Depth=2
	s_or_b32 exec_lo, exec_lo, s40
	v_add_f32_e32 v44, v116, v44
	v_and_b32_e32 v116, 0x7f800000, v44
	v_cmp_ne_u32_e32 vcc_lo, 0x7f800000, v116
	v_mov_b32_e32 v116, 0x80
	s_and_saveexec_b32 s40, vcc_lo
	s_cbranch_execz .LBB2_1235
; %bb.1228:                             ;   in Loop: Header=BB2_783 Depth=2
	v_mov_b32_e32 v116, 0
	s_mov_b32 s41, exec_lo
	v_cmpx_ne_u32_e32 0, v44
	s_cbranch_execz .LBB2_1234
; %bb.1229:                             ;   in Loop: Header=BB2_783 Depth=2
	v_bfe_u32 v116, v44, 23, 8
	v_and_b32_e32 v46, 0x7fffff, v44
	v_sub_nc_u32_e32 v47, 0x78, v116
	v_cmp_gt_u32_e32 vcc_lo, 0x79, v116
	v_or_b32_e32 v56, 0x800000, v46
	v_cndmask_b32_e32 v47, 0, v47, vcc_lo
	v_cmp_eq_u32_e32 vcc_lo, 0, v116
	v_add_nc_u32_e32 v116, 0xffffff89, v116
	v_cndmask_b32_e64 v47, v47, 0x77, vcc_lo
	v_cndmask_b32_e32 v46, v56, v46, vcc_lo
	v_cndmask_b32_e64 v116, v116, 0xffffff8a, vcc_lo
	v_lshl_add_u32 v56, 0x100000, v47, -1
	v_lshrrev_b32_e32 v57, v47, v46
	v_lshlrev_b32_e64 v59, v47, 0x80000
	v_add_nc_u32_e32 v47, v47, v116
	v_and_b32_e32 v46, v56, v46
	v_bfe_u32 v58, v57, 20, 1
	v_cmp_eq_u32_e64 s13, v46, v59
	v_add_nc_u32_e32 v56, -1, v58
	v_cndmask_b32_e64 v46, 0, v56, s13
	v_lshrrev_b32_e32 v56, 23, v57
	s_mov_b32 s13, exec_lo
	v_add_nc_u32_e32 v46, v46, v57
	v_xor_b32_e32 v56, 1, v56
	v_and_b32_e32 v116, 0xfffff, v46
	v_add_nc_u32_e32 v46, v116, v57
                                        ; implicit-def: $vgpr116
	v_cmpx_ne_u32_e64 v47, v56
	s_xor_b32 s13, exec_lo, s13
; %bb.1230:                             ;   in Loop: Header=BB2_783 Depth=2
	v_cmp_lt_u32_e32 vcc_lo, 0xffffff, v46
	v_sub_nc_u32_e32 v116, v47, v56
	v_cndmask_b32_e64 v47, 0, 1, vcc_lo
	v_add_co_ci_u32_e64 v116, null, 0, v116, vcc_lo
	v_lshrrev_b32_e32 v46, v47, v46
; %bb.1231:                             ;   in Loop: Header=BB2_783 Depth=2
	s_andn2_saveexec_b32 s13, s13
; %bb.1232:                             ;   in Loop: Header=BB2_783 Depth=2
	v_bfe_u32 v116, v46, 23, 1
; %bb.1233:                             ;   in Loop: Header=BB2_783 Depth=2
	s_or_b32 exec_lo, exec_lo, s13
	v_lshrrev_b32_e32 v46, 20, v46
	v_min_i32_e32 v47, 15, v116
	v_cmp_gt_i32_e32 vcc_lo, 16, v116
	v_and_b32_sdwa v44, v44, v85 dst_sel:DWORD dst_unused:UNUSED_PAD src0_sel:BYTE_3 src1_sel:DWORD
	v_lshlrev_b32_e32 v47, 3, v47
	v_cndmask_b32_e32 v46, 7, v46, vcc_lo
	v_and_b32_e32 v47, 0xf8, v47
	v_and_b32_e32 v56, 7, v46
	v_or_b32_e32 v116, v116, v46
	v_or3_b32 v44, v47, v44, v56
	v_cmp_ne_u32_e32 vcc_lo, 0, v116
	v_cndmask_b32_e32 v116, 0, v44, vcc_lo
.LBB2_1234:                             ;   in Loop: Header=BB2_783 Depth=2
	s_or_b32 exec_lo, exec_lo, s41
.LBB2_1235:                             ;   in Loop: Header=BB2_783 Depth=2
	s_or_b32 exec_lo, exec_lo, s40
	v_cmp_gt_i16_sdwa s40, v40, v84 src0_sel:BYTE_3 src1_sel:DWORD
	s_mov_b32 s13, 0
	s_and_saveexec_b32 s41, s40
	s_xor_b32 s40, exec_lo, s41
	s_cbranch_execz .LBB2_1409
; %bb.1236:                             ;   in Loop: Header=BB2_783 Depth=2
	v_cmp_eq_u16_sdwa s42, v40, v85 src0_sel:BYTE_3 src1_sel:DWORD
	s_mov_b32 s13, -1
	s_and_saveexec_b32 s41, s42
; %bb.1237:                             ;   in Loop: Header=BB2_783 Depth=2
	s_xor_b32 s13, exec_lo, -1
; %bb.1238:                             ;   in Loop: Header=BB2_783 Depth=2
	s_or_b32 exec_lo, exec_lo, s41
	s_and_b32 s13, s13, exec_lo
	s_or_saveexec_b32 s40, s40
	v_mov_b32_e32 v44, 0x7f800001
	s_xor_b32 exec_lo, exec_lo, s40
	s_cbranch_execnz .LBB2_1410
.LBB2_1239:                             ;   in Loop: Header=BB2_783 Depth=2
	s_or_b32 exec_lo, exec_lo, s40
	s_and_saveexec_b32 s40, s13
	s_cbranch_execz .LBB2_1241
.LBB2_1240:                             ;   in Loop: Header=BB2_783 Depth=2
	v_bfe_u32 v44, v40, 24, 3
	v_bfe_u32 v56, v40, 27, 4
	v_ffbh_u32_e32 v46, v44
	v_cmp_eq_u32_e32 vcc_lo, 0, v56
	v_min_u32_e32 v46, 32, v46
	v_subrev_nc_u32_e32 v47, 28, v46
	v_sub_nc_u32_e32 v46, 29, v46
	v_lshlrev_b32_sdwa v47, v47, v40 dst_sel:DWORD dst_unused:UNUSED_PAD src0_sel:DWORD src1_sel:BYTE_3
	v_cndmask_b32_e32 v46, v56, v46, vcc_lo
	v_and_b32_e32 v40, 0x80000000, v40
	v_and_b32_e32 v47, 7, v47
	v_lshl_add_u32 v46, v46, 23, 0x3b800000
	v_cndmask_b32_e32 v44, v44, v47, vcc_lo
	v_lshlrev_b32_e32 v44, 20, v44
	v_or3_b32 v44, v40, v46, v44
.LBB2_1241:                             ;   in Loop: Header=BB2_783 Depth=2
	s_or_b32 exec_lo, exec_lo, s40
	v_cmp_gt_i16_sdwa s40, v12, v84 src0_sel:BYTE_3 src1_sel:DWORD
	s_mov_b32 s13, 0
	s_and_saveexec_b32 s41, s40
	s_xor_b32 s40, exec_lo, s41
	s_cbranch_execz .LBB2_1411
; %bb.1242:                             ;   in Loop: Header=BB2_783 Depth=2
	v_cmp_eq_u16_sdwa s42, v12, v85 src0_sel:BYTE_3 src1_sel:DWORD
	s_mov_b32 s13, -1
	s_and_saveexec_b32 s41, s42
; %bb.1243:                             ;   in Loop: Header=BB2_783 Depth=2
	s_xor_b32 s13, exec_lo, -1
; %bb.1244:                             ;   in Loop: Header=BB2_783 Depth=2
	s_or_b32 exec_lo, exec_lo, s41
	s_and_b32 s13, s13, exec_lo
	s_or_saveexec_b32 s40, s40
	v_mov_b32_e32 v40, 0x7f800001
	s_xor_b32 exec_lo, exec_lo, s40
	s_cbranch_execnz .LBB2_1412
.LBB2_1245:                             ;   in Loop: Header=BB2_783 Depth=2
	s_or_b32 exec_lo, exec_lo, s40
	s_and_saveexec_b32 s40, s13
	s_cbranch_execz .LBB2_1247
.LBB2_1246:                             ;   in Loop: Header=BB2_783 Depth=2
	v_and_b32_sdwa v40, v12, v97 dst_sel:DWORD dst_unused:UNUSED_PAD src0_sel:BYTE_3 src1_sel:DWORD
	v_bfe_u32 v56, v12, 27, 4
	v_ffbh_u32_e32 v46, v40
	v_cmp_eq_u32_e32 vcc_lo, 0, v56
	v_min_u32_e32 v46, 32, v46
	v_subrev_nc_u32_e32 v47, 28, v46
	v_sub_nc_u32_e32 v46, 29, v46
	v_lshlrev_b32_sdwa v47, v47, v12 dst_sel:DWORD dst_unused:UNUSED_PAD src0_sel:DWORD src1_sel:BYTE_3
	v_cndmask_b32_e32 v46, v56, v46, vcc_lo
	v_and_b32_e32 v12, 0x80000000, v12
	v_and_b32_e32 v47, 7, v47
	v_lshl_add_u32 v46, v46, 23, 0x3b800000
	v_cndmask_b32_e32 v40, v40, v47, vcc_lo
	v_lshlrev_b32_e32 v40, 20, v40
	v_or3_b32 v40, v12, v46, v40
.LBB2_1247:                             ;   in Loop: Header=BB2_783 Depth=2
	s_or_b32 exec_lo, exec_lo, s40
	v_add_f32_e32 v40, v44, v40
	v_and_b32_e32 v12, 0x7f800000, v40
	v_cmp_ne_u32_e32 vcc_lo, 0x7f800000, v12
	v_mov_b32_e32 v12, 0x8000
	s_and_saveexec_b32 s40, vcc_lo
	s_cbranch_execz .LBB2_1255
; %bb.1248:                             ;   in Loop: Header=BB2_783 Depth=2
	v_mov_b32_e32 v12, 0
	s_mov_b32 s41, exec_lo
	v_cmpx_ne_u32_e32 0, v40
	s_cbranch_execz .LBB2_1254
; %bb.1249:                             ;   in Loop: Header=BB2_783 Depth=2
	v_bfe_u32 v12, v40, 23, 8
	v_and_b32_e32 v44, 0x7fffff, v40
	v_sub_nc_u32_e32 v46, 0x78, v12
	v_cmp_gt_u32_e32 vcc_lo, 0x79, v12
	v_or_b32_e32 v47, 0x800000, v44
	v_cndmask_b32_e32 v46, 0, v46, vcc_lo
	v_cmp_eq_u32_e32 vcc_lo, 0, v12
	v_add_nc_u32_e32 v12, 0xffffff89, v12
	v_cndmask_b32_e64 v46, v46, 0x77, vcc_lo
	v_cndmask_b32_e32 v44, v47, v44, vcc_lo
	v_cndmask_b32_e64 v12, v12, 0xffffff8a, vcc_lo
	v_lshl_add_u32 v47, 0x100000, v46, -1
	v_lshrrev_b32_e32 v56, v46, v44
	v_lshlrev_b32_e64 v58, v46, 0x80000
	v_add_nc_u32_e32 v46, v46, v12
	v_and_b32_e32 v44, v47, v44
	v_bfe_u32 v57, v56, 20, 1
	v_cmp_eq_u32_e64 s13, v44, v58
	v_add_nc_u32_e32 v47, -1, v57
	v_cndmask_b32_e64 v44, 0, v47, s13
	v_lshrrev_b32_e32 v47, 23, v56
	s_mov_b32 s13, exec_lo
	v_add_nc_u32_e32 v44, v44, v56
	v_xor_b32_e32 v47, 1, v47
	v_and_b32_e32 v12, 0xfffff, v44
	v_add_nc_u32_e32 v44, v12, v56
                                        ; implicit-def: $vgpr12
	v_cmpx_ne_u32_e64 v46, v47
	s_xor_b32 s13, exec_lo, s13
; %bb.1250:                             ;   in Loop: Header=BB2_783 Depth=2
	v_cmp_lt_u32_e32 vcc_lo, 0xffffff, v44
	v_sub_nc_u32_e32 v12, v46, v47
	v_cndmask_b32_e64 v46, 0, 1, vcc_lo
	v_add_co_ci_u32_e64 v12, null, 0, v12, vcc_lo
	v_lshrrev_b32_e32 v44, v46, v44
; %bb.1251:                             ;   in Loop: Header=BB2_783 Depth=2
	s_andn2_saveexec_b32 s13, s13
; %bb.1252:                             ;   in Loop: Header=BB2_783 Depth=2
	v_bfe_u32 v12, v44, 23, 1
; %bb.1253:                             ;   in Loop: Header=BB2_783 Depth=2
	s_or_b32 exec_lo, exec_lo, s13
	v_lshrrev_b32_e32 v44, 20, v44
	v_min_i32_e32 v46, 15, v12
	v_cmp_gt_i32_e32 vcc_lo, 16, v12
	v_and_b32_sdwa v40, v40, v85 dst_sel:DWORD dst_unused:UNUSED_PAD src0_sel:BYTE_3 src1_sel:DWORD
	v_lshlrev_b32_e32 v46, 3, v46
	v_cndmask_b32_e32 v44, 7, v44, vcc_lo
	v_and_b32_e32 v46, 0xf8, v46
	v_and_b32_e32 v47, 7, v44
	v_or_b32_e32 v12, v12, v44
	v_or3_b32 v40, v40, v46, v47
	v_cmp_ne_u32_e32 vcc_lo, 0, v12
	v_lshlrev_b32_e32 v40, 8, v40
	v_cndmask_b32_e32 v12, 0, v40, vcc_lo
.LBB2_1254:                             ;   in Loop: Header=BB2_783 Depth=2
	s_or_b32 exec_lo, exec_lo, s41
.LBB2_1255:                             ;   in Loop: Header=BB2_783 Depth=2
	s_or_b32 exec_lo, exec_lo, s40
	v_or_b32_e32 v117, v117, v113
	s_mov_b32 s13, 0
	v_cmp_gt_i16_sdwa s40, v117, v84 src0_sel:BYTE_0 src1_sel:DWORD
	s_and_saveexec_b32 s41, s40
	s_xor_b32 s40, exec_lo, s41
	s_cbranch_execz .LBB2_1413
; %bb.1256:                             ;   in Loop: Header=BB2_783 Depth=2
	v_cmp_eq_u16_sdwa s42, v117, v85 src0_sel:BYTE_0 src1_sel:DWORD
	s_mov_b32 s13, -1
	s_and_saveexec_b32 s41, s42
; %bb.1257:                             ;   in Loop: Header=BB2_783 Depth=2
	s_xor_b32 s13, exec_lo, -1
; %bb.1258:                             ;   in Loop: Header=BB2_783 Depth=2
	s_or_b32 exec_lo, exec_lo, s41
	s_and_b32 s13, s13, exec_lo
	s_or_saveexec_b32 s40, s40
	v_mov_b32_e32 v113, 0x7f800001
	s_xor_b32 exec_lo, exec_lo, s40
	s_cbranch_execnz .LBB2_1414
.LBB2_1259:                             ;   in Loop: Header=BB2_783 Depth=2
	s_or_b32 exec_lo, exec_lo, s40
	s_and_saveexec_b32 s40, s13
	s_cbranch_execz .LBB2_1261
.LBB2_1260:                             ;   in Loop: Header=BB2_783 Depth=2
	v_and_b32_e32 v113, 7, v117
	v_bfe_u32 v46, v117, 3, 4
	v_lshlrev_b32_e32 v47, 24, v117
	v_ffbh_u32_e32 v40, v113
	v_cmp_eq_u32_e32 vcc_lo, 0, v46
	v_min_u32_e32 v40, 32, v40
	v_subrev_nc_u32_e32 v44, 28, v40
	v_sub_nc_u32_e32 v40, 29, v40
	v_lshlrev_b32_e32 v44, v44, v117
	v_cndmask_b32_e32 v40, v46, v40, vcc_lo
	v_and_b32_e32 v44, 7, v44
	v_lshl_add_u32 v40, v40, 23, 0x3b800000
	v_cndmask_b32_e32 v113, v113, v44, vcc_lo
	v_and_b32_e32 v44, 0x80000000, v47
	v_lshlrev_b32_e32 v113, 20, v113
	v_or3_b32 v113, v44, v40, v113
.LBB2_1261:                             ;   in Loop: Header=BB2_783 Depth=2
	s_or_b32 exec_lo, exec_lo, s40
	v_cmp_gt_i16_sdwa s40, v13, v84 src0_sel:BYTE_0 src1_sel:DWORD
	s_mov_b32 s13, 0
	s_and_saveexec_b32 s41, s40
	s_xor_b32 s40, exec_lo, s41
	s_cbranch_execz .LBB2_1415
; %bb.1262:                             ;   in Loop: Header=BB2_783 Depth=2
	v_cmp_eq_u16_sdwa s42, v13, v85 src0_sel:BYTE_0 src1_sel:DWORD
	s_mov_b32 s13, -1
	s_and_saveexec_b32 s41, s42
; %bb.1263:                             ;   in Loop: Header=BB2_783 Depth=2
	s_xor_b32 s13, exec_lo, -1
; %bb.1264:                             ;   in Loop: Header=BB2_783 Depth=2
	s_or_b32 exec_lo, exec_lo, s41
	s_and_b32 s13, s13, exec_lo
	s_or_saveexec_b32 s40, s40
	v_mov_b32_e32 v40, 0x7f800001
	s_xor_b32 exec_lo, exec_lo, s40
	s_cbranch_execnz .LBB2_1416
.LBB2_1265:                             ;   in Loop: Header=BB2_783 Depth=2
	s_or_b32 exec_lo, exec_lo, s40
	s_and_saveexec_b32 s40, s13
	s_cbranch_execz .LBB2_1267
.LBB2_1266:                             ;   in Loop: Header=BB2_783 Depth=2
	v_and_b32_e32 v40, 7, v13
	v_bfe_u32 v47, v13, 3, 4
	v_lshlrev_b32_e32 v56, 24, v13
	v_ffbh_u32_e32 v44, v40
	v_cmp_eq_u32_e32 vcc_lo, 0, v47
	v_min_u32_e32 v44, 32, v44
	v_subrev_nc_u32_e32 v46, 28, v44
	v_sub_nc_u32_e32 v44, 29, v44
	v_lshlrev_b32_e32 v46, v46, v13
	v_cndmask_b32_e32 v44, v47, v44, vcc_lo
	v_and_b32_e32 v46, 7, v46
	v_lshl_add_u32 v44, v44, 23, 0x3b800000
	v_cndmask_b32_e32 v40, v40, v46, vcc_lo
	v_and_b32_e32 v46, 0x80000000, v56
	v_lshlrev_b32_e32 v40, 20, v40
	v_or3_b32 v40, v46, v44, v40
.LBB2_1267:                             ;   in Loop: Header=BB2_783 Depth=2
	s_or_b32 exec_lo, exec_lo, s40
	v_add_f32_e32 v40, v113, v40
	v_and_b32_e32 v113, 0x7f800000, v40
	v_cmp_ne_u32_e32 vcc_lo, 0x7f800000, v113
	v_mov_b32_e32 v113, 0x80
	s_and_saveexec_b32 s40, vcc_lo
	s_cbranch_execz .LBB2_1275
; %bb.1268:                             ;   in Loop: Header=BB2_783 Depth=2
	v_mov_b32_e32 v113, 0
	s_mov_b32 s41, exec_lo
	v_cmpx_ne_u32_e32 0, v40
	s_cbranch_execz .LBB2_1274
; %bb.1269:                             ;   in Loop: Header=BB2_783 Depth=2
	v_bfe_u32 v113, v40, 23, 8
	v_and_b32_e32 v44, 0x7fffff, v40
	v_sub_nc_u32_e32 v46, 0x78, v113
	v_cmp_gt_u32_e32 vcc_lo, 0x79, v113
	v_or_b32_e32 v47, 0x800000, v44
	v_cndmask_b32_e32 v46, 0, v46, vcc_lo
	v_cmp_eq_u32_e32 vcc_lo, 0, v113
	v_add_nc_u32_e32 v113, 0xffffff89, v113
	v_cndmask_b32_e64 v46, v46, 0x77, vcc_lo
	v_cndmask_b32_e32 v44, v47, v44, vcc_lo
	v_cndmask_b32_e64 v113, v113, 0xffffff8a, vcc_lo
	v_lshl_add_u32 v47, 0x100000, v46, -1
	v_lshrrev_b32_e32 v56, v46, v44
	v_lshlrev_b32_e64 v58, v46, 0x80000
	v_add_nc_u32_e32 v46, v46, v113
	v_and_b32_e32 v44, v47, v44
	v_bfe_u32 v57, v56, 20, 1
	v_cmp_eq_u32_e64 s13, v44, v58
	v_add_nc_u32_e32 v47, -1, v57
	v_cndmask_b32_e64 v44, 0, v47, s13
	v_lshrrev_b32_e32 v47, 23, v56
	s_mov_b32 s13, exec_lo
	v_add_nc_u32_e32 v44, v44, v56
	v_xor_b32_e32 v47, 1, v47
	v_and_b32_e32 v113, 0xfffff, v44
	v_add_nc_u32_e32 v44, v113, v56
                                        ; implicit-def: $vgpr113
	v_cmpx_ne_u32_e64 v46, v47
	s_xor_b32 s13, exec_lo, s13
; %bb.1270:                             ;   in Loop: Header=BB2_783 Depth=2
	v_cmp_lt_u32_e32 vcc_lo, 0xffffff, v44
	v_sub_nc_u32_e32 v113, v46, v47
	v_cndmask_b32_e64 v46, 0, 1, vcc_lo
	v_add_co_ci_u32_e64 v113, null, 0, v113, vcc_lo
	v_lshrrev_b32_e32 v44, v46, v44
; %bb.1271:                             ;   in Loop: Header=BB2_783 Depth=2
	s_andn2_saveexec_b32 s13, s13
; %bb.1272:                             ;   in Loop: Header=BB2_783 Depth=2
	v_bfe_u32 v113, v44, 23, 1
; %bb.1273:                             ;   in Loop: Header=BB2_783 Depth=2
	s_or_b32 exec_lo, exec_lo, s13
	v_lshrrev_b32_e32 v44, 20, v44
	v_min_i32_e32 v46, 15, v113
	v_cmp_gt_i32_e32 vcc_lo, 16, v113
	v_and_b32_sdwa v40, v40, v85 dst_sel:DWORD dst_unused:UNUSED_PAD src0_sel:BYTE_3 src1_sel:DWORD
	v_lshlrev_b32_e32 v46, 3, v46
	v_cndmask_b32_e32 v44, 7, v44, vcc_lo
	v_and_b32_e32 v46, 0xf8, v46
	v_and_b32_e32 v47, 7, v44
	v_or_b32_e32 v113, v113, v44
	v_or3_b32 v40, v46, v40, v47
	v_cmp_ne_u32_e32 vcc_lo, 0, v113
	v_cndmask_b32_e32 v113, 0, v40, vcc_lo
.LBB2_1274:                             ;   in Loop: Header=BB2_783 Depth=2
	s_or_b32 exec_lo, exec_lo, s41
.LBB2_1275:                             ;   in Loop: Header=BB2_783 Depth=2
	s_or_b32 exec_lo, exec_lo, s40
	v_cmp_gt_i16_sdwa s40, v117, v84 src0_sel:BYTE_1 src1_sel:DWORD
	s_mov_b32 s13, 0
	s_and_saveexec_b32 s41, s40
	s_xor_b32 s40, exec_lo, s41
	s_cbranch_execz .LBB2_1417
; %bb.1276:                             ;   in Loop: Header=BB2_783 Depth=2
	v_cmp_eq_u16_sdwa s42, v117, v85 src0_sel:BYTE_1 src1_sel:DWORD
	s_mov_b32 s13, -1
	s_and_saveexec_b32 s41, s42
; %bb.1277:                             ;   in Loop: Header=BB2_783 Depth=2
	s_xor_b32 s13, exec_lo, -1
; %bb.1278:                             ;   in Loop: Header=BB2_783 Depth=2
	s_or_b32 exec_lo, exec_lo, s41
	s_and_b32 s13, s13, exec_lo
	s_or_saveexec_b32 s40, s40
	v_mov_b32_e32 v40, 0x7f800001
	s_xor_b32 exec_lo, exec_lo, s40
	s_cbranch_execnz .LBB2_1418
.LBB2_1279:                             ;   in Loop: Header=BB2_783 Depth=2
	s_or_b32 exec_lo, exec_lo, s40
	s_and_saveexec_b32 s40, s13
	s_cbranch_execz .LBB2_1281
.LBB2_1280:                             ;   in Loop: Header=BB2_783 Depth=2
	v_and_b32_sdwa v40, v86, v117 dst_sel:DWORD dst_unused:UNUSED_PAD src0_sel:DWORD src1_sel:BYTE_1
	v_and_b32_e32 v44, 7, v40
	v_bfe_u32 v56, v40, 3, 4
	v_ffbh_u32_e32 v46, v44
	v_cmp_eq_u32_e32 vcc_lo, 0, v56
	v_min_u32_e32 v46, 32, v46
	v_subrev_nc_u32_e32 v47, 28, v46
	v_sub_nc_u32_e32 v46, 29, v46
	v_lshlrev_b32_e32 v40, v47, v40
	v_lshlrev_b32_sdwa v47, v87, v117 dst_sel:DWORD dst_unused:UNUSED_PAD src0_sel:DWORD src1_sel:BYTE_1
	v_cndmask_b32_e32 v46, v56, v46, vcc_lo
	v_and_b32_e32 v40, 7, v40
	v_lshl_add_u32 v46, v46, 23, 0x3b800000
	v_cndmask_b32_e32 v40, v44, v40, vcc_lo
	v_and_b32_e32 v44, 0x80000000, v47
	v_lshlrev_b32_e32 v40, 20, v40
	v_or3_b32 v40, v44, v46, v40
.LBB2_1281:                             ;   in Loop: Header=BB2_783 Depth=2
	s_or_b32 exec_lo, exec_lo, s40
	v_cmp_gt_i16_sdwa s40, v13, v84 src0_sel:BYTE_1 src1_sel:DWORD
	s_mov_b32 s13, 0
	s_and_saveexec_b32 s41, s40
	s_xor_b32 s40, exec_lo, s41
	s_cbranch_execz .LBB2_1419
; %bb.1282:                             ;   in Loop: Header=BB2_783 Depth=2
	v_cmp_eq_u16_sdwa s42, v13, v85 src0_sel:BYTE_1 src1_sel:DWORD
	s_mov_b32 s13, -1
	s_and_saveexec_b32 s41, s42
; %bb.1283:                             ;   in Loop: Header=BB2_783 Depth=2
	s_xor_b32 s13, exec_lo, -1
; %bb.1284:                             ;   in Loop: Header=BB2_783 Depth=2
	s_or_b32 exec_lo, exec_lo, s41
	s_and_b32 s13, s13, exec_lo
	s_or_saveexec_b32 s40, s40
	v_mov_b32_e32 v44, 0x7f800001
	s_xor_b32 exec_lo, exec_lo, s40
	s_cbranch_execnz .LBB2_1420
.LBB2_1285:                             ;   in Loop: Header=BB2_783 Depth=2
	s_or_b32 exec_lo, exec_lo, s40
	s_and_saveexec_b32 s40, s13
	s_cbranch_execz .LBB2_1287
.LBB2_1286:                             ;   in Loop: Header=BB2_783 Depth=2
	v_and_b32_sdwa v44, v86, v13 dst_sel:DWORD dst_unused:UNUSED_PAD src0_sel:DWORD src1_sel:BYTE_1
	v_and_b32_e32 v46, 7, v44
	v_bfe_u32 v57, v44, 3, 4
	v_ffbh_u32_e32 v47, v46
	v_cmp_eq_u32_e32 vcc_lo, 0, v57
	v_min_u32_e32 v47, 32, v47
	v_subrev_nc_u32_e32 v56, 28, v47
	v_sub_nc_u32_e32 v47, 29, v47
	v_lshlrev_b32_e32 v44, v56, v44
	v_lshlrev_b32_sdwa v56, v87, v13 dst_sel:DWORD dst_unused:UNUSED_PAD src0_sel:DWORD src1_sel:BYTE_1
	v_cndmask_b32_e32 v47, v57, v47, vcc_lo
	v_and_b32_e32 v44, 7, v44
	v_lshl_add_u32 v47, v47, 23, 0x3b800000
	v_cndmask_b32_e32 v44, v46, v44, vcc_lo
	v_and_b32_e32 v46, 0x80000000, v56
	v_lshlrev_b32_e32 v44, 20, v44
	v_or3_b32 v44, v46, v47, v44
.LBB2_1287:                             ;   in Loop: Header=BB2_783 Depth=2
	s_or_b32 exec_lo, exec_lo, s40
	v_add_f32_e32 v44, v40, v44
	v_and_b32_e32 v40, 0x7f800000, v44
	v_cmp_ne_u32_e32 vcc_lo, 0x7f800000, v40
	v_mov_b32_e32 v40, 0x8000
	s_and_saveexec_b32 s40, vcc_lo
	s_cbranch_execz .LBB2_1295
; %bb.1288:                             ;   in Loop: Header=BB2_783 Depth=2
	v_mov_b32_e32 v40, 0
	s_mov_b32 s41, exec_lo
	v_cmpx_ne_u32_e32 0, v44
	s_cbranch_execz .LBB2_1294
; %bb.1289:                             ;   in Loop: Header=BB2_783 Depth=2
	v_bfe_u32 v40, v44, 23, 8
	v_and_b32_e32 v46, 0x7fffff, v44
	v_sub_nc_u32_e32 v47, 0x78, v40
	v_cmp_gt_u32_e32 vcc_lo, 0x79, v40
	v_or_b32_e32 v56, 0x800000, v46
	v_cndmask_b32_e32 v47, 0, v47, vcc_lo
	v_cmp_eq_u32_e32 vcc_lo, 0, v40
	v_add_nc_u32_e32 v40, 0xffffff89, v40
	v_cndmask_b32_e64 v47, v47, 0x77, vcc_lo
	v_cndmask_b32_e32 v46, v56, v46, vcc_lo
	v_cndmask_b32_e64 v40, v40, 0xffffff8a, vcc_lo
	v_lshl_add_u32 v56, 0x100000, v47, -1
	v_lshrrev_b32_e32 v57, v47, v46
	v_lshlrev_b32_e64 v59, v47, 0x80000
	v_add_nc_u32_e32 v47, v47, v40
	v_and_b32_e32 v46, v56, v46
	v_bfe_u32 v58, v57, 20, 1
	v_cmp_eq_u32_e64 s13, v46, v59
	v_add_nc_u32_e32 v56, -1, v58
	v_cndmask_b32_e64 v46, 0, v56, s13
	v_lshrrev_b32_e32 v56, 23, v57
	s_mov_b32 s13, exec_lo
	v_add_nc_u32_e32 v46, v46, v57
	v_xor_b32_e32 v56, 1, v56
	v_and_b32_e32 v40, 0xfffff, v46
	v_add_nc_u32_e32 v46, v40, v57
                                        ; implicit-def: $vgpr40
	v_cmpx_ne_u32_e64 v47, v56
	s_xor_b32 s13, exec_lo, s13
; %bb.1290:                             ;   in Loop: Header=BB2_783 Depth=2
	v_cmp_lt_u32_e32 vcc_lo, 0xffffff, v46
	v_sub_nc_u32_e32 v40, v47, v56
	v_cndmask_b32_e64 v47, 0, 1, vcc_lo
	v_add_co_ci_u32_e64 v40, null, 0, v40, vcc_lo
	v_lshrrev_b32_e32 v46, v47, v46
; %bb.1291:                             ;   in Loop: Header=BB2_783 Depth=2
	s_andn2_saveexec_b32 s13, s13
; %bb.1292:                             ;   in Loop: Header=BB2_783 Depth=2
	v_bfe_u32 v40, v46, 23, 1
; %bb.1293:                             ;   in Loop: Header=BB2_783 Depth=2
	s_or_b32 exec_lo, exec_lo, s13
	v_lshrrev_b32_e32 v46, 20, v46
	v_min_i32_e32 v47, 15, v40
	v_cmp_gt_i32_e32 vcc_lo, 16, v40
	v_and_b32_sdwa v44, v44, v85 dst_sel:DWORD dst_unused:UNUSED_PAD src0_sel:BYTE_3 src1_sel:DWORD
	v_lshlrev_b32_e32 v47, 3, v47
	v_cndmask_b32_e32 v46, 7, v46, vcc_lo
	v_and_b32_e32 v47, 0xf8, v47
	v_and_b32_e32 v56, 7, v46
	v_or_b32_e32 v40, v40, v46
	v_or3_b32 v44, v44, v47, v56
	v_cmp_ne_u32_e32 vcc_lo, 0, v40
	v_lshlrev_b32_e32 v44, 8, v44
	v_cndmask_b32_e32 v40, 0, v44, vcc_lo
.LBB2_1294:                             ;   in Loop: Header=BB2_783 Depth=2
	s_or_b32 exec_lo, exec_lo, s41
.LBB2_1295:                             ;   in Loop: Header=BB2_783 Depth=2
	s_or_b32 exec_lo, exec_lo, s40
	v_or_b32_e32 v115, v115, v112
	s_mov_b32 s13, 0
	v_cmp_gt_i16_sdwa s40, v115, v84 src0_sel:BYTE_0 src1_sel:DWORD
	s_and_saveexec_b32 s41, s40
	s_xor_b32 s40, exec_lo, s41
	s_cbranch_execz .LBB2_1421
; %bb.1296:                             ;   in Loop: Header=BB2_783 Depth=2
	v_cmp_eq_u16_sdwa s42, v115, v85 src0_sel:BYTE_0 src1_sel:DWORD
	s_mov_b32 s13, -1
	s_and_saveexec_b32 s41, s42
; %bb.1297:                             ;   in Loop: Header=BB2_783 Depth=2
	s_xor_b32 s13, exec_lo, -1
; %bb.1298:                             ;   in Loop: Header=BB2_783 Depth=2
	s_or_b32 exec_lo, exec_lo, s41
	s_and_b32 s13, s13, exec_lo
	s_or_saveexec_b32 s40, s40
	v_mov_b32_e32 v112, 0x7f800001
	s_xor_b32 exec_lo, exec_lo, s40
	s_cbranch_execnz .LBB2_1422
.LBB2_1299:                             ;   in Loop: Header=BB2_783 Depth=2
	s_or_b32 exec_lo, exec_lo, s40
	v_lshl_or_b32 v115, v115, 16, v117
	s_and_saveexec_b32 s40, s13
	s_cbranch_execz .LBB2_1301
.LBB2_1300:                             ;   in Loop: Header=BB2_783 Depth=2
	v_bfe_u32 v112, v115, 16, 3
	v_bfe_u32 v46, v115, 19, 4
	v_lshlrev_b32_e32 v47, 8, v115
	v_ffbh_u32_e32 v117, v112
	v_cmp_eq_u32_e32 vcc_lo, 0, v46
	v_min_u32_e32 v117, 32, v117
	v_subrev_nc_u32_e32 v44, 28, v117
	v_sub_nc_u32_e32 v117, 29, v117
	v_lshlrev_b32_sdwa v44, v44, v115 dst_sel:DWORD dst_unused:UNUSED_PAD src0_sel:DWORD src1_sel:WORD_1
	v_cndmask_b32_e32 v117, v46, v117, vcc_lo
	v_and_b32_e32 v44, 7, v44
	v_lshl_add_u32 v117, v117, 23, 0x3b800000
	v_cndmask_b32_e32 v112, v112, v44, vcc_lo
	v_and_b32_e32 v44, 0x80000000, v47
	v_lshlrev_b32_e32 v112, 20, v112
	v_or3_b32 v112, v44, v117, v112
.LBB2_1301:                             ;   in Loop: Header=BB2_783 Depth=2
	s_or_b32 exec_lo, exec_lo, s40
	v_and_b32_sdwa v44, v13, v96 dst_sel:DWORD dst_unused:UNUSED_PAD src0_sel:WORD_1 src1_sel:DWORD
	s_mov_b32 s13, 0
	s_mov_b32 s40, exec_lo
	v_cmpx_lt_i16_e32 0x7f, v44
	s_xor_b32 s40, exec_lo, s40
	s_cbranch_execz .LBB2_1423
; %bb.1302:                             ;   in Loop: Header=BB2_783 Depth=2
	s_mov_b32 s13, -1
	s_mov_b32 s41, exec_lo
	v_cmpx_eq_u16_e32 0x80, v44
; %bb.1303:                             ;   in Loop: Header=BB2_783 Depth=2
	s_xor_b32 s13, exec_lo, -1
; %bb.1304:                             ;   in Loop: Header=BB2_783 Depth=2
	s_or_b32 exec_lo, exec_lo, s41
	s_and_b32 s13, s13, exec_lo
                                        ; implicit-def: $vgpr44
	s_or_saveexec_b32 s40, s40
	v_mov_b32_e32 v117, 0x7f800001
	s_xor_b32 exec_lo, exec_lo, s40
	s_cbranch_execnz .LBB2_1424
.LBB2_1305:                             ;   in Loop: Header=BB2_783 Depth=2
	s_or_b32 exec_lo, exec_lo, s40
	s_and_saveexec_b32 s40, s13
	s_cbranch_execz .LBB2_1307
.LBB2_1306:                             ;   in Loop: Header=BB2_783 Depth=2
	v_and_b32_sdwa v117, v13, v97 dst_sel:DWORD dst_unused:UNUSED_PAD src0_sel:WORD_1 src1_sel:DWORD
	v_bfe_u32 v47, v13, 19, 4
	v_lshlrev_b32_sdwa v56, v87, v13 dst_sel:DWORD dst_unused:UNUSED_PAD src0_sel:DWORD src1_sel:WORD_1
	v_ffbh_u32_e32 v44, v117
	v_cmp_eq_u32_e32 vcc_lo, 0, v47
	v_min_u32_e32 v44, 32, v44
	v_subrev_nc_u32_e32 v46, 28, v44
	v_sub_nc_u32_e32 v44, 29, v44
	v_lshlrev_b32_sdwa v46, v46, v13 dst_sel:DWORD dst_unused:UNUSED_PAD src0_sel:DWORD src1_sel:WORD_1
	v_cndmask_b32_e32 v44, v47, v44, vcc_lo
	v_and_b32_e32 v46, 7, v46
	v_lshl_add_u32 v44, v44, 23, 0x3b800000
	v_cndmask_b32_e32 v117, v117, v46, vcc_lo
	v_and_b32_e32 v46, 0x80000000, v56
	v_lshlrev_b32_e32 v117, 20, v117
	v_or3_b32 v117, v46, v44, v117
.LBB2_1307:                             ;   in Loop: Header=BB2_783 Depth=2
	s_or_b32 exec_lo, exec_lo, s40
	v_add_f32_e32 v117, v112, v117
	v_and_b32_e32 v112, 0x7f800000, v117
	v_cmp_ne_u32_e32 vcc_lo, 0x7f800000, v112
	v_mov_b32_e32 v112, 0x80
	s_and_saveexec_b32 s40, vcc_lo
	s_cbranch_execz .LBB2_1315
; %bb.1308:                             ;   in Loop: Header=BB2_783 Depth=2
	v_mov_b32_e32 v112, 0
	s_mov_b32 s41, exec_lo
	v_cmpx_ne_u32_e32 0, v117
	s_cbranch_execz .LBB2_1314
; %bb.1309:                             ;   in Loop: Header=BB2_783 Depth=2
	v_bfe_u32 v112, v117, 23, 8
	v_and_b32_e32 v44, 0x7fffff, v117
	v_sub_nc_u32_e32 v46, 0x78, v112
	v_cmp_gt_u32_e32 vcc_lo, 0x79, v112
	v_or_b32_e32 v47, 0x800000, v44
	v_cndmask_b32_e32 v46, 0, v46, vcc_lo
	v_cmp_eq_u32_e32 vcc_lo, 0, v112
	v_add_nc_u32_e32 v112, 0xffffff89, v112
	v_cndmask_b32_e64 v46, v46, 0x77, vcc_lo
	v_cndmask_b32_e32 v44, v47, v44, vcc_lo
	v_cndmask_b32_e64 v112, v112, 0xffffff8a, vcc_lo
	v_lshl_add_u32 v47, 0x100000, v46, -1
	v_lshrrev_b32_e32 v56, v46, v44
	v_lshlrev_b32_e64 v58, v46, 0x80000
	v_add_nc_u32_e32 v46, v46, v112
	v_and_b32_e32 v44, v47, v44
	v_bfe_u32 v57, v56, 20, 1
	v_cmp_eq_u32_e64 s13, v44, v58
	v_add_nc_u32_e32 v47, -1, v57
	v_cndmask_b32_e64 v44, 0, v47, s13
	v_lshrrev_b32_e32 v47, 23, v56
	s_mov_b32 s13, exec_lo
	v_add_nc_u32_e32 v44, v44, v56
	v_xor_b32_e32 v47, 1, v47
	v_and_b32_e32 v112, 0xfffff, v44
	v_add_nc_u32_e32 v44, v112, v56
                                        ; implicit-def: $vgpr112
	v_cmpx_ne_u32_e64 v46, v47
	s_xor_b32 s13, exec_lo, s13
; %bb.1310:                             ;   in Loop: Header=BB2_783 Depth=2
	v_cmp_lt_u32_e32 vcc_lo, 0xffffff, v44
	v_sub_nc_u32_e32 v112, v46, v47
	v_cndmask_b32_e64 v46, 0, 1, vcc_lo
	v_add_co_ci_u32_e64 v112, null, 0, v112, vcc_lo
	v_lshrrev_b32_e32 v44, v46, v44
; %bb.1311:                             ;   in Loop: Header=BB2_783 Depth=2
	s_andn2_saveexec_b32 s13, s13
; %bb.1312:                             ;   in Loop: Header=BB2_783 Depth=2
	v_bfe_u32 v112, v44, 23, 1
; %bb.1313:                             ;   in Loop: Header=BB2_783 Depth=2
	s_or_b32 exec_lo, exec_lo, s13
	v_lshrrev_b32_e32 v44, 20, v44
	v_min_i32_e32 v46, 15, v112
	v_cmp_gt_i32_e32 vcc_lo, 16, v112
	v_and_b32_sdwa v117, v117, v85 dst_sel:DWORD dst_unused:UNUSED_PAD src0_sel:BYTE_3 src1_sel:DWORD
	v_lshlrev_b32_e32 v46, 3, v46
	v_cndmask_b32_e32 v44, 7, v44, vcc_lo
	v_and_b32_e32 v46, 0xf8, v46
	v_and_b32_e32 v47, 7, v44
	v_or_b32_e32 v112, v112, v44
	v_or3_b32 v117, v46, v117, v47
	v_cmp_ne_u32_e32 vcc_lo, 0, v112
	v_cndmask_b32_e32 v112, 0, v117, vcc_lo
.LBB2_1314:                             ;   in Loop: Header=BB2_783 Depth=2
	s_or_b32 exec_lo, exec_lo, s41
.LBB2_1315:                             ;   in Loop: Header=BB2_783 Depth=2
	s_or_b32 exec_lo, exec_lo, s40
	v_cmp_gt_i16_sdwa s40, v115, v84 src0_sel:BYTE_3 src1_sel:DWORD
	s_mov_b32 s13, 0
	s_and_saveexec_b32 s41, s40
	s_xor_b32 s40, exec_lo, s41
	s_cbranch_execz .LBB2_1425
; %bb.1316:                             ;   in Loop: Header=BB2_783 Depth=2
	v_cmp_eq_u16_sdwa s42, v115, v85 src0_sel:BYTE_3 src1_sel:DWORD
	s_mov_b32 s13, -1
	s_and_saveexec_b32 s41, s42
; %bb.1317:                             ;   in Loop: Header=BB2_783 Depth=2
	s_xor_b32 s13, exec_lo, -1
; %bb.1318:                             ;   in Loop: Header=BB2_783 Depth=2
	s_or_b32 exec_lo, exec_lo, s41
	s_and_b32 s13, s13, exec_lo
	s_or_saveexec_b32 s40, s40
	v_mov_b32_e32 v117, 0x7f800001
	s_xor_b32 exec_lo, exec_lo, s40
	s_cbranch_execnz .LBB2_1426
.LBB2_1319:                             ;   in Loop: Header=BB2_783 Depth=2
	s_or_b32 exec_lo, exec_lo, s40
	s_and_saveexec_b32 s40, s13
	s_cbranch_execz .LBB2_1321
.LBB2_1320:                             ;   in Loop: Header=BB2_783 Depth=2
	v_bfe_u32 v117, v115, 24, 3
	v_bfe_u32 v47, v115, 27, 4
	v_ffbh_u32_e32 v44, v117
	v_cmp_eq_u32_e32 vcc_lo, 0, v47
	v_min_u32_e32 v44, 32, v44
	v_subrev_nc_u32_e32 v46, 28, v44
	v_sub_nc_u32_e32 v44, 29, v44
	v_lshlrev_b32_sdwa v46, v46, v115 dst_sel:DWORD dst_unused:UNUSED_PAD src0_sel:DWORD src1_sel:BYTE_3
	v_cndmask_b32_e32 v44, v47, v44, vcc_lo
	v_and_b32_e32 v115, 0x80000000, v115
	v_and_b32_e32 v46, 7, v46
	v_lshl_add_u32 v44, v44, 23, 0x3b800000
	v_cndmask_b32_e32 v117, v117, v46, vcc_lo
	v_lshlrev_b32_e32 v117, 20, v117
	v_or3_b32 v117, v115, v44, v117
.LBB2_1321:                             ;   in Loop: Header=BB2_783 Depth=2
	s_or_b32 exec_lo, exec_lo, s40
	v_cmp_gt_i16_sdwa s40, v13, v84 src0_sel:BYTE_3 src1_sel:DWORD
	s_mov_b32 s13, 0
	s_and_saveexec_b32 s41, s40
	s_xor_b32 s40, exec_lo, s41
	s_cbranch_execz .LBB2_1427
; %bb.1322:                             ;   in Loop: Header=BB2_783 Depth=2
	v_cmp_eq_u16_sdwa s42, v13, v85 src0_sel:BYTE_3 src1_sel:DWORD
	s_mov_b32 s13, -1
	s_and_saveexec_b32 s41, s42
; %bb.1323:                             ;   in Loop: Header=BB2_783 Depth=2
	s_xor_b32 s13, exec_lo, -1
; %bb.1324:                             ;   in Loop: Header=BB2_783 Depth=2
	s_or_b32 exec_lo, exec_lo, s41
	s_and_b32 s13, s13, exec_lo
	s_or_saveexec_b32 s40, s40
	v_mov_b32_e32 v115, 0x7f800001
	s_xor_b32 exec_lo, exec_lo, s40
	s_cbranch_execnz .LBB2_1428
.LBB2_1325:                             ;   in Loop: Header=BB2_783 Depth=2
	s_or_b32 exec_lo, exec_lo, s40
	s_and_saveexec_b32 s40, s13
	s_cbranch_execz .LBB2_1327
.LBB2_1326:                             ;   in Loop: Header=BB2_783 Depth=2
	v_and_b32_sdwa v115, v13, v97 dst_sel:DWORD dst_unused:UNUSED_PAD src0_sel:BYTE_3 src1_sel:DWORD
	v_bfe_u32 v47, v13, 27, 4
	v_ffbh_u32_e32 v44, v115
	v_cmp_eq_u32_e32 vcc_lo, 0, v47
	v_min_u32_e32 v44, 32, v44
	v_subrev_nc_u32_e32 v46, 28, v44
	v_sub_nc_u32_e32 v44, 29, v44
	v_lshlrev_b32_sdwa v46, v46, v13 dst_sel:DWORD dst_unused:UNUSED_PAD src0_sel:DWORD src1_sel:BYTE_3
	v_cndmask_b32_e32 v44, v47, v44, vcc_lo
	v_and_b32_e32 v13, 0x80000000, v13
	v_and_b32_e32 v46, 7, v46
	v_lshl_add_u32 v44, v44, 23, 0x3b800000
	v_cndmask_b32_e32 v115, v115, v46, vcc_lo
	v_lshlrev_b32_e32 v115, 20, v115
	v_or3_b32 v115, v13, v44, v115
.LBB2_1327:                             ;   in Loop: Header=BB2_783 Depth=2
	s_or_b32 exec_lo, exec_lo, s40
	v_add_f32_e32 v13, v117, v115
	v_and_b32_e32 v115, 0x7f800000, v13
	v_cmp_ne_u32_e32 vcc_lo, 0x7f800000, v115
	v_mov_b32_e32 v115, 0x8000
	s_and_saveexec_b32 s40, vcc_lo
	s_cbranch_execz .LBB2_782
; %bb.1328:                             ;   in Loop: Header=BB2_783 Depth=2
	v_mov_b32_e32 v115, 0
	s_mov_b32 s41, exec_lo
	v_cmpx_ne_u32_e32 0, v13
	s_cbranch_execz .LBB2_781
; %bb.1329:                             ;   in Loop: Header=BB2_783 Depth=2
	v_bfe_u32 v115, v13, 23, 8
	v_and_b32_e32 v117, 0x7fffff, v13
	v_sub_nc_u32_e32 v44, 0x78, v115
	v_cmp_gt_u32_e32 vcc_lo, 0x79, v115
	v_or_b32_e32 v46, 0x800000, v117
	v_cndmask_b32_e32 v44, 0, v44, vcc_lo
	v_cmp_eq_u32_e32 vcc_lo, 0, v115
	v_add_nc_u32_e32 v115, 0xffffff89, v115
	v_cndmask_b32_e64 v44, v44, 0x77, vcc_lo
	v_cndmask_b32_e32 v117, v46, v117, vcc_lo
	v_cndmask_b32_e64 v115, v115, 0xffffff8a, vcc_lo
	v_lshl_add_u32 v46, 0x100000, v44, -1
	v_lshrrev_b32_e32 v47, v44, v117
	v_lshlrev_b32_e64 v57, v44, 0x80000
	v_add_nc_u32_e32 v44, v44, v115
	v_and_b32_e32 v117, v46, v117
	v_bfe_u32 v56, v47, 20, 1
	v_cmp_eq_u32_e64 s13, v117, v57
	v_add_nc_u32_e32 v46, -1, v56
	v_cndmask_b32_e64 v117, 0, v46, s13
	v_lshrrev_b32_e32 v46, 23, v47
	s_mov_b32 s13, exec_lo
	v_add_nc_u32_e32 v117, v117, v47
	v_xor_b32_e32 v46, 1, v46
	v_and_b32_e32 v115, 0xfffff, v117
	v_add_nc_u32_e32 v117, v115, v47
                                        ; implicit-def: $vgpr115
	v_cmpx_ne_u32_e64 v44, v46
	s_xor_b32 s13, exec_lo, s13
; %bb.1330:                             ;   in Loop: Header=BB2_783 Depth=2
	v_cmp_lt_u32_e32 vcc_lo, 0xffffff, v117
	v_sub_nc_u32_e32 v115, v44, v46
	v_cndmask_b32_e64 v44, 0, 1, vcc_lo
	v_add_co_ci_u32_e64 v115, null, 0, v115, vcc_lo
	v_lshrrev_b32_e32 v117, v44, v117
; %bb.1331:                             ;   in Loop: Header=BB2_783 Depth=2
	s_andn2_saveexec_b32 s13, s13
	s_cbranch_execz .LBB2_780
; %bb.1332:                             ;   in Loop: Header=BB2_783 Depth=2
	v_bfe_u32 v115, v117, 23, 1
	s_branch .LBB2_780
.LBB2_1333:                             ;   in Loop: Header=BB2_783 Depth=2
	s_or_saveexec_b32 s41, s41
	v_mov_b32_e32 v103, 0x7f800001
	s_xor_b32 exec_lo, exec_lo, s41
	s_cbranch_execz .LBB2_795
.LBB2_1334:                             ;   in Loop: Header=BB2_783 Depth=2
	v_cmp_ne_u16_sdwa s42, v10, v32 src0_sel:BYTE_0 src1_sel:DWORD
	v_mov_b32_e32 v103, 0
	s_andn2_b32 s13, s13, exec_lo
	s_and_b32 s42, s42, exec_lo
	s_or_b32 s13, s13, s42
	s_or_b32 exec_lo, exec_lo, s41
	s_and_saveexec_b32 s41, s13
	s_cbranch_execnz .LBB2_796
	s_branch .LBB2_797
.LBB2_1335:                             ;   in Loop: Header=BB2_783 Depth=2
	s_or_saveexec_b32 s41, s41
	v_mov_b32_e32 v112, 0x7f800001
	s_xor_b32 exec_lo, exec_lo, s41
	s_cbranch_execz .LBB2_809
.LBB2_1336:                             ;   in Loop: Header=BB2_783 Depth=2
	v_cmp_ne_u16_sdwa s42, v10, v32 src0_sel:BYTE_1 src1_sel:DWORD
	v_mov_b32_e32 v112, 0
	s_andn2_b32 s13, s13, exec_lo
	s_and_b32 s42, s42, exec_lo
	s_or_b32 s13, s13, s42
	s_or_b32 exec_lo, exec_lo, s41
	s_and_saveexec_b32 s41, s13
	s_cbranch_execnz .LBB2_810
	s_branch .LBB2_811
.LBB2_1337:                             ;   in Loop: Header=BB2_783 Depth=2
	s_or_saveexec_b32 s41, s41
	v_mov_b32_e32 v112, 0x7f800001
	s_xor_b32 exec_lo, exec_lo, s41
	s_cbranch_execz .LBB2_823
.LBB2_1338:                             ;   in Loop: Header=BB2_783 Depth=2
	v_cmp_ne_u16_e32 vcc_lo, 0, v113
	v_mov_b32_e32 v112, 0
	s_andn2_b32 s13, s13, exec_lo
	s_and_b32 s42, vcc_lo, exec_lo
	s_or_b32 s13, s13, s42
	s_or_b32 exec_lo, exec_lo, s41
	s_and_saveexec_b32 s41, s13
	s_cbranch_execnz .LBB2_824
	s_branch .LBB2_825
.LBB2_1339:                             ;   in Loop: Header=BB2_783 Depth=2
	s_or_saveexec_b32 s41, s41
	v_mov_b32_e32 v112, 0x7f800001
	s_xor_b32 exec_lo, exec_lo, s41
	s_cbranch_execz .LBB2_837
.LBB2_1340:                             ;   in Loop: Header=BB2_783 Depth=2
	v_cmp_ne_u16_sdwa s42, v10, v32 src0_sel:BYTE_3 src1_sel:DWORD
	v_mov_b32_e32 v112, 0
	s_andn2_b32 s13, s13, exec_lo
	s_and_b32 s42, s42, exec_lo
	s_or_b32 s13, s13, s42
	s_or_b32 exec_lo, exec_lo, s41
	s_and_saveexec_b32 s41, s13
	s_cbranch_execnz .LBB2_838
	s_branch .LBB2_839
.LBB2_1341:                             ;   in Loop: Header=BB2_783 Depth=2
	s_or_saveexec_b32 s41, s41
	v_mov_b32_e32 v10, 0x7f800001
	s_xor_b32 exec_lo, exec_lo, s41
	s_cbranch_execz .LBB2_851
.LBB2_1342:                             ;   in Loop: Header=BB2_783 Depth=2
	v_cmp_ne_u16_sdwa s42, v11, v32 src0_sel:BYTE_0 src1_sel:DWORD
	v_mov_b32_e32 v10, 0
	s_andn2_b32 s13, s13, exec_lo
	s_and_b32 s42, s42, exec_lo
	s_or_b32 s13, s13, s42
	s_or_b32 exec_lo, exec_lo, s41
	s_and_saveexec_b32 s41, s13
	s_cbranch_execnz .LBB2_852
	s_branch .LBB2_853
.LBB2_1343:                             ;   in Loop: Header=BB2_783 Depth=2
	s_or_saveexec_b32 s41, s41
	v_mov_b32_e32 v10, 0x7f800001
	s_xor_b32 exec_lo, exec_lo, s41
	s_cbranch_execz .LBB2_865
.LBB2_1344:                             ;   in Loop: Header=BB2_783 Depth=2
	v_cmp_ne_u16_sdwa s42, v11, v32 src0_sel:BYTE_1 src1_sel:DWORD
	v_mov_b32_e32 v10, 0
	s_andn2_b32 s13, s13, exec_lo
	s_and_b32 s42, s42, exec_lo
	s_or_b32 s13, s13, s42
	s_or_b32 exec_lo, exec_lo, s41
	s_and_saveexec_b32 s41, s13
	s_cbranch_execnz .LBB2_866
	s_branch .LBB2_867
.LBB2_1345:                             ;   in Loop: Header=BB2_783 Depth=2
	s_or_saveexec_b32 s41, s41
	v_mov_b32_e32 v10, 0x7f800001
	s_xor_b32 exec_lo, exec_lo, s41
	s_cbranch_execz .LBB2_879
.LBB2_1346:                             ;   in Loop: Header=BB2_783 Depth=2
	v_cmp_ne_u16_e32 vcc_lo, 0, v112
	v_mov_b32_e32 v10, 0
	s_andn2_b32 s13, s13, exec_lo
	s_and_b32 s42, vcc_lo, exec_lo
	s_or_b32 s13, s13, s42
	s_or_b32 exec_lo, exec_lo, s41
	s_and_saveexec_b32 s41, s13
	s_cbranch_execnz .LBB2_880
	s_branch .LBB2_881
.LBB2_1347:                             ;   in Loop: Header=BB2_783 Depth=2
	s_or_saveexec_b32 s41, s41
	v_mov_b32_e32 v10, 0x7f800001
	s_xor_b32 exec_lo, exec_lo, s41
	s_cbranch_execz .LBB2_893
.LBB2_1348:                             ;   in Loop: Header=BB2_783 Depth=2
	v_cmp_ne_u16_sdwa s42, v11, v32 src0_sel:BYTE_3 src1_sel:DWORD
	v_mov_b32_e32 v10, 0
	s_andn2_b32 s13, s13, exec_lo
	s_and_b32 s42, s42, exec_lo
	s_or_b32 s13, s13, s42
	s_or_b32 exec_lo, exec_lo, s41
	s_and_saveexec_b32 s41, s13
	s_cbranch_execnz .LBB2_894
	s_branch .LBB2_895
.LBB2_1349:                             ;   in Loop: Header=BB2_783 Depth=2
	s_or_saveexec_b32 s41, s41
	v_mov_b32_e32 v10, 0x7f800001
	s_xor_b32 exec_lo, exec_lo, s41
	s_cbranch_execz .LBB2_907
.LBB2_1350:                             ;   in Loop: Header=BB2_783 Depth=2
	v_cmp_ne_u16_sdwa s42, v12, v32 src0_sel:BYTE_0 src1_sel:DWORD
	v_mov_b32_e32 v10, 0
	s_andn2_b32 s13, s13, exec_lo
	s_and_b32 s42, s42, exec_lo
	s_or_b32 s13, s13, s42
	s_or_b32 exec_lo, exec_lo, s41
	s_and_saveexec_b32 s41, s13
	s_cbranch_execnz .LBB2_908
	s_branch .LBB2_909
.LBB2_1351:                             ;   in Loop: Header=BB2_783 Depth=2
	s_or_saveexec_b32 s41, s41
	v_mov_b32_e32 v10, 0x7f800001
	s_xor_b32 exec_lo, exec_lo, s41
	s_cbranch_execz .LBB2_921
.LBB2_1352:                             ;   in Loop: Header=BB2_783 Depth=2
	v_cmp_ne_u16_sdwa s42, v12, v32 src0_sel:BYTE_1 src1_sel:DWORD
	v_mov_b32_e32 v10, 0
	s_andn2_b32 s13, s13, exec_lo
	s_and_b32 s42, s42, exec_lo
	s_or_b32 s13, s13, s42
	s_or_b32 exec_lo, exec_lo, s41
	s_and_saveexec_b32 s41, s13
	s_cbranch_execnz .LBB2_922
	s_branch .LBB2_923
.LBB2_1353:                             ;   in Loop: Header=BB2_783 Depth=2
	s_or_saveexec_b32 s41, s41
	v_mov_b32_e32 v10, 0x7f800001
	s_xor_b32 exec_lo, exec_lo, s41
	s_cbranch_execz .LBB2_935
.LBB2_1354:                             ;   in Loop: Header=BB2_783 Depth=2
	v_cmp_ne_u16_e32 vcc_lo, 0, v11
	v_mov_b32_e32 v10, 0
	s_andn2_b32 s13, s13, exec_lo
	s_and_b32 s42, vcc_lo, exec_lo
	s_or_b32 s13, s13, s42
	s_or_b32 exec_lo, exec_lo, s41
	s_and_saveexec_b32 s41, s13
	s_cbranch_execnz .LBB2_936
	s_branch .LBB2_937
.LBB2_1355:                             ;   in Loop: Header=BB2_783 Depth=2
	s_or_saveexec_b32 s41, s41
	v_mov_b32_e32 v10, 0x7f800001
	s_xor_b32 exec_lo, exec_lo, s41
	s_cbranch_execz .LBB2_949
.LBB2_1356:                             ;   in Loop: Header=BB2_783 Depth=2
	v_cmp_ne_u16_sdwa s42, v12, v32 src0_sel:BYTE_3 src1_sel:DWORD
	v_mov_b32_e32 v10, 0
	s_andn2_b32 s13, s13, exec_lo
	s_and_b32 s42, s42, exec_lo
	s_or_b32 s13, s13, s42
	s_or_b32 exec_lo, exec_lo, s41
	s_and_saveexec_b32 s41, s13
	s_cbranch_execnz .LBB2_950
	s_branch .LBB2_951
.LBB2_1357:                             ;   in Loop: Header=BB2_783 Depth=2
	s_or_saveexec_b32 s41, s41
	v_mov_b32_e32 v10, 0x7f800001
	s_xor_b32 exec_lo, exec_lo, s41
	s_cbranch_execz .LBB2_963
.LBB2_1358:                             ;   in Loop: Header=BB2_783 Depth=2
	v_cmp_ne_u16_sdwa s42, v13, v32 src0_sel:BYTE_0 src1_sel:DWORD
	v_mov_b32_e32 v10, 0
	s_andn2_b32 s13, s13, exec_lo
	s_and_b32 s42, s42, exec_lo
	s_or_b32 s13, s13, s42
	s_or_b32 exec_lo, exec_lo, s41
	s_and_saveexec_b32 s41, s13
	s_cbranch_execnz .LBB2_964
	s_branch .LBB2_965
.LBB2_1359:                             ;   in Loop: Header=BB2_783 Depth=2
	s_or_saveexec_b32 s41, s41
	v_mov_b32_e32 v10, 0x7f800001
	s_xor_b32 exec_lo, exec_lo, s41
	s_cbranch_execz .LBB2_977
.LBB2_1360:                             ;   in Loop: Header=BB2_783 Depth=2
	v_cmp_ne_u16_sdwa s42, v13, v32 src0_sel:BYTE_1 src1_sel:DWORD
	v_mov_b32_e32 v10, 0
	s_andn2_b32 s13, s13, exec_lo
	s_and_b32 s42, s42, exec_lo
	s_or_b32 s13, s13, s42
	s_or_b32 exec_lo, exec_lo, s41
	s_and_saveexec_b32 s41, s13
	s_cbranch_execnz .LBB2_978
	s_branch .LBB2_979
.LBB2_1361:                             ;   in Loop: Header=BB2_783 Depth=2
	s_or_saveexec_b32 s41, s41
	v_mov_b32_e32 v10, 0x7f800001
	s_xor_b32 exec_lo, exec_lo, s41
	s_cbranch_execz .LBB2_991
.LBB2_1362:                             ;   in Loop: Header=BB2_783 Depth=2
	v_cmp_ne_u16_e32 vcc_lo, 0, v11
	v_mov_b32_e32 v10, 0
	s_andn2_b32 s13, s13, exec_lo
	s_and_b32 s42, vcc_lo, exec_lo
	s_or_b32 s13, s13, s42
	s_or_b32 exec_lo, exec_lo, s41
	s_and_saveexec_b32 s41, s13
	s_cbranch_execnz .LBB2_992
	s_branch .LBB2_993
.LBB2_1363:                             ;   in Loop: Header=BB2_783 Depth=2
	s_or_saveexec_b32 s41, s41
	v_mov_b32_e32 v10, 0x7f800001
	s_xor_b32 exec_lo, exec_lo, s41
	s_cbranch_execz .LBB2_1005
.LBB2_1364:                             ;   in Loop: Header=BB2_783 Depth=2
	v_cmp_ne_u16_sdwa s42, v13, v32 src0_sel:BYTE_3 src1_sel:DWORD
	v_mov_b32_e32 v10, 0
	s_andn2_b32 s13, s13, exec_lo
	s_and_b32 s42, s42, exec_lo
	s_or_b32 s13, s13, s42
	s_or_b32 exec_lo, exec_lo, s41
	s_and_saveexec_b32 s41, s13
	s_cbranch_execnz .LBB2_1006
	s_branch .LBB2_1007
.LBB2_1365:                             ;   in Loop: Header=BB2_783 Depth=2
	s_or_saveexec_b32 s40, s40
	v_mov_b32_e32 v103, 0x7f800001
	s_xor_b32 exec_lo, exec_lo, s40
	s_cbranch_execz .LBB2_1019
.LBB2_1366:                             ;   in Loop: Header=BB2_783 Depth=2
	v_cmp_ne_u16_sdwa s41, v47, v32 src0_sel:BYTE_0 src1_sel:DWORD
	v_mov_b32_e32 v103, 0
	s_andn2_b32 s13, s13, exec_lo
	s_and_b32 s41, s41, exec_lo
	s_or_b32 s13, s13, s41
	s_or_b32 exec_lo, exec_lo, s40
	s_and_saveexec_b32 s40, s13
	s_cbranch_execnz .LBB2_1020
	s_branch .LBB2_1021
.LBB2_1367:                             ;   in Loop: Header=BB2_783 Depth=2
	s_or_saveexec_b32 s40, s40
	v_mov_b32_e32 v114, 0x7f800001
	s_xor_b32 exec_lo, exec_lo, s40
	s_cbranch_execz .LBB2_1025
.LBB2_1368:                             ;   in Loop: Header=BB2_783 Depth=2
	v_cmp_ne_u16_sdwa s41, v10, v32 src0_sel:BYTE_0 src1_sel:DWORD
	v_mov_b32_e32 v114, 0
	s_andn2_b32 s13, s13, exec_lo
	s_and_b32 s41, s41, exec_lo
	s_or_b32 s13, s13, s41
	s_or_b32 exec_lo, exec_lo, s40
	s_and_saveexec_b32 s40, s13
	s_cbranch_execnz .LBB2_1026
	s_branch .LBB2_1027
.LBB2_1369:                             ;   in Loop: Header=BB2_783 Depth=2
	s_or_saveexec_b32 s40, s40
	v_mov_b32_e32 v114, 0x7f800001
	s_xor_b32 exec_lo, exec_lo, s40
	s_cbranch_execz .LBB2_1039
.LBB2_1370:                             ;   in Loop: Header=BB2_783 Depth=2
	v_cmp_ne_u16_sdwa s41, v47, v32 src0_sel:BYTE_1 src1_sel:DWORD
	v_mov_b32_e32 v114, 0
	s_andn2_b32 s13, s13, exec_lo
	s_and_b32 s41, s41, exec_lo
	s_or_b32 s13, s13, s41
	s_or_b32 exec_lo, exec_lo, s40
	s_and_saveexec_b32 s40, s13
	s_cbranch_execnz .LBB2_1040
	s_branch .LBB2_1041
.LBB2_1371:                             ;   in Loop: Header=BB2_783 Depth=2
	s_or_saveexec_b32 s40, s40
	v_mov_b32_e32 v56, 0x7f800001
	s_xor_b32 exec_lo, exec_lo, s40
	s_cbranch_execz .LBB2_1045
.LBB2_1372:                             ;   in Loop: Header=BB2_783 Depth=2
	v_cmp_ne_u16_sdwa s41, v10, v32 src0_sel:BYTE_1 src1_sel:DWORD
	v_mov_b32_e32 v56, 0
	s_andn2_b32 s13, s13, exec_lo
	s_and_b32 s41, s41, exec_lo
	s_or_b32 s13, s13, s41
	s_or_b32 exec_lo, exec_lo, s40
	s_and_saveexec_b32 s40, s13
	s_cbranch_execnz .LBB2_1046
	s_branch .LBB2_1047
.LBB2_1373:                             ;   in Loop: Header=BB2_783 Depth=2
	s_or_saveexec_b32 s40, s40
	v_mov_b32_e32 v119, 0x7f800001
	s_xor_b32 exec_lo, exec_lo, s40
	s_cbranch_execz .LBB2_1059
.LBB2_1374:                             ;   in Loop: Header=BB2_783 Depth=2
	v_cmp_ne_u16_sdwa s41, v46, v32 src0_sel:BYTE_0 src1_sel:DWORD
	v_mov_b32_e32 v119, 0
	s_andn2_b32 s13, s13, exec_lo
	s_and_b32 s41, s41, exec_lo
	s_or_b32 s13, s13, s41
	s_or_b32 exec_lo, exec_lo, s40
	v_lshl_or_b32 v46, v46, 16, v47
	s_and_saveexec_b32 s40, s13
	s_cbranch_execnz .LBB2_1060
	s_branch .LBB2_1061
.LBB2_1375:                             ;   in Loop: Header=BB2_783 Depth=2
	s_or_saveexec_b32 s40, s40
	v_mov_b32_e32 v47, 0x7f800001
	s_xor_b32 exec_lo, exec_lo, s40
	s_cbranch_execz .LBB2_1065
.LBB2_1376:                             ;   in Loop: Header=BB2_783 Depth=2
	v_cmp_ne_u16_e32 vcc_lo, 0, v56
	v_mov_b32_e32 v47, 0
	s_andn2_b32 s13, s13, exec_lo
	s_and_b32 s41, vcc_lo, exec_lo
	s_or_b32 s13, s13, s41
	s_or_b32 exec_lo, exec_lo, s40
	s_and_saveexec_b32 s40, s13
	s_cbranch_execnz .LBB2_1066
	s_branch .LBB2_1067
.LBB2_1377:                             ;   in Loop: Header=BB2_783 Depth=2
	s_or_saveexec_b32 s40, s40
	v_mov_b32_e32 v47, 0x7f800001
	s_xor_b32 exec_lo, exec_lo, s40
	s_cbranch_execz .LBB2_1079
.LBB2_1378:                             ;   in Loop: Header=BB2_783 Depth=2
	v_cmp_ne_u16_sdwa s41, v46, v32 src0_sel:BYTE_3 src1_sel:DWORD
	v_mov_b32_e32 v47, 0
	s_andn2_b32 s13, s13, exec_lo
	s_and_b32 s41, s41, exec_lo
	s_or_b32 s13, s13, s41
	s_or_b32 exec_lo, exec_lo, s40
	s_and_saveexec_b32 s40, s13
	s_cbranch_execnz .LBB2_1080
	s_branch .LBB2_1081
.LBB2_1379:                             ;   in Loop: Header=BB2_783 Depth=2
	s_or_saveexec_b32 s40, s40
	v_mov_b32_e32 v46, 0x7f800001
	s_xor_b32 exec_lo, exec_lo, s40
	s_cbranch_execz .LBB2_1085
.LBB2_1380:                             ;   in Loop: Header=BB2_783 Depth=2
	v_cmp_ne_u16_sdwa s41, v10, v32 src0_sel:BYTE_3 src1_sel:DWORD
	v_mov_b32_e32 v46, 0
	s_andn2_b32 s13, s13, exec_lo
	s_and_b32 s41, s41, exec_lo
	s_or_b32 s13, s13, s41
	s_or_b32 exec_lo, exec_lo, s40
	s_and_saveexec_b32 s40, s13
	s_cbranch_execnz .LBB2_1086
	s_branch .LBB2_1087
.LBB2_1381:                             ;   in Loop: Header=BB2_783 Depth=2
	s_or_saveexec_b32 s40, s40
	v_mov_b32_e32 v43, 0x7f800001
	s_xor_b32 exec_lo, exec_lo, s40
	s_cbranch_execz .LBB2_1099
.LBB2_1382:                             ;   in Loop: Header=BB2_783 Depth=2
	v_cmp_ne_u16_sdwa s41, v46, v32 src0_sel:BYTE_0 src1_sel:DWORD
	v_mov_b32_e32 v43, 0
	s_andn2_b32 s13, s13, exec_lo
	s_and_b32 s41, s41, exec_lo
	s_or_b32 s13, s13, s41
	s_or_b32 exec_lo, exec_lo, s40
	s_and_saveexec_b32 s40, s13
	s_cbranch_execnz .LBB2_1100
	s_branch .LBB2_1101
.LBB2_1383:                             ;   in Loop: Header=BB2_783 Depth=2
	s_or_saveexec_b32 s40, s40
	v_mov_b32_e32 v45, 0x7f800001
	s_xor_b32 exec_lo, exec_lo, s40
	s_cbranch_execz .LBB2_1105
.LBB2_1384:                             ;   in Loop: Header=BB2_783 Depth=2
	v_cmp_ne_u16_sdwa s41, v11, v32 src0_sel:BYTE_0 src1_sel:DWORD
	v_mov_b32_e32 v45, 0
	s_andn2_b32 s13, s13, exec_lo
	s_and_b32 s41, s41, exec_lo
	s_or_b32 s13, s13, s41
	s_or_b32 exec_lo, exec_lo, s40
	s_and_saveexec_b32 s40, s13
	s_cbranch_execnz .LBB2_1106
	s_branch .LBB2_1107
.LBB2_1385:                             ;   in Loop: Header=BB2_783 Depth=2
	s_or_saveexec_b32 s40, s40
	v_mov_b32_e32 v45, 0x7f800001
	s_xor_b32 exec_lo, exec_lo, s40
	s_cbranch_execz .LBB2_1119
.LBB2_1386:                             ;   in Loop: Header=BB2_783 Depth=2
	v_cmp_ne_u16_sdwa s41, v46, v32 src0_sel:BYTE_1 src1_sel:DWORD
	v_mov_b32_e32 v45, 0
	s_andn2_b32 s13, s13, exec_lo
	s_and_b32 s41, s41, exec_lo
	s_or_b32 s13, s13, s41
	s_or_b32 exec_lo, exec_lo, s40
	s_and_saveexec_b32 s40, s13
	s_cbranch_execnz .LBB2_1120
	s_branch .LBB2_1121
.LBB2_1387:                             ;   in Loop: Header=BB2_783 Depth=2
	s_or_saveexec_b32 s40, s40
	v_mov_b32_e32 v47, 0x7f800001
	s_xor_b32 exec_lo, exec_lo, s40
	s_cbranch_execz .LBB2_1125
.LBB2_1388:                             ;   in Loop: Header=BB2_783 Depth=2
	v_cmp_ne_u16_sdwa s41, v11, v32 src0_sel:BYTE_1 src1_sel:DWORD
	v_mov_b32_e32 v47, 0
	s_andn2_b32 s13, s13, exec_lo
	s_and_b32 s41, s41, exec_lo
	s_or_b32 s13, s13, s41
	s_or_b32 exec_lo, exec_lo, s40
	s_and_saveexec_b32 s40, s13
	s_cbranch_execnz .LBB2_1126
	s_branch .LBB2_1127
.LBB2_1389:                             ;   in Loop: Header=BB2_783 Depth=2
	s_or_saveexec_b32 s40, s40
	v_mov_b32_e32 v41, 0x7f800001
	s_xor_b32 exec_lo, exec_lo, s40
	s_cbranch_execz .LBB2_1139
.LBB2_1390:                             ;   in Loop: Header=BB2_783 Depth=2
	v_cmp_ne_u16_sdwa s41, v44, v32 src0_sel:BYTE_0 src1_sel:DWORD
	v_mov_b32_e32 v41, 0
	s_andn2_b32 s13, s13, exec_lo
	s_and_b32 s41, s41, exec_lo
	s_or_b32 s13, s13, s41
	s_or_b32 exec_lo, exec_lo, s40
	v_lshl_or_b32 v44, v44, 16, v46
	s_and_saveexec_b32 s40, s13
	s_cbranch_execnz .LBB2_1140
	s_branch .LBB2_1141
.LBB2_1391:                             ;   in Loop: Header=BB2_783 Depth=2
	s_or_saveexec_b32 s40, s40
	v_mov_b32_e32 v46, 0x7f800001
	s_xor_b32 exec_lo, exec_lo, s40
	s_cbranch_execz .LBB2_1145
.LBB2_1392:                             ;   in Loop: Header=BB2_783 Depth=2
	v_cmp_ne_u16_e32 vcc_lo, 0, v47
	v_mov_b32_e32 v46, 0
	s_andn2_b32 s13, s13, exec_lo
	s_and_b32 s41, vcc_lo, exec_lo
	s_or_b32 s13, s13, s41
	s_or_b32 exec_lo, exec_lo, s40
	s_and_saveexec_b32 s40, s13
	s_cbranch_execnz .LBB2_1146
	s_branch .LBB2_1147
.LBB2_1393:                             ;   in Loop: Header=BB2_783 Depth=2
	s_or_saveexec_b32 s40, s40
	v_mov_b32_e32 v46, 0x7f800001
	s_xor_b32 exec_lo, exec_lo, s40
	s_cbranch_execz .LBB2_1159
.LBB2_1394:                             ;   in Loop: Header=BB2_783 Depth=2
	v_cmp_ne_u16_sdwa s41, v44, v32 src0_sel:BYTE_3 src1_sel:DWORD
	v_mov_b32_e32 v46, 0
	s_andn2_b32 s13, s13, exec_lo
	s_and_b32 s41, s41, exec_lo
	s_or_b32 s13, s13, s41
	s_or_b32 exec_lo, exec_lo, s40
	s_and_saveexec_b32 s40, s13
	s_cbranch_execnz .LBB2_1160
	s_branch .LBB2_1161
.LBB2_1395:                             ;   in Loop: Header=BB2_783 Depth=2
	s_or_saveexec_b32 s40, s40
	v_mov_b32_e32 v44, 0x7f800001
	s_xor_b32 exec_lo, exec_lo, s40
	s_cbranch_execz .LBB2_1165
.LBB2_1396:                             ;   in Loop: Header=BB2_783 Depth=2
	v_cmp_ne_u16_sdwa s41, v11, v32 src0_sel:BYTE_3 src1_sel:DWORD
	v_mov_b32_e32 v44, 0
	s_andn2_b32 s13, s13, exec_lo
	s_and_b32 s41, s41, exec_lo
	s_or_b32 s13, s13, s41
	s_or_b32 exec_lo, exec_lo, s40
	s_and_saveexec_b32 s40, s13
	s_cbranch_execnz .LBB2_1166
	s_branch .LBB2_1167
.LBB2_1397:                             ;   in Loop: Header=BB2_783 Depth=2
	s_or_saveexec_b32 s40, s40
	v_mov_b32_e32 v118, 0x7f800001
	s_xor_b32 exec_lo, exec_lo, s40
	s_cbranch_execz .LBB2_1179
.LBB2_1398:                             ;   in Loop: Header=BB2_783 Depth=2
	v_cmp_ne_u16_sdwa s41, v44, v32 src0_sel:BYTE_0 src1_sel:DWORD
	v_mov_b32_e32 v118, 0
	s_andn2_b32 s13, s13, exec_lo
	s_and_b32 s41, s41, exec_lo
	s_or_b32 s13, s13, s41
	s_or_b32 exec_lo, exec_lo, s40
	s_and_saveexec_b32 s40, s13
	s_cbranch_execnz .LBB2_1180
	s_branch .LBB2_1181
.LBB2_1399:                             ;   in Loop: Header=BB2_783 Depth=2
	s_or_saveexec_b32 s40, s40
	v_mov_b32_e32 v42, 0x7f800001
	s_xor_b32 exec_lo, exec_lo, s40
	s_cbranch_execz .LBB2_1185
.LBB2_1400:                             ;   in Loop: Header=BB2_783 Depth=2
	v_cmp_ne_u16_sdwa s41, v12, v32 src0_sel:BYTE_0 src1_sel:DWORD
	v_mov_b32_e32 v42, 0
	s_andn2_b32 s13, s13, exec_lo
	s_and_b32 s41, s41, exec_lo
	s_or_b32 s13, s13, s41
	s_or_b32 exec_lo, exec_lo, s40
	s_and_saveexec_b32 s40, s13
	s_cbranch_execnz .LBB2_1186
	s_branch .LBB2_1187
.LBB2_1401:                             ;   in Loop: Header=BB2_783 Depth=2
	s_or_saveexec_b32 s40, s40
	v_mov_b32_e32 v42, 0x7f800001
	s_xor_b32 exec_lo, exec_lo, s40
	s_cbranch_execz .LBB2_1199
.LBB2_1402:                             ;   in Loop: Header=BB2_783 Depth=2
	v_cmp_ne_u16_sdwa s41, v44, v32 src0_sel:BYTE_1 src1_sel:DWORD
	v_mov_b32_e32 v42, 0
	s_andn2_b32 s13, s13, exec_lo
	s_and_b32 s41, s41, exec_lo
	s_or_b32 s13, s13, s41
	s_or_b32 exec_lo, exec_lo, s40
	s_and_saveexec_b32 s40, s13
	s_cbranch_execnz .LBB2_1200
	s_branch .LBB2_1201
.LBB2_1403:                             ;   in Loop: Header=BB2_783 Depth=2
	s_or_saveexec_b32 s40, s40
	v_mov_b32_e32 v46, 0x7f800001
	s_xor_b32 exec_lo, exec_lo, s40
	s_cbranch_execz .LBB2_1205
.LBB2_1404:                             ;   in Loop: Header=BB2_783 Depth=2
	v_cmp_ne_u16_sdwa s41, v12, v32 src0_sel:BYTE_1 src1_sel:DWORD
	v_mov_b32_e32 v46, 0
	s_andn2_b32 s13, s13, exec_lo
	s_and_b32 s41, s41, exec_lo
	s_or_b32 s13, s13, s41
	s_or_b32 exec_lo, exec_lo, s40
	s_and_saveexec_b32 s40, s13
	s_cbranch_execnz .LBB2_1206
	s_branch .LBB2_1207
.LBB2_1405:                             ;   in Loop: Header=BB2_783 Depth=2
	s_or_saveexec_b32 s40, s40
	v_mov_b32_e32 v116, 0x7f800001
	s_xor_b32 exec_lo, exec_lo, s40
	s_cbranch_execz .LBB2_1219
.LBB2_1406:                             ;   in Loop: Header=BB2_783 Depth=2
	v_cmp_ne_u16_sdwa s41, v40, v32 src0_sel:BYTE_0 src1_sel:DWORD
	v_mov_b32_e32 v116, 0
	s_andn2_b32 s13, s13, exec_lo
	s_and_b32 s41, s41, exec_lo
	s_or_b32 s13, s13, s41
	s_or_b32 exec_lo, exec_lo, s40
	v_lshl_or_b32 v40, v40, 16, v44
	s_and_saveexec_b32 s40, s13
	s_cbranch_execnz .LBB2_1220
	s_branch .LBB2_1221
.LBB2_1407:                             ;   in Loop: Header=BB2_783 Depth=2
	s_or_saveexec_b32 s40, s40
	v_mov_b32_e32 v44, 0x7f800001
	s_xor_b32 exec_lo, exec_lo, s40
	s_cbranch_execz .LBB2_1225
.LBB2_1408:                             ;   in Loop: Header=BB2_783 Depth=2
	v_cmp_ne_u16_e32 vcc_lo, 0, v46
	v_mov_b32_e32 v44, 0
	s_andn2_b32 s13, s13, exec_lo
	s_and_b32 s41, vcc_lo, exec_lo
	s_or_b32 s13, s13, s41
	s_or_b32 exec_lo, exec_lo, s40
	s_and_saveexec_b32 s40, s13
	s_cbranch_execnz .LBB2_1226
	s_branch .LBB2_1227
.LBB2_1409:                             ;   in Loop: Header=BB2_783 Depth=2
	s_or_saveexec_b32 s40, s40
	v_mov_b32_e32 v44, 0x7f800001
	s_xor_b32 exec_lo, exec_lo, s40
	s_cbranch_execz .LBB2_1239
.LBB2_1410:                             ;   in Loop: Header=BB2_783 Depth=2
	v_cmp_ne_u16_sdwa s41, v40, v32 src0_sel:BYTE_3 src1_sel:DWORD
	v_mov_b32_e32 v44, 0
	s_andn2_b32 s13, s13, exec_lo
	s_and_b32 s41, s41, exec_lo
	s_or_b32 s13, s13, s41
	s_or_b32 exec_lo, exec_lo, s40
	s_and_saveexec_b32 s40, s13
	s_cbranch_execnz .LBB2_1240
	s_branch .LBB2_1241
.LBB2_1411:                             ;   in Loop: Header=BB2_783 Depth=2
	s_or_saveexec_b32 s40, s40
	v_mov_b32_e32 v40, 0x7f800001
	s_xor_b32 exec_lo, exec_lo, s40
	s_cbranch_execz .LBB2_1245
.LBB2_1412:                             ;   in Loop: Header=BB2_783 Depth=2
	v_cmp_ne_u16_sdwa s41, v12, v32 src0_sel:BYTE_3 src1_sel:DWORD
	v_mov_b32_e32 v40, 0
	s_andn2_b32 s13, s13, exec_lo
	s_and_b32 s41, s41, exec_lo
	s_or_b32 s13, s13, s41
	s_or_b32 exec_lo, exec_lo, s40
	s_and_saveexec_b32 s40, s13
	s_cbranch_execnz .LBB2_1246
	s_branch .LBB2_1247
.LBB2_1413:                             ;   in Loop: Header=BB2_783 Depth=2
	s_or_saveexec_b32 s40, s40
	v_mov_b32_e32 v113, 0x7f800001
	s_xor_b32 exec_lo, exec_lo, s40
	s_cbranch_execz .LBB2_1259
.LBB2_1414:                             ;   in Loop: Header=BB2_783 Depth=2
	v_cmp_ne_u16_sdwa s41, v117, v32 src0_sel:BYTE_0 src1_sel:DWORD
	v_mov_b32_e32 v113, 0
	s_andn2_b32 s13, s13, exec_lo
	s_and_b32 s41, s41, exec_lo
	s_or_b32 s13, s13, s41
	s_or_b32 exec_lo, exec_lo, s40
	s_and_saveexec_b32 s40, s13
	s_cbranch_execnz .LBB2_1260
	s_branch .LBB2_1261
.LBB2_1415:                             ;   in Loop: Header=BB2_783 Depth=2
	s_or_saveexec_b32 s40, s40
	v_mov_b32_e32 v40, 0x7f800001
	s_xor_b32 exec_lo, exec_lo, s40
	s_cbranch_execz .LBB2_1265
.LBB2_1416:                             ;   in Loop: Header=BB2_783 Depth=2
	v_cmp_ne_u16_sdwa s41, v13, v32 src0_sel:BYTE_0 src1_sel:DWORD
	v_mov_b32_e32 v40, 0
	s_andn2_b32 s13, s13, exec_lo
	s_and_b32 s41, s41, exec_lo
	s_or_b32 s13, s13, s41
	s_or_b32 exec_lo, exec_lo, s40
	s_and_saveexec_b32 s40, s13
	s_cbranch_execnz .LBB2_1266
	s_branch .LBB2_1267
.LBB2_1417:                             ;   in Loop: Header=BB2_783 Depth=2
	s_or_saveexec_b32 s40, s40
	v_mov_b32_e32 v40, 0x7f800001
	s_xor_b32 exec_lo, exec_lo, s40
	s_cbranch_execz .LBB2_1279
.LBB2_1418:                             ;   in Loop: Header=BB2_783 Depth=2
	v_cmp_ne_u16_sdwa s41, v117, v32 src0_sel:BYTE_1 src1_sel:DWORD
	v_mov_b32_e32 v40, 0
	s_andn2_b32 s13, s13, exec_lo
	s_and_b32 s41, s41, exec_lo
	s_or_b32 s13, s13, s41
	s_or_b32 exec_lo, exec_lo, s40
	s_and_saveexec_b32 s40, s13
	s_cbranch_execnz .LBB2_1280
	s_branch .LBB2_1281
.LBB2_1419:                             ;   in Loop: Header=BB2_783 Depth=2
	s_or_saveexec_b32 s40, s40
	v_mov_b32_e32 v44, 0x7f800001
	s_xor_b32 exec_lo, exec_lo, s40
	s_cbranch_execz .LBB2_1285
.LBB2_1420:                             ;   in Loop: Header=BB2_783 Depth=2
	v_cmp_ne_u16_sdwa s41, v13, v32 src0_sel:BYTE_1 src1_sel:DWORD
	v_mov_b32_e32 v44, 0
	s_andn2_b32 s13, s13, exec_lo
	s_and_b32 s41, s41, exec_lo
	s_or_b32 s13, s13, s41
	s_or_b32 exec_lo, exec_lo, s40
	s_and_saveexec_b32 s40, s13
	s_cbranch_execnz .LBB2_1286
	s_branch .LBB2_1287
.LBB2_1421:                             ;   in Loop: Header=BB2_783 Depth=2
	s_or_saveexec_b32 s40, s40
	v_mov_b32_e32 v112, 0x7f800001
	s_xor_b32 exec_lo, exec_lo, s40
	s_cbranch_execz .LBB2_1299
.LBB2_1422:                             ;   in Loop: Header=BB2_783 Depth=2
	v_cmp_ne_u16_sdwa s41, v115, v32 src0_sel:BYTE_0 src1_sel:DWORD
	v_mov_b32_e32 v112, 0
	s_andn2_b32 s13, s13, exec_lo
	s_and_b32 s41, s41, exec_lo
	s_or_b32 s13, s13, s41
	s_or_b32 exec_lo, exec_lo, s40
	v_lshl_or_b32 v115, v115, 16, v117
	s_and_saveexec_b32 s40, s13
	s_cbranch_execnz .LBB2_1300
	s_branch .LBB2_1301
.LBB2_1423:                             ;   in Loop: Header=BB2_783 Depth=2
	s_or_saveexec_b32 s40, s40
	v_mov_b32_e32 v117, 0x7f800001
	s_xor_b32 exec_lo, exec_lo, s40
	s_cbranch_execz .LBB2_1305
.LBB2_1424:                             ;   in Loop: Header=BB2_783 Depth=2
	v_cmp_ne_u16_e32 vcc_lo, 0, v44
	v_mov_b32_e32 v117, 0
	s_andn2_b32 s13, s13, exec_lo
	s_and_b32 s41, vcc_lo, exec_lo
	s_or_b32 s13, s13, s41
	s_or_b32 exec_lo, exec_lo, s40
	s_and_saveexec_b32 s40, s13
	s_cbranch_execnz .LBB2_1306
	s_branch .LBB2_1307
.LBB2_1425:                             ;   in Loop: Header=BB2_783 Depth=2
	s_or_saveexec_b32 s40, s40
	v_mov_b32_e32 v117, 0x7f800001
	s_xor_b32 exec_lo, exec_lo, s40
	s_cbranch_execz .LBB2_1319
.LBB2_1426:                             ;   in Loop: Header=BB2_783 Depth=2
	v_cmp_ne_u16_sdwa s41, v115, v32 src0_sel:BYTE_3 src1_sel:DWORD
	v_mov_b32_e32 v117, 0
	s_andn2_b32 s13, s13, exec_lo
	s_and_b32 s41, s41, exec_lo
	s_or_b32 s13, s13, s41
	s_or_b32 exec_lo, exec_lo, s40
	s_and_saveexec_b32 s40, s13
	s_cbranch_execnz .LBB2_1320
	s_branch .LBB2_1321
.LBB2_1427:                             ;   in Loop: Header=BB2_783 Depth=2
	s_or_saveexec_b32 s40, s40
	v_mov_b32_e32 v115, 0x7f800001
	s_xor_b32 exec_lo, exec_lo, s40
	s_cbranch_execz .LBB2_1325
.LBB2_1428:                             ;   in Loop: Header=BB2_783 Depth=2
	v_cmp_ne_u16_sdwa s41, v13, v32 src0_sel:BYTE_3 src1_sel:DWORD
	v_mov_b32_e32 v115, 0
	s_andn2_b32 s13, s13, exec_lo
	s_and_b32 s41, s41, exec_lo
	s_or_b32 s13, s13, s41
	s_or_b32 exec_lo, exec_lo, s40
	s_and_saveexec_b32 s40, s13
	s_cbranch_execnz .LBB2_1326
	s_branch .LBB2_1327
.LBB2_1429:                             ;   in Loop: Header=BB2_49 Depth=1
	s_or_b32 exec_lo, exec_lo, s27
.LBB2_1430:                             ;   in Loop: Header=BB2_49 Depth=1
	s_or_b32 exec_lo, exec_lo, s26
	v_cmp_lt_i32_e32 vcc_lo, 0, v101
	s_mov_b32 s26, exec_lo
	v_cndmask_b32_e32 v10, 0, v68, vcc_lo
	v_sub_nc_u32_e32 v10, v10, v101
	v_lshl_add_u32 v50, v10, 5, v100
.LBB2_1431:                             ;   in Loop: Header=BB2_49 Depth=1
	s_or_b32 exec_lo, exec_lo, s14
	s_and_saveexec_b32 s14, s26
	s_cbranch_execz .LBB2_1816
.LBB2_1432:                             ;   in Loop: Header=BB2_49 Depth=1
	v_ashrrev_i32_e32 v10, 31, v50
	v_lshrrev_b32_e32 v11, 8, v99
	s_mov_b32 s26, exec_lo
	v_lshrrev_b32_e32 v10, 27, v10
	v_add_nc_u32_e32 v10, v50, v10
	v_ashrrev_i32_e32 v51, 5, v10
	v_sub_nc_u32_e32 v52, v11, v51
	v_cmpx_lt_i32_e32 0, v52
	s_cbranch_execz .LBB2_1764
; %bb.1433:                             ;   in Loop: Header=BB2_49 Depth=1
	v_and_b32_e32 v10, 0xffffffe0, v10
	s_trap 2
	ds_read_b64 v[12:13], v0
	v_lshlrev_b32_e32 v11, 8, v51
	v_add_co_u32 v48, vcc_lo, 0xe0, v48
	v_sub_nc_u32_e32 v10, v50, v10
	v_add_co_ci_u32_e64 v49, null, 0, v49, vcc_lo
	s_mov_b32 s27, 0
	v_add3_u32 v53, v98, v10, v11
	v_ashrrev_i32_e32 v54, 31, v53
	v_add_co_u32 v10, vcc_lo, v53, v38
	v_add_co_ci_u32_e64 v11, null, v54, v39, vcc_lo
	s_waitcnt lgkmcnt(0)
	v_add_co_u32 v12, vcc_lo, v12, v53
	v_add_co_ci_u32_e64 v13, null, v13, v54, vcc_lo
	v_add_co_u32 v38, vcc_lo, v48, v53
	v_add_co_ci_u32_e64 v39, null, v49, v54, vcc_lo
	s_branch .LBB2_1437
.LBB2_1434:                             ;   in Loop: Header=BB2_1437 Depth=2
	s_or_b32 exec_lo, exec_lo, s13
	v_lshrrev_b32_e32 v100, 20, v100
	v_cmp_gt_i32_e32 vcc_lo, 16, v49
	v_min_i32_e32 v113, 15, v49
	v_and_b32_sdwa v48, v48, v85 dst_sel:DWORD dst_unused:UNUSED_PAD src0_sel:BYTE_3 src1_sel:DWORD
	v_cndmask_b32_e32 v100, 7, v100, vcc_lo
	v_lshlrev_b32_e32 v113, 3, v113
	v_and_b32_e32 v114, 7, v100
	v_or_b32_e32 v49, v49, v100
	v_or3_b32 v48, v113, v48, v114
	v_cmp_ne_u32_e32 vcc_lo, 0, v49
	v_cndmask_b32_e32 v49, 0, v48, vcc_lo
.LBB2_1435:                             ;   in Loop: Header=BB2_1437 Depth=2
	s_or_b32 exec_lo, exec_lo, s29
.LBB2_1436:                             ;   in Loop: Header=BB2_1437 Depth=2
	s_or_b32 exec_lo, exec_lo, s28
	v_add_co_u32 v113, vcc_lo, 0xffffff20, v38
	v_add_co_ci_u32_e64 v114, null, -1, v39, vcc_lo
	v_add_co_u32 v115, vcc_lo, 0xffffff40, v38
	v_add_co_ci_u32_e64 v116, null, -1, v39, vcc_lo
	flat_store_byte v[113:114], v53 glc slc
	flat_store_byte v[115:116], v103 glc slc
	v_add_co_u32 v113, vcc_lo, 0xffffff60, v38
	v_add_co_ci_u32_e64 v114, null, -1, v39, vcc_lo
	v_add_co_u32 v115, vcc_lo, 0xffffff80, v38
	v_add_co_ci_u32_e64 v116, null, -1, v39, vcc_lo
	;; [unrolled: 2-line block ×4, first 2 shown]
	v_add_co_u32 v42, vcc_lo, 0xffffffe0, v38
	v_sub_nc_u32_e32 v52, v52, v68
	v_add_co_ci_u32_e64 v43, null, -1, v39, vcc_lo
	v_add_co_u32 v10, vcc_lo, v10, v80
	v_add_co_ci_u32_e64 v11, null, 0, v11, vcc_lo
	v_add_co_u32 v12, vcc_lo, v12, v80
	flat_store_byte v[113:114], v112 glc slc
	flat_store_byte v[115:116], v102 glc slc
	;; [unrolled: 1-line block ×6, first 2 shown]
	v_add_co_ci_u32_e64 v13, null, 0, v13, vcc_lo
	v_cmp_gt_i32_e32 vcc_lo, 1, v52
	v_add_co_u32 v38, s13, v38, v80
	v_add_co_ci_u32_e64 v39, null, 0, v39, s13
	s_or_b32 s27, vcc_lo, s27
	s_andn2_b32 exec_lo, exec_lo, s27
	s_cbranch_execz .LBB2_1763
.LBB2_1437:                             ;   Parent Loop BB2_49 Depth=1
                                        ; =>  This Inner Loop Header: Depth=2
	s_trap 2
	ds_read_b64 v[48:49], v0
	s_waitcnt lgkmcnt(0)
	v_readfirstlane_b32 s13, v48
	s_and_b32 s28, s13, 0xff
	s_cmpk_lt_i32 s28, 0x80
	s_cbranch_scc1 .LBB2_1441
; %bb.1438:                             ;   in Loop: Header=BB2_1437 Depth=2
	s_and_b32 s29, 0xffff, s28
	s_cmpk_eq_i32 s29, 0x80
	s_mov_b32 s29, -1
	s_cbranch_scc0 .LBB2_1440
; %bb.1439:                             ;   in Loop: Header=BB2_1437 Depth=2
	s_mov_b32 s29, 0
.LBB2_1440:                             ;   in Loop: Header=BB2_1437 Depth=2
	s_mov_b32 s40, 0x7f800001
	s_branch .LBB2_1443
.LBB2_1441:                             ;   in Loop: Header=BB2_1437 Depth=2
	s_mov_b32 s29, 0
	s_mov_b32 s40, 0x7f800001
	s_cbranch_execz .LBB2_1443
; %bb.1442:                             ;   in Loop: Header=BB2_1437 Depth=2
	s_and_b32 s28, 0xffff, s28
	s_mov_b32 s40, 0
	s_cmp_lg_u32 s28, 0
	s_cselect_b32 s29, -1, 0
.LBB2_1443:                             ;   in Loop: Header=BB2_1437 Depth=2
	v_mov_b32_e32 v49, s40
	s_andn2_b32 vcc_lo, exec_lo, s29
	s_cbranch_vccnz .LBB2_1445
; %bb.1444:                             ;   in Loop: Header=BB2_1437 Depth=2
	s_and_b32 s28, s13, 7
	s_bfe_u32 s40, s13, 0x40003
	s_flbit_i32_b32 s29, s28
	v_lshlrev_b32_e32 v48, 24, v48
	s_min_u32 s29, s29, 32
	s_sub_i32 s41, s29, 28
	s_sub_i32 s29, 29, s29
	s_lshl_b32 s13, s13, s41
	v_and_b32_e32 v48, 0x80000000, v48
	s_and_b32 s13, s13, 7
	s_cmp_eq_u32 s40, 0
	s_cselect_b32 s29, s29, s40
	s_cselect_b32 s13, s13, s28
	s_lshl_b32 s28, s29, 23
	s_lshl_b32 s13, s13, 20
	s_add_i32 s28, s28, 0x3b800000
	v_or_b32_e32 v48, s28, v48
	v_or_b32_e32 v49, s13, v48
.LBB2_1445:                             ;   in Loop: Header=BB2_1437 Depth=2
	flat_load_ubyte v48, v[10:11] slc
	s_mov_b32 s13, 0
	s_mov_b32 s28, exec_lo
	s_waitcnt vmcnt(0) lgkmcnt(0)
	v_cmpx_lt_i16_e32 0x7f, v48
	s_xor_b32 s28, exec_lo, s28
	s_cbranch_execz .LBB2_1715
; %bb.1446:                             ;   in Loop: Header=BB2_1437 Depth=2
	s_mov_b32 s13, -1
	s_mov_b32 s29, exec_lo
	v_cmpx_eq_u16_e32 0x80, v48
; %bb.1447:                             ;   in Loop: Header=BB2_1437 Depth=2
	s_xor_b32 s13, exec_lo, -1
; %bb.1448:                             ;   in Loop: Header=BB2_1437 Depth=2
	s_or_b32 exec_lo, exec_lo, s29
	s_and_b32 s13, s13, exec_lo
	s_or_saveexec_b32 s28, s28
	v_mov_b32_e32 v53, 0x7f800001
	s_xor_b32 exec_lo, exec_lo, s28
	s_cbranch_execnz .LBB2_1716
.LBB2_1449:                             ;   in Loop: Header=BB2_1437 Depth=2
	s_or_b32 exec_lo, exec_lo, s28
	s_and_saveexec_b32 s28, s13
	s_cbranch_execz .LBB2_1451
.LBB2_1450:                             ;   in Loop: Header=BB2_1437 Depth=2
	v_and_b32_e32 v53, 0xffff, v48
	v_lshlrev_b32_e32 v48, 24, v48
	v_and_b32_e32 v54, 7, v53
	v_bfe_u32 v101, v53, 3, 4
	v_and_b32_e32 v48, 0x80000000, v48
	v_ffbh_u32_e32 v55, v54
	v_cmp_eq_u32_e32 vcc_lo, 0, v101
	v_min_u32_e32 v55, 32, v55
	v_subrev_nc_u32_e32 v100, 28, v55
	v_sub_nc_u32_e32 v55, 29, v55
	v_lshlrev_b32_e32 v53, v100, v53
	v_cndmask_b32_e32 v55, v101, v55, vcc_lo
	v_and_b32_e32 v53, 7, v53
	v_cndmask_b32_e32 v53, v54, v53, vcc_lo
	v_lshl_add_u32 v54, v55, 23, 0x3b800000
	v_lshlrev_b32_e32 v53, 20, v53
	v_or3_b32 v53, v48, v54, v53
.LBB2_1451:                             ;   in Loop: Header=BB2_1437 Depth=2
	s_or_b32 exec_lo, exec_lo, s28
	v_mul_f32_e32 v48, v49, v53
	v_and_b32_e32 v53, 0x7f800000, v48
	v_cmp_ne_u32_e32 vcc_lo, 0x7f800000, v53
	v_mov_b32_e32 v53, 0x80
	s_and_saveexec_b32 s28, vcc_lo
	s_cbranch_execz .LBB2_1459
; %bb.1452:                             ;   in Loop: Header=BB2_1437 Depth=2
	v_mov_b32_e32 v53, 0
	s_mov_b32 s29, exec_lo
	v_cmpx_ne_u32_e32 0, v48
	s_cbranch_execz .LBB2_1458
; %bb.1453:                             ;   in Loop: Header=BB2_1437 Depth=2
	v_bfe_u32 v53, v48, 23, 8
	v_and_b32_e32 v54, 0x7fffff, v48
	v_sub_nc_u32_e32 v55, 0x78, v53
	v_cmp_gt_u32_e32 vcc_lo, 0x79, v53
	v_or_b32_e32 v100, 0x800000, v54
	v_cndmask_b32_e32 v55, 0, v55, vcc_lo
	v_cmp_eq_u32_e32 vcc_lo, 0, v53
	v_add_nc_u32_e32 v53, 0xffffff89, v53
	v_cndmask_b32_e64 v55, v55, 0x77, vcc_lo
	v_cndmask_b32_e32 v54, v100, v54, vcc_lo
	v_cndmask_b32_e64 v53, v53, 0xffffff8a, vcc_lo
	v_lshl_add_u32 v100, 0x100000, v55, -1
	v_lshrrev_b32_e32 v101, v55, v54
	v_lshlrev_b32_e64 v103, v55, 0x80000
	v_add_nc_u32_e32 v55, v55, v53
	v_and_b32_e32 v54, v100, v54
	v_bfe_u32 v102, v101, 20, 1
	v_cmp_eq_u32_e64 s13, v54, v103
	v_add_nc_u32_e32 v100, -1, v102
	v_cndmask_b32_e64 v54, 0, v100, s13
	v_lshrrev_b32_e32 v100, 23, v101
	s_mov_b32 s13, exec_lo
	v_add_nc_u32_e32 v54, v54, v101
	v_xor_b32_e32 v100, 1, v100
	v_and_b32_e32 v53, 0xfffff, v54
	v_add_nc_u32_e32 v54, v53, v101
                                        ; implicit-def: $vgpr53
	v_cmpx_ne_u32_e64 v55, v100
	s_xor_b32 s13, exec_lo, s13
; %bb.1454:                             ;   in Loop: Header=BB2_1437 Depth=2
	v_cmp_lt_u32_e32 vcc_lo, 0xffffff, v54
	v_sub_nc_u32_e32 v53, v55, v100
	v_cndmask_b32_e64 v55, 0, 1, vcc_lo
	v_add_co_ci_u32_e64 v53, null, 0, v53, vcc_lo
	v_lshrrev_b32_e32 v54, v55, v54
; %bb.1455:                             ;   in Loop: Header=BB2_1437 Depth=2
	s_andn2_saveexec_b32 s13, s13
; %bb.1456:                             ;   in Loop: Header=BB2_1437 Depth=2
	v_bfe_u32 v53, v54, 23, 1
; %bb.1457:                             ;   in Loop: Header=BB2_1437 Depth=2
	s_or_b32 exec_lo, exec_lo, s13
	v_lshrrev_b32_e32 v54, 20, v54
	v_cmp_gt_i32_e32 vcc_lo, 16, v53
	v_min_i32_e32 v55, 15, v53
	v_and_b32_sdwa v48, v48, v85 dst_sel:DWORD dst_unused:UNUSED_PAD src0_sel:BYTE_3 src1_sel:DWORD
	v_cndmask_b32_e32 v54, 7, v54, vcc_lo
	v_lshlrev_b32_e32 v55, 3, v55
	v_and_b32_e32 v100, 7, v54
	v_or_b32_e32 v53, v53, v54
	v_or3_b32 v48, v55, v48, v100
	v_cmp_ne_u32_e32 vcc_lo, 0, v53
	v_cndmask_b32_e32 v53, 0, v48, vcc_lo
.LBB2_1458:                             ;   in Loop: Header=BB2_1437 Depth=2
	s_or_b32 exec_lo, exec_lo, s29
.LBB2_1459:                             ;   in Loop: Header=BB2_1437 Depth=2
	s_or_b32 exec_lo, exec_lo, s28
	flat_load_ubyte v48, v[10:11] offset:32 slc
	s_mov_b32 s13, 0
	s_mov_b32 s28, exec_lo
	s_waitcnt vmcnt(0) lgkmcnt(0)
	v_cmpx_lt_i16_e32 0x7f, v48
	s_xor_b32 s28, exec_lo, s28
	s_cbranch_execz .LBB2_1717
; %bb.1460:                             ;   in Loop: Header=BB2_1437 Depth=2
	s_mov_b32 s13, -1
	s_mov_b32 s29, exec_lo
	v_cmpx_eq_u16_e32 0x80, v48
; %bb.1461:                             ;   in Loop: Header=BB2_1437 Depth=2
	s_xor_b32 s13, exec_lo, -1
; %bb.1462:                             ;   in Loop: Header=BB2_1437 Depth=2
	s_or_b32 exec_lo, exec_lo, s29
	s_and_b32 s13, s13, exec_lo
	s_or_saveexec_b32 s28, s28
	v_mov_b32_e32 v54, 0x7f800001
	s_xor_b32 exec_lo, exec_lo, s28
	s_cbranch_execnz .LBB2_1718
.LBB2_1463:                             ;   in Loop: Header=BB2_1437 Depth=2
	s_or_b32 exec_lo, exec_lo, s28
	s_and_saveexec_b32 s28, s13
	s_cbranch_execz .LBB2_1465
.LBB2_1464:                             ;   in Loop: Header=BB2_1437 Depth=2
	v_and_b32_e32 v54, 0xffff, v48
	v_lshlrev_b32_e32 v48, 24, v48
	v_and_b32_e32 v55, 7, v54
	v_bfe_u32 v102, v54, 3, 4
	v_and_b32_e32 v48, 0x80000000, v48
	v_ffbh_u32_e32 v100, v55
	v_cmp_eq_u32_e32 vcc_lo, 0, v102
	v_min_u32_e32 v100, 32, v100
	v_subrev_nc_u32_e32 v101, 28, v100
	v_sub_nc_u32_e32 v100, 29, v100
	v_lshlrev_b32_e32 v54, v101, v54
	v_cndmask_b32_e32 v100, v102, v100, vcc_lo
	v_and_b32_e32 v54, 7, v54
	v_cndmask_b32_e32 v54, v55, v54, vcc_lo
	v_lshl_add_u32 v55, v100, 23, 0x3b800000
	v_lshlrev_b32_e32 v54, 20, v54
	v_or3_b32 v54, v48, v55, v54
.LBB2_1465:                             ;   in Loop: Header=BB2_1437 Depth=2
	s_or_b32 exec_lo, exec_lo, s28
	v_mul_f32_e32 v48, v49, v54
	v_mov_b32_e32 v103, 0x80
	s_mov_b32 s28, exec_lo
	v_and_b32_e32 v54, 0x7f800000, v48
	v_cmpx_ne_u32_e32 0x7f800000, v54
	s_cbranch_execz .LBB2_1473
; %bb.1466:                             ;   in Loop: Header=BB2_1437 Depth=2
	v_mov_b32_e32 v103, 0
	s_mov_b32 s29, exec_lo
	v_cmpx_ne_u32_e32 0, v48
	s_cbranch_execz .LBB2_1472
; %bb.1467:                             ;   in Loop: Header=BB2_1437 Depth=2
	v_bfe_u32 v54, v48, 23, 8
	v_and_b32_e32 v55, 0x7fffff, v48
	v_sub_nc_u32_e32 v100, 0x78, v54
	v_cmp_gt_u32_e32 vcc_lo, 0x79, v54
	v_or_b32_e32 v101, 0x800000, v55
	v_cndmask_b32_e32 v100, 0, v100, vcc_lo
	v_cmp_eq_u32_e32 vcc_lo, 0, v54
	v_add_nc_u32_e32 v54, 0xffffff89, v54
	v_cndmask_b32_e64 v100, v100, 0x77, vcc_lo
	v_cndmask_b32_e32 v55, v101, v55, vcc_lo
	v_cndmask_b32_e64 v54, v54, 0xffffff8a, vcc_lo
	v_lshl_add_u32 v101, 0x100000, v100, -1
	v_lshrrev_b32_e32 v102, v100, v55
	v_lshlrev_b32_e64 v112, v100, 0x80000
	v_add_nc_u32_e32 v100, v100, v54
	v_and_b32_e32 v55, v101, v55
	v_bfe_u32 v103, v102, 20, 1
	v_cmp_eq_u32_e64 s13, v55, v112
	v_add_nc_u32_e32 v101, -1, v103
	v_cndmask_b32_e64 v55, 0, v101, s13
	v_lshrrev_b32_e32 v101, 23, v102
	s_mov_b32 s13, exec_lo
	v_add_nc_u32_e32 v55, v55, v102
	v_xor_b32_e32 v101, 1, v101
	v_and_b32_e32 v54, 0xfffff, v55
	v_add_nc_u32_e32 v55, v54, v102
                                        ; implicit-def: $vgpr54
	v_cmpx_ne_u32_e64 v100, v101
	s_xor_b32 s13, exec_lo, s13
; %bb.1468:                             ;   in Loop: Header=BB2_1437 Depth=2
	v_cmp_lt_u32_e32 vcc_lo, 0xffffff, v55
	v_sub_nc_u32_e32 v54, v100, v101
	v_cndmask_b32_e64 v100, 0, 1, vcc_lo
	v_add_co_ci_u32_e64 v54, null, 0, v54, vcc_lo
	v_lshrrev_b32_e32 v55, v100, v55
; %bb.1469:                             ;   in Loop: Header=BB2_1437 Depth=2
	s_andn2_saveexec_b32 s13, s13
; %bb.1470:                             ;   in Loop: Header=BB2_1437 Depth=2
	v_bfe_u32 v54, v55, 23, 1
; %bb.1471:                             ;   in Loop: Header=BB2_1437 Depth=2
	s_or_b32 exec_lo, exec_lo, s13
	v_lshrrev_b32_e32 v55, 20, v55
	v_cmp_gt_i32_e32 vcc_lo, 16, v54
	v_min_i32_e32 v100, 15, v54
	v_and_b32_sdwa v48, v48, v85 dst_sel:DWORD dst_unused:UNUSED_PAD src0_sel:BYTE_3 src1_sel:DWORD
	v_cndmask_b32_e32 v55, 7, v55, vcc_lo
	v_lshlrev_b32_e32 v100, 3, v100
	v_and_b32_e32 v101, 7, v55
	v_or_b32_e32 v54, v54, v55
	v_or3_b32 v48, v100, v48, v101
	v_cmp_ne_u32_e32 vcc_lo, 0, v54
	v_cndmask_b32_e32 v103, 0, v48, vcc_lo
.LBB2_1472:                             ;   in Loop: Header=BB2_1437 Depth=2
	s_or_b32 exec_lo, exec_lo, s29
.LBB2_1473:                             ;   in Loop: Header=BB2_1437 Depth=2
	s_or_b32 exec_lo, exec_lo, s28
	flat_load_ubyte v48, v[10:11] offset:64 slc
	s_mov_b32 s13, 0
	s_mov_b32 s28, exec_lo
	s_waitcnt vmcnt(0) lgkmcnt(0)
	v_cmpx_lt_i16_e32 0x7f, v48
	s_xor_b32 s28, exec_lo, s28
	s_cbranch_execz .LBB2_1719
; %bb.1474:                             ;   in Loop: Header=BB2_1437 Depth=2
	s_mov_b32 s13, -1
	s_mov_b32 s29, exec_lo
	v_cmpx_eq_u16_e32 0x80, v48
; %bb.1475:                             ;   in Loop: Header=BB2_1437 Depth=2
	s_xor_b32 s13, exec_lo, -1
; %bb.1476:                             ;   in Loop: Header=BB2_1437 Depth=2
	s_or_b32 exec_lo, exec_lo, s29
	s_and_b32 s13, s13, exec_lo
	s_or_saveexec_b32 s28, s28
	v_mov_b32_e32 v54, 0x7f800001
	s_xor_b32 exec_lo, exec_lo, s28
	s_cbranch_execnz .LBB2_1720
.LBB2_1477:                             ;   in Loop: Header=BB2_1437 Depth=2
	s_or_b32 exec_lo, exec_lo, s28
	s_and_saveexec_b32 s28, s13
	s_cbranch_execz .LBB2_1479
.LBB2_1478:                             ;   in Loop: Header=BB2_1437 Depth=2
	v_and_b32_e32 v54, 0xffff, v48
	v_lshlrev_b32_e32 v48, 24, v48
	v_and_b32_e32 v55, 7, v54
	v_bfe_u32 v102, v54, 3, 4
	v_and_b32_e32 v48, 0x80000000, v48
	v_ffbh_u32_e32 v100, v55
	v_cmp_eq_u32_e32 vcc_lo, 0, v102
	v_min_u32_e32 v100, 32, v100
	v_subrev_nc_u32_e32 v101, 28, v100
	v_sub_nc_u32_e32 v100, 29, v100
	v_lshlrev_b32_e32 v54, v101, v54
	v_cndmask_b32_e32 v100, v102, v100, vcc_lo
	v_and_b32_e32 v54, 7, v54
	v_cndmask_b32_e32 v54, v55, v54, vcc_lo
	v_lshl_add_u32 v55, v100, 23, 0x3b800000
	v_lshlrev_b32_e32 v54, 20, v54
	v_or3_b32 v54, v48, v55, v54
.LBB2_1479:                             ;   in Loop: Header=BB2_1437 Depth=2
	s_or_b32 exec_lo, exec_lo, s28
	v_mul_f32_e32 v48, v49, v54
	v_mov_b32_e32 v112, 0x80
	s_mov_b32 s28, exec_lo
	v_and_b32_e32 v54, 0x7f800000, v48
	v_cmpx_ne_u32_e32 0x7f800000, v54
	s_cbranch_execz .LBB2_1487
; %bb.1480:                             ;   in Loop: Header=BB2_1437 Depth=2
	v_mov_b32_e32 v112, 0
	s_mov_b32 s29, exec_lo
	v_cmpx_ne_u32_e32 0, v48
	s_cbranch_execz .LBB2_1486
; %bb.1481:                             ;   in Loop: Header=BB2_1437 Depth=2
	v_bfe_u32 v54, v48, 23, 8
	v_and_b32_e32 v55, 0x7fffff, v48
	v_sub_nc_u32_e32 v100, 0x78, v54
	v_cmp_gt_u32_e32 vcc_lo, 0x79, v54
	v_or_b32_e32 v101, 0x800000, v55
	v_cndmask_b32_e32 v100, 0, v100, vcc_lo
	v_cmp_eq_u32_e32 vcc_lo, 0, v54
	v_add_nc_u32_e32 v54, 0xffffff89, v54
	v_cndmask_b32_e64 v100, v100, 0x77, vcc_lo
	v_cndmask_b32_e32 v55, v101, v55, vcc_lo
	v_cndmask_b32_e64 v54, v54, 0xffffff8a, vcc_lo
	v_lshl_add_u32 v101, 0x100000, v100, -1
	v_lshrrev_b32_e32 v102, v100, v55
	v_lshlrev_b32_e64 v113, v100, 0x80000
	v_add_nc_u32_e32 v100, v100, v54
	v_and_b32_e32 v55, v101, v55
	v_bfe_u32 v112, v102, 20, 1
	v_cmp_eq_u32_e64 s13, v55, v113
	v_add_nc_u32_e32 v101, -1, v112
	v_cndmask_b32_e64 v55, 0, v101, s13
	v_lshrrev_b32_e32 v101, 23, v102
	s_mov_b32 s13, exec_lo
	v_add_nc_u32_e32 v55, v55, v102
	v_xor_b32_e32 v101, 1, v101
	v_and_b32_e32 v54, 0xfffff, v55
	v_add_nc_u32_e32 v55, v54, v102
                                        ; implicit-def: $vgpr54
	v_cmpx_ne_u32_e64 v100, v101
	s_xor_b32 s13, exec_lo, s13
; %bb.1482:                             ;   in Loop: Header=BB2_1437 Depth=2
	v_cmp_lt_u32_e32 vcc_lo, 0xffffff, v55
	v_sub_nc_u32_e32 v54, v100, v101
	v_cndmask_b32_e64 v100, 0, 1, vcc_lo
	v_add_co_ci_u32_e64 v54, null, 0, v54, vcc_lo
	v_lshrrev_b32_e32 v55, v100, v55
; %bb.1483:                             ;   in Loop: Header=BB2_1437 Depth=2
	s_andn2_saveexec_b32 s13, s13
; %bb.1484:                             ;   in Loop: Header=BB2_1437 Depth=2
	v_bfe_u32 v54, v55, 23, 1
; %bb.1485:                             ;   in Loop: Header=BB2_1437 Depth=2
	s_or_b32 exec_lo, exec_lo, s13
	v_lshrrev_b32_e32 v55, 20, v55
	v_cmp_gt_i32_e32 vcc_lo, 16, v54
	v_min_i32_e32 v100, 15, v54
	v_and_b32_sdwa v48, v48, v85 dst_sel:DWORD dst_unused:UNUSED_PAD src0_sel:BYTE_3 src1_sel:DWORD
	v_cndmask_b32_e32 v55, 7, v55, vcc_lo
	v_lshlrev_b32_e32 v100, 3, v100
	v_and_b32_e32 v101, 7, v55
	v_or_b32_e32 v54, v54, v55
	v_or3_b32 v48, v100, v48, v101
	v_cmp_ne_u32_e32 vcc_lo, 0, v54
	v_cndmask_b32_e32 v112, 0, v48, vcc_lo
.LBB2_1486:                             ;   in Loop: Header=BB2_1437 Depth=2
	s_or_b32 exec_lo, exec_lo, s29
.LBB2_1487:                             ;   in Loop: Header=BB2_1437 Depth=2
	s_or_b32 exec_lo, exec_lo, s28
	flat_load_ubyte v48, v[10:11] offset:96 slc
	s_mov_b32 s13, 0
	s_mov_b32 s28, exec_lo
	s_waitcnt vmcnt(0) lgkmcnt(0)
	v_cmpx_lt_i16_e32 0x7f, v48
	s_xor_b32 s28, exec_lo, s28
	s_cbranch_execz .LBB2_1721
; %bb.1488:                             ;   in Loop: Header=BB2_1437 Depth=2
	s_mov_b32 s13, -1
	s_mov_b32 s29, exec_lo
	v_cmpx_eq_u16_e32 0x80, v48
; %bb.1489:                             ;   in Loop: Header=BB2_1437 Depth=2
	s_xor_b32 s13, exec_lo, -1
; %bb.1490:                             ;   in Loop: Header=BB2_1437 Depth=2
	s_or_b32 exec_lo, exec_lo, s29
	s_and_b32 s13, s13, exec_lo
	s_or_saveexec_b32 s28, s28
	v_mov_b32_e32 v54, 0x7f800001
	s_xor_b32 exec_lo, exec_lo, s28
	s_cbranch_execnz .LBB2_1722
.LBB2_1491:                             ;   in Loop: Header=BB2_1437 Depth=2
	s_or_b32 exec_lo, exec_lo, s28
	s_and_saveexec_b32 s28, s13
	s_cbranch_execz .LBB2_1493
.LBB2_1492:                             ;   in Loop: Header=BB2_1437 Depth=2
	v_and_b32_e32 v54, 0xffff, v48
	v_lshlrev_b32_e32 v48, 24, v48
	v_and_b32_e32 v55, 7, v54
	v_bfe_u32 v102, v54, 3, 4
	v_and_b32_e32 v48, 0x80000000, v48
	v_ffbh_u32_e32 v100, v55
	v_cmp_eq_u32_e32 vcc_lo, 0, v102
	v_min_u32_e32 v100, 32, v100
	v_subrev_nc_u32_e32 v101, 28, v100
	v_sub_nc_u32_e32 v100, 29, v100
	v_lshlrev_b32_e32 v54, v101, v54
	v_cndmask_b32_e32 v100, v102, v100, vcc_lo
	v_and_b32_e32 v54, 7, v54
	v_cndmask_b32_e32 v54, v55, v54, vcc_lo
	v_lshl_add_u32 v55, v100, 23, 0x3b800000
	v_lshlrev_b32_e32 v54, 20, v54
	v_or3_b32 v54, v48, v55, v54
.LBB2_1493:                             ;   in Loop: Header=BB2_1437 Depth=2
	s_or_b32 exec_lo, exec_lo, s28
	v_mul_f32_e32 v48, v49, v54
	v_mov_b32_e32 v102, 0x80
	s_mov_b32 s28, exec_lo
	v_and_b32_e32 v54, 0x7f800000, v48
	v_cmpx_ne_u32_e32 0x7f800000, v54
	s_cbranch_execz .LBB2_1501
; %bb.1494:                             ;   in Loop: Header=BB2_1437 Depth=2
	v_mov_b32_e32 v102, 0
	s_mov_b32 s29, exec_lo
	v_cmpx_ne_u32_e32 0, v48
	s_cbranch_execz .LBB2_1500
; %bb.1495:                             ;   in Loop: Header=BB2_1437 Depth=2
	v_bfe_u32 v54, v48, 23, 8
	v_and_b32_e32 v55, 0x7fffff, v48
	v_sub_nc_u32_e32 v100, 0x78, v54
	v_cmp_gt_u32_e32 vcc_lo, 0x79, v54
	v_or_b32_e32 v101, 0x800000, v55
	v_cndmask_b32_e32 v100, 0, v100, vcc_lo
	v_cmp_eq_u32_e32 vcc_lo, 0, v54
	v_add_nc_u32_e32 v54, 0xffffff89, v54
	v_cndmask_b32_e64 v100, v100, 0x77, vcc_lo
	v_cndmask_b32_e32 v55, v101, v55, vcc_lo
	v_cndmask_b32_e64 v54, v54, 0xffffff8a, vcc_lo
	v_lshl_add_u32 v101, 0x100000, v100, -1
	v_lshrrev_b32_e32 v102, v100, v55
	v_lshlrev_b32_e64 v114, v100, 0x80000
	v_add_nc_u32_e32 v100, v100, v54
	v_and_b32_e32 v55, v101, v55
	v_bfe_u32 v113, v102, 20, 1
	v_cmp_eq_u32_e64 s13, v55, v114
	v_add_nc_u32_e32 v101, -1, v113
	v_cndmask_b32_e64 v55, 0, v101, s13
	v_lshrrev_b32_e32 v101, 23, v102
	s_mov_b32 s13, exec_lo
	v_add_nc_u32_e32 v55, v55, v102
	v_xor_b32_e32 v101, 1, v101
	v_and_b32_e32 v54, 0xfffff, v55
	v_add_nc_u32_e32 v55, v54, v102
                                        ; implicit-def: $vgpr54
	v_cmpx_ne_u32_e64 v100, v101
	s_xor_b32 s13, exec_lo, s13
; %bb.1496:                             ;   in Loop: Header=BB2_1437 Depth=2
	v_cmp_lt_u32_e32 vcc_lo, 0xffffff, v55
	v_sub_nc_u32_e32 v54, v100, v101
	v_cndmask_b32_e64 v100, 0, 1, vcc_lo
	v_add_co_ci_u32_e64 v54, null, 0, v54, vcc_lo
	v_lshrrev_b32_e32 v55, v100, v55
; %bb.1497:                             ;   in Loop: Header=BB2_1437 Depth=2
	s_andn2_saveexec_b32 s13, s13
; %bb.1498:                             ;   in Loop: Header=BB2_1437 Depth=2
	v_bfe_u32 v54, v55, 23, 1
; %bb.1499:                             ;   in Loop: Header=BB2_1437 Depth=2
	s_or_b32 exec_lo, exec_lo, s13
	v_lshrrev_b32_e32 v55, 20, v55
	v_cmp_gt_i32_e32 vcc_lo, 16, v54
	v_min_i32_e32 v100, 15, v54
	v_and_b32_sdwa v48, v48, v85 dst_sel:DWORD dst_unused:UNUSED_PAD src0_sel:BYTE_3 src1_sel:DWORD
	v_cndmask_b32_e32 v55, 7, v55, vcc_lo
	v_lshlrev_b32_e32 v100, 3, v100
	v_and_b32_e32 v101, 7, v55
	v_or_b32_e32 v54, v54, v55
	v_or3_b32 v48, v100, v48, v101
	v_cmp_ne_u32_e32 vcc_lo, 0, v54
	v_cndmask_b32_e32 v102, 0, v48, vcc_lo
.LBB2_1500:                             ;   in Loop: Header=BB2_1437 Depth=2
	s_or_b32 exec_lo, exec_lo, s29
.LBB2_1501:                             ;   in Loop: Header=BB2_1437 Depth=2
	s_or_b32 exec_lo, exec_lo, s28
	flat_load_ubyte v48, v[10:11] offset:128 slc
	s_mov_b32 s13, 0
	s_mov_b32 s28, exec_lo
	s_waitcnt vmcnt(0) lgkmcnt(0)
	v_cmpx_lt_i16_e32 0x7f, v48
	s_xor_b32 s28, exec_lo, s28
	s_cbranch_execz .LBB2_1723
; %bb.1502:                             ;   in Loop: Header=BB2_1437 Depth=2
	s_mov_b32 s13, -1
	s_mov_b32 s29, exec_lo
	v_cmpx_eq_u16_e32 0x80, v48
; %bb.1503:                             ;   in Loop: Header=BB2_1437 Depth=2
	s_xor_b32 s13, exec_lo, -1
; %bb.1504:                             ;   in Loop: Header=BB2_1437 Depth=2
	s_or_b32 exec_lo, exec_lo, s29
	s_and_b32 s13, s13, exec_lo
	s_or_saveexec_b32 s28, s28
	v_mov_b32_e32 v54, 0x7f800001
	s_xor_b32 exec_lo, exec_lo, s28
	s_cbranch_execnz .LBB2_1724
.LBB2_1505:                             ;   in Loop: Header=BB2_1437 Depth=2
	s_or_b32 exec_lo, exec_lo, s28
	s_and_saveexec_b32 s28, s13
	s_cbranch_execz .LBB2_1507
.LBB2_1506:                             ;   in Loop: Header=BB2_1437 Depth=2
	v_and_b32_e32 v54, 0xffff, v48
	v_lshlrev_b32_e32 v48, 24, v48
	v_and_b32_e32 v55, 7, v54
	v_bfe_u32 v113, v54, 3, 4
	v_and_b32_e32 v48, 0x80000000, v48
	v_ffbh_u32_e32 v100, v55
	v_cmp_eq_u32_e32 vcc_lo, 0, v113
	v_min_u32_e32 v100, 32, v100
	v_subrev_nc_u32_e32 v101, 28, v100
	v_sub_nc_u32_e32 v100, 29, v100
	v_lshlrev_b32_e32 v54, v101, v54
	v_cndmask_b32_e32 v100, v113, v100, vcc_lo
	v_and_b32_e32 v54, 7, v54
	v_cndmask_b32_e32 v54, v55, v54, vcc_lo
	v_lshl_add_u32 v55, v100, 23, 0x3b800000
	v_lshlrev_b32_e32 v54, 20, v54
	v_or3_b32 v54, v48, v55, v54
.LBB2_1507:                             ;   in Loop: Header=BB2_1437 Depth=2
	s_or_b32 exec_lo, exec_lo, s28
	v_mul_f32_e32 v48, v49, v54
	v_mov_b32_e32 v101, 0x80
	s_mov_b32 s28, exec_lo
	v_and_b32_e32 v54, 0x7f800000, v48
	v_cmpx_ne_u32_e32 0x7f800000, v54
	s_cbranch_execz .LBB2_1515
; %bb.1508:                             ;   in Loop: Header=BB2_1437 Depth=2
	v_mov_b32_e32 v101, 0
	s_mov_b32 s29, exec_lo
	v_cmpx_ne_u32_e32 0, v48
	s_cbranch_execz .LBB2_1514
; %bb.1509:                             ;   in Loop: Header=BB2_1437 Depth=2
	v_bfe_u32 v54, v48, 23, 8
	v_and_b32_e32 v55, 0x7fffff, v48
	v_sub_nc_u32_e32 v100, 0x78, v54
	v_cmp_gt_u32_e32 vcc_lo, 0x79, v54
	v_or_b32_e32 v101, 0x800000, v55
	v_cndmask_b32_e32 v100, 0, v100, vcc_lo
	v_cmp_eq_u32_e32 vcc_lo, 0, v54
	v_add_nc_u32_e32 v54, 0xffffff89, v54
	v_cndmask_b32_e64 v100, v100, 0x77, vcc_lo
	v_cndmask_b32_e32 v55, v101, v55, vcc_lo
	v_cndmask_b32_e64 v54, v54, 0xffffff8a, vcc_lo
	v_lshl_add_u32 v101, 0x100000, v100, -1
	v_lshrrev_b32_e32 v113, v100, v55
	v_lshlrev_b32_e64 v115, v100, 0x80000
	v_add_nc_u32_e32 v100, v100, v54
	v_and_b32_e32 v55, v101, v55
	v_bfe_u32 v114, v113, 20, 1
	v_cmp_eq_u32_e64 s13, v55, v115
	v_add_nc_u32_e32 v101, -1, v114
	v_cndmask_b32_e64 v55, 0, v101, s13
	v_lshrrev_b32_e32 v101, 23, v113
	s_mov_b32 s13, exec_lo
	v_add_nc_u32_e32 v55, v55, v113
	v_xor_b32_e32 v101, 1, v101
	v_and_b32_e32 v54, 0xfffff, v55
	v_add_nc_u32_e32 v55, v54, v113
                                        ; implicit-def: $vgpr54
	v_cmpx_ne_u32_e64 v100, v101
	s_xor_b32 s13, exec_lo, s13
; %bb.1510:                             ;   in Loop: Header=BB2_1437 Depth=2
	v_cmp_lt_u32_e32 vcc_lo, 0xffffff, v55
	v_sub_nc_u32_e32 v54, v100, v101
	v_cndmask_b32_e64 v100, 0, 1, vcc_lo
	v_add_co_ci_u32_e64 v54, null, 0, v54, vcc_lo
	v_lshrrev_b32_e32 v55, v100, v55
; %bb.1511:                             ;   in Loop: Header=BB2_1437 Depth=2
	s_andn2_saveexec_b32 s13, s13
; %bb.1512:                             ;   in Loop: Header=BB2_1437 Depth=2
	v_bfe_u32 v54, v55, 23, 1
; %bb.1513:                             ;   in Loop: Header=BB2_1437 Depth=2
	s_or_b32 exec_lo, exec_lo, s13
	v_lshrrev_b32_e32 v55, 20, v55
	v_cmp_gt_i32_e32 vcc_lo, 16, v54
	v_min_i32_e32 v100, 15, v54
	v_and_b32_sdwa v48, v48, v85 dst_sel:DWORD dst_unused:UNUSED_PAD src0_sel:BYTE_3 src1_sel:DWORD
	v_cndmask_b32_e32 v55, 7, v55, vcc_lo
	v_lshlrev_b32_e32 v100, 3, v100
	v_and_b32_e32 v101, 7, v55
	v_or_b32_e32 v54, v54, v55
	v_or3_b32 v48, v100, v48, v101
	v_cmp_ne_u32_e32 vcc_lo, 0, v54
	v_cndmask_b32_e32 v101, 0, v48, vcc_lo
.LBB2_1514:                             ;   in Loop: Header=BB2_1437 Depth=2
	s_or_b32 exec_lo, exec_lo, s29
.LBB2_1515:                             ;   in Loop: Header=BB2_1437 Depth=2
	s_or_b32 exec_lo, exec_lo, s28
	flat_load_ubyte v48, v[10:11] offset:160 slc
	s_mov_b32 s13, 0
	s_mov_b32 s28, exec_lo
	s_waitcnt vmcnt(0) lgkmcnt(0)
	v_cmpx_lt_i16_e32 0x7f, v48
	s_xor_b32 s28, exec_lo, s28
	s_cbranch_execz .LBB2_1725
; %bb.1516:                             ;   in Loop: Header=BB2_1437 Depth=2
	s_mov_b32 s13, -1
	s_mov_b32 s29, exec_lo
	v_cmpx_eq_u16_e32 0x80, v48
; %bb.1517:                             ;   in Loop: Header=BB2_1437 Depth=2
	s_xor_b32 s13, exec_lo, -1
; %bb.1518:                             ;   in Loop: Header=BB2_1437 Depth=2
	s_or_b32 exec_lo, exec_lo, s29
	s_and_b32 s13, s13, exec_lo
	s_or_saveexec_b32 s28, s28
	v_mov_b32_e32 v54, 0x7f800001
	s_xor_b32 exec_lo, exec_lo, s28
	s_cbranch_execnz .LBB2_1726
.LBB2_1519:                             ;   in Loop: Header=BB2_1437 Depth=2
	s_or_b32 exec_lo, exec_lo, s28
	s_and_saveexec_b32 s28, s13
	s_cbranch_execz .LBB2_1521
.LBB2_1520:                             ;   in Loop: Header=BB2_1437 Depth=2
	v_and_b32_e32 v54, 0xffff, v48
	v_lshlrev_b32_e32 v48, 24, v48
	v_and_b32_e32 v55, 7, v54
	v_bfe_u32 v114, v54, 3, 4
	v_and_b32_e32 v48, 0x80000000, v48
	v_ffbh_u32_e32 v100, v55
	v_cmp_eq_u32_e32 vcc_lo, 0, v114
	v_min_u32_e32 v100, 32, v100
	v_subrev_nc_u32_e32 v113, 28, v100
	v_sub_nc_u32_e32 v100, 29, v100
	v_lshlrev_b32_e32 v54, v113, v54
	v_cndmask_b32_e32 v100, v114, v100, vcc_lo
	v_and_b32_e32 v54, 7, v54
	v_cndmask_b32_e32 v54, v55, v54, vcc_lo
	v_lshl_add_u32 v55, v100, 23, 0x3b800000
	v_lshlrev_b32_e32 v54, 20, v54
	v_or3_b32 v54, v48, v55, v54
.LBB2_1521:                             ;   in Loop: Header=BB2_1437 Depth=2
	s_or_b32 exec_lo, exec_lo, s28
	v_mul_f32_e32 v48, v49, v54
	v_mov_b32_e32 v55, 0x80
	s_mov_b32 s28, exec_lo
	v_and_b32_e32 v54, 0x7f800000, v48
	v_cmpx_ne_u32_e32 0x7f800000, v54
	s_cbranch_execz .LBB2_1529
; %bb.1522:                             ;   in Loop: Header=BB2_1437 Depth=2
	v_mov_b32_e32 v55, 0
	s_mov_b32 s29, exec_lo
	v_cmpx_ne_u32_e32 0, v48
	s_cbranch_execz .LBB2_1528
; %bb.1523:                             ;   in Loop: Header=BB2_1437 Depth=2
	v_bfe_u32 v54, v48, 23, 8
	v_and_b32_e32 v55, 0x7fffff, v48
	v_sub_nc_u32_e32 v100, 0x78, v54
	v_cmp_gt_u32_e32 vcc_lo, 0x79, v54
	v_or_b32_e32 v113, 0x800000, v55
	v_cndmask_b32_e32 v100, 0, v100, vcc_lo
	v_cmp_eq_u32_e32 vcc_lo, 0, v54
	v_add_nc_u32_e32 v54, 0xffffff89, v54
	v_cndmask_b32_e64 v100, v100, 0x77, vcc_lo
	v_cndmask_b32_e32 v55, v113, v55, vcc_lo
	v_cndmask_b32_e64 v54, v54, 0xffffff8a, vcc_lo
	v_lshl_add_u32 v113, 0x100000, v100, -1
	v_lshrrev_b32_e32 v114, v100, v55
	v_lshlrev_b32_e64 v116, v100, 0x80000
	v_add_nc_u32_e32 v100, v100, v54
	v_and_b32_e32 v55, v113, v55
	v_bfe_u32 v115, v114, 20, 1
	v_cmp_eq_u32_e64 s13, v55, v116
	v_add_nc_u32_e32 v113, -1, v115
	v_cndmask_b32_e64 v55, 0, v113, s13
	v_lshrrev_b32_e32 v113, 23, v114
	s_mov_b32 s13, exec_lo
	v_add_nc_u32_e32 v55, v55, v114
	v_xor_b32_e32 v113, 1, v113
	v_and_b32_e32 v54, 0xfffff, v55
	v_add_nc_u32_e32 v55, v54, v114
                                        ; implicit-def: $vgpr54
	v_cmpx_ne_u32_e64 v100, v113
	s_xor_b32 s13, exec_lo, s13
; %bb.1524:                             ;   in Loop: Header=BB2_1437 Depth=2
	v_cmp_lt_u32_e32 vcc_lo, 0xffffff, v55
	v_sub_nc_u32_e32 v54, v100, v113
	v_cndmask_b32_e64 v100, 0, 1, vcc_lo
	v_add_co_ci_u32_e64 v54, null, 0, v54, vcc_lo
	v_lshrrev_b32_e32 v55, v100, v55
; %bb.1525:                             ;   in Loop: Header=BB2_1437 Depth=2
	s_andn2_saveexec_b32 s13, s13
; %bb.1526:                             ;   in Loop: Header=BB2_1437 Depth=2
	v_bfe_u32 v54, v55, 23, 1
; %bb.1527:                             ;   in Loop: Header=BB2_1437 Depth=2
	s_or_b32 exec_lo, exec_lo, s13
	v_lshrrev_b32_e32 v55, 20, v55
	v_cmp_gt_i32_e32 vcc_lo, 16, v54
	v_min_i32_e32 v100, 15, v54
	v_and_b32_sdwa v48, v48, v85 dst_sel:DWORD dst_unused:UNUSED_PAD src0_sel:BYTE_3 src1_sel:DWORD
	v_cndmask_b32_e32 v55, 7, v55, vcc_lo
	v_lshlrev_b32_e32 v100, 3, v100
	v_and_b32_e32 v113, 7, v55
	v_or_b32_e32 v54, v54, v55
	v_or3_b32 v48, v100, v48, v113
	v_cmp_ne_u32_e32 vcc_lo, 0, v54
	v_cndmask_b32_e32 v55, 0, v48, vcc_lo
.LBB2_1528:                             ;   in Loop: Header=BB2_1437 Depth=2
	s_or_b32 exec_lo, exec_lo, s29
.LBB2_1529:                             ;   in Loop: Header=BB2_1437 Depth=2
	s_or_b32 exec_lo, exec_lo, s28
	flat_load_ubyte v48, v[10:11] offset:192 slc
	s_mov_b32 s13, 0
	s_mov_b32 s28, exec_lo
	s_waitcnt vmcnt(0) lgkmcnt(0)
	v_cmpx_lt_i16_e32 0x7f, v48
	s_xor_b32 s28, exec_lo, s28
	s_cbranch_execz .LBB2_1727
; %bb.1530:                             ;   in Loop: Header=BB2_1437 Depth=2
	s_mov_b32 s13, -1
	s_mov_b32 s29, exec_lo
	v_cmpx_eq_u16_e32 0x80, v48
; %bb.1531:                             ;   in Loop: Header=BB2_1437 Depth=2
	s_xor_b32 s13, exec_lo, -1
; %bb.1532:                             ;   in Loop: Header=BB2_1437 Depth=2
	s_or_b32 exec_lo, exec_lo, s29
	s_and_b32 s13, s13, exec_lo
	s_or_saveexec_b32 s28, s28
	v_mov_b32_e32 v54, 0x7f800001
	s_xor_b32 exec_lo, exec_lo, s28
	s_cbranch_execnz .LBB2_1728
.LBB2_1533:                             ;   in Loop: Header=BB2_1437 Depth=2
	s_or_b32 exec_lo, exec_lo, s28
	s_and_saveexec_b32 s28, s13
	s_cbranch_execz .LBB2_1535
.LBB2_1534:                             ;   in Loop: Header=BB2_1437 Depth=2
	v_and_b32_e32 v54, 0xffff, v48
	v_lshlrev_b32_e32 v48, 24, v48
	v_and_b32_e32 v100, 7, v54
	v_bfe_u32 v115, v54, 3, 4
	v_and_b32_e32 v48, 0x80000000, v48
	v_ffbh_u32_e32 v113, v100
	v_cmp_eq_u32_e32 vcc_lo, 0, v115
	v_min_u32_e32 v113, 32, v113
	v_subrev_nc_u32_e32 v114, 28, v113
	v_sub_nc_u32_e32 v113, 29, v113
	v_lshlrev_b32_e32 v54, v114, v54
	v_cndmask_b32_e32 v113, v115, v113, vcc_lo
	v_and_b32_e32 v54, 7, v54
	v_cndmask_b32_e32 v54, v100, v54, vcc_lo
	v_lshl_add_u32 v100, v113, 23, 0x3b800000
	v_lshlrev_b32_e32 v54, 20, v54
	v_or3_b32 v54, v48, v100, v54
.LBB2_1535:                             ;   in Loop: Header=BB2_1437 Depth=2
	s_or_b32 exec_lo, exec_lo, s28
	v_mul_f32_e32 v48, v49, v54
	v_and_b32_e32 v54, 0x7f800000, v48
	v_cmp_ne_u32_e32 vcc_lo, 0x7f800000, v54
	v_mov_b32_e32 v54, 0x80
	s_and_saveexec_b32 s28, vcc_lo
	s_cbranch_execz .LBB2_1543
; %bb.1536:                             ;   in Loop: Header=BB2_1437 Depth=2
	v_mov_b32_e32 v54, 0
	s_mov_b32 s29, exec_lo
	v_cmpx_ne_u32_e32 0, v48
	s_cbranch_execz .LBB2_1542
; %bb.1537:                             ;   in Loop: Header=BB2_1437 Depth=2
	v_bfe_u32 v54, v48, 23, 8
	v_and_b32_e32 v100, 0x7fffff, v48
	v_sub_nc_u32_e32 v113, 0x78, v54
	v_cmp_gt_u32_e32 vcc_lo, 0x79, v54
	v_or_b32_e32 v114, 0x800000, v100
	v_cndmask_b32_e32 v113, 0, v113, vcc_lo
	v_cmp_eq_u32_e32 vcc_lo, 0, v54
	v_add_nc_u32_e32 v54, 0xffffff89, v54
	v_cndmask_b32_e64 v113, v113, 0x77, vcc_lo
	v_cndmask_b32_e32 v100, v114, v100, vcc_lo
	v_cndmask_b32_e64 v54, v54, 0xffffff8a, vcc_lo
	v_lshl_add_u32 v114, 0x100000, v113, -1
	v_lshrrev_b32_e32 v115, v113, v100
	v_lshlrev_b32_e64 v117, v113, 0x80000
	v_add_nc_u32_e32 v113, v113, v54
	v_and_b32_e32 v100, v114, v100
	v_bfe_u32 v116, v115, 20, 1
	v_cmp_eq_u32_e64 s13, v100, v117
	v_add_nc_u32_e32 v114, -1, v116
	v_cndmask_b32_e64 v100, 0, v114, s13
	v_lshrrev_b32_e32 v114, 23, v115
	s_mov_b32 s13, exec_lo
	v_add_nc_u32_e32 v100, v100, v115
	v_xor_b32_e32 v114, 1, v114
	v_and_b32_e32 v54, 0xfffff, v100
	v_add_nc_u32_e32 v100, v54, v115
                                        ; implicit-def: $vgpr54
	v_cmpx_ne_u32_e64 v113, v114
	s_xor_b32 s13, exec_lo, s13
; %bb.1538:                             ;   in Loop: Header=BB2_1437 Depth=2
	v_cmp_lt_u32_e32 vcc_lo, 0xffffff, v100
	v_sub_nc_u32_e32 v54, v113, v114
	v_cndmask_b32_e64 v113, 0, 1, vcc_lo
	v_add_co_ci_u32_e64 v54, null, 0, v54, vcc_lo
	v_lshrrev_b32_e32 v100, v113, v100
; %bb.1539:                             ;   in Loop: Header=BB2_1437 Depth=2
	s_andn2_saveexec_b32 s13, s13
; %bb.1540:                             ;   in Loop: Header=BB2_1437 Depth=2
	v_bfe_u32 v54, v100, 23, 1
; %bb.1541:                             ;   in Loop: Header=BB2_1437 Depth=2
	s_or_b32 exec_lo, exec_lo, s13
	v_lshrrev_b32_e32 v100, 20, v100
	v_cmp_gt_i32_e32 vcc_lo, 16, v54
	v_min_i32_e32 v113, 15, v54
	v_and_b32_sdwa v48, v48, v85 dst_sel:DWORD dst_unused:UNUSED_PAD src0_sel:BYTE_3 src1_sel:DWORD
	v_cndmask_b32_e32 v100, 7, v100, vcc_lo
	v_lshlrev_b32_e32 v113, 3, v113
	v_and_b32_e32 v114, 7, v100
	v_or_b32_e32 v54, v54, v100
	v_or3_b32 v48, v113, v48, v114
	v_cmp_ne_u32_e32 vcc_lo, 0, v54
	v_cndmask_b32_e32 v54, 0, v48, vcc_lo
.LBB2_1542:                             ;   in Loop: Header=BB2_1437 Depth=2
	s_or_b32 exec_lo, exec_lo, s29
.LBB2_1543:                             ;   in Loop: Header=BB2_1437 Depth=2
	s_or_b32 exec_lo, exec_lo, s28
	flat_load_ubyte v48, v[10:11] offset:224 slc
	s_mov_b32 s13, 0
	s_mov_b32 s28, exec_lo
	s_waitcnt vmcnt(0) lgkmcnt(0)
	v_cmpx_lt_i16_e32 0x7f, v48
	s_xor_b32 s28, exec_lo, s28
	s_cbranch_execz .LBB2_1729
; %bb.1544:                             ;   in Loop: Header=BB2_1437 Depth=2
	s_mov_b32 s13, -1
	s_mov_b32 s29, exec_lo
	v_cmpx_eq_u16_e32 0x80, v48
; %bb.1545:                             ;   in Loop: Header=BB2_1437 Depth=2
	s_xor_b32 s13, exec_lo, -1
; %bb.1546:                             ;   in Loop: Header=BB2_1437 Depth=2
	s_or_b32 exec_lo, exec_lo, s29
	s_and_b32 s13, s13, exec_lo
	s_or_saveexec_b32 s28, s28
	v_mov_b32_e32 v100, 0x7f800001
	s_xor_b32 exec_lo, exec_lo, s28
	s_cbranch_execnz .LBB2_1730
.LBB2_1547:                             ;   in Loop: Header=BB2_1437 Depth=2
	s_or_b32 exec_lo, exec_lo, s28
	s_and_saveexec_b32 s28, s13
	s_cbranch_execz .LBB2_1549
.LBB2_1548:                             ;   in Loop: Header=BB2_1437 Depth=2
	v_and_b32_e32 v100, 0xffff, v48
	v_lshlrev_b32_e32 v48, 24, v48
	v_and_b32_e32 v113, 7, v100
	v_bfe_u32 v116, v100, 3, 4
	v_and_b32_e32 v48, 0x80000000, v48
	v_ffbh_u32_e32 v114, v113
	v_cmp_eq_u32_e32 vcc_lo, 0, v116
	v_min_u32_e32 v114, 32, v114
	v_subrev_nc_u32_e32 v115, 28, v114
	v_sub_nc_u32_e32 v114, 29, v114
	v_lshlrev_b32_e32 v100, v115, v100
	v_cndmask_b32_e32 v114, v116, v114, vcc_lo
	v_and_b32_e32 v100, 7, v100
	v_cndmask_b32_e32 v100, v113, v100, vcc_lo
	v_lshl_add_u32 v113, v114, 23, 0x3b800000
	v_lshlrev_b32_e32 v100, 20, v100
	v_or3_b32 v100, v48, v113, v100
.LBB2_1549:                             ;   in Loop: Header=BB2_1437 Depth=2
	s_or_b32 exec_lo, exec_lo, s28
	v_mul_f32_e32 v48, v49, v100
	v_and_b32_e32 v49, 0x7f800000, v48
	v_cmp_ne_u32_e32 vcc_lo, 0x7f800000, v49
	v_mov_b32_e32 v49, 0x80
	s_and_saveexec_b32 s28, vcc_lo
	s_cbranch_execz .LBB2_1557
; %bb.1550:                             ;   in Loop: Header=BB2_1437 Depth=2
	v_mov_b32_e32 v49, 0
	s_mov_b32 s29, exec_lo
	v_cmpx_ne_u32_e32 0, v48
	s_cbranch_execz .LBB2_1556
; %bb.1551:                             ;   in Loop: Header=BB2_1437 Depth=2
	v_bfe_u32 v49, v48, 23, 8
	v_and_b32_e32 v100, 0x7fffff, v48
	v_sub_nc_u32_e32 v113, 0x78, v49
	v_cmp_gt_u32_e32 vcc_lo, 0x79, v49
	v_or_b32_e32 v114, 0x800000, v100
	v_cndmask_b32_e32 v113, 0, v113, vcc_lo
	v_cmp_eq_u32_e32 vcc_lo, 0, v49
	v_add_nc_u32_e32 v49, 0xffffff89, v49
	v_cndmask_b32_e64 v113, v113, 0x77, vcc_lo
	v_cndmask_b32_e32 v100, v114, v100, vcc_lo
	v_cndmask_b32_e64 v49, v49, 0xffffff8a, vcc_lo
	v_lshl_add_u32 v114, 0x100000, v113, -1
	v_lshrrev_b32_e32 v115, v113, v100
	v_lshlrev_b32_e64 v117, v113, 0x80000
	v_add_nc_u32_e32 v113, v113, v49
	v_and_b32_e32 v100, v114, v100
	v_bfe_u32 v116, v115, 20, 1
	v_cmp_eq_u32_e64 s13, v100, v117
	v_add_nc_u32_e32 v114, -1, v116
	v_cndmask_b32_e64 v100, 0, v114, s13
	v_lshrrev_b32_e32 v114, 23, v115
	s_mov_b32 s13, exec_lo
	v_add_nc_u32_e32 v100, v100, v115
	v_xor_b32_e32 v114, 1, v114
	v_and_b32_e32 v49, 0xfffff, v100
	v_add_nc_u32_e32 v100, v49, v115
                                        ; implicit-def: $vgpr49
	v_cmpx_ne_u32_e64 v113, v114
	s_xor_b32 s13, exec_lo, s13
; %bb.1552:                             ;   in Loop: Header=BB2_1437 Depth=2
	v_cmp_lt_u32_e32 vcc_lo, 0xffffff, v100
	v_sub_nc_u32_e32 v49, v113, v114
	v_cndmask_b32_e64 v113, 0, 1, vcc_lo
	v_add_co_ci_u32_e64 v49, null, 0, v49, vcc_lo
	v_lshrrev_b32_e32 v100, v113, v100
; %bb.1553:                             ;   in Loop: Header=BB2_1437 Depth=2
	s_andn2_saveexec_b32 s13, s13
; %bb.1554:                             ;   in Loop: Header=BB2_1437 Depth=2
	v_bfe_u32 v49, v100, 23, 1
; %bb.1555:                             ;   in Loop: Header=BB2_1437 Depth=2
	s_or_b32 exec_lo, exec_lo, s13
	v_lshrrev_b32_e32 v100, 20, v100
	v_cmp_gt_i32_e32 vcc_lo, 16, v49
	v_min_i32_e32 v113, 15, v49
	v_and_b32_sdwa v48, v48, v85 dst_sel:DWORD dst_unused:UNUSED_PAD src0_sel:BYTE_3 src1_sel:DWORD
	v_cndmask_b32_e32 v100, 7, v100, vcc_lo
	v_lshlrev_b32_e32 v113, 3, v113
	v_and_b32_e32 v114, 7, v100
	v_or_b32_e32 v49, v49, v100
	v_or3_b32 v48, v113, v48, v114
	v_cmp_ne_u32_e32 vcc_lo, 0, v49
	v_cndmask_b32_e32 v49, 0, v48, vcc_lo
.LBB2_1556:                             ;   in Loop: Header=BB2_1437 Depth=2
	s_or_b32 exec_lo, exec_lo, s29
.LBB2_1557:                             ;   in Loop: Header=BB2_1437 Depth=2
	s_or_b32 exec_lo, exec_lo, s28
	s_clause 0x7
	flat_load_ubyte v118, v[12:13] slc
	flat_load_ubyte v117, v[12:13] offset:32 slc
	flat_load_ubyte v116, v[12:13] offset:64 slc
	;; [unrolled: 1-line block ×7, first 2 shown]
	v_cmp_gt_i16_sdwa s28, v53, v84 src0_sel:BYTE_0 src1_sel:DWORD
	s_mov_b32 s13, 0
	s_and_saveexec_b32 s29, s28
	s_xor_b32 s28, exec_lo, s29
	s_cbranch_execz .LBB2_1731
; %bb.1558:                             ;   in Loop: Header=BB2_1437 Depth=2
	v_cmp_eq_u16_sdwa s40, v53, v85 src0_sel:BYTE_0 src1_sel:DWORD
	s_mov_b32 s13, -1
	s_and_saveexec_b32 s29, s40
; %bb.1559:                             ;   in Loop: Header=BB2_1437 Depth=2
	s_xor_b32 s13, exec_lo, -1
; %bb.1560:                             ;   in Loop: Header=BB2_1437 Depth=2
	s_or_b32 exec_lo, exec_lo, s29
	s_and_b32 s13, s13, exec_lo
	s_or_saveexec_b32 s28, s28
	v_mov_b32_e32 v119, 0x7f800001
	s_xor_b32 exec_lo, exec_lo, s28
	s_cbranch_execnz .LBB2_1732
.LBB2_1561:                             ;   in Loop: Header=BB2_1437 Depth=2
	s_or_b32 exec_lo, exec_lo, s28
	s_and_saveexec_b32 s28, s13
	s_cbranch_execz .LBB2_1563
.LBB2_1562:                             ;   in Loop: Header=BB2_1437 Depth=2
	v_and_b32_e32 v119, 7, v53
	v_lshrrev_b16 v41, 3, v53
	v_ffbh_u32_e32 v40, v119
	v_and_b32_e32 v41, 15, v41
	v_min_u32_e32 v40, 32, v40
	v_cmp_eq_u32_e32 vcc_lo, 0, v41
	v_subrev_nc_u32_e32 v42, 28, v40
	v_sub_nc_u32_e32 v40, 29, v40
	v_lshlrev_b32_e32 v42, v42, v53
	v_lshlrev_b32_e32 v53, 24, v53
	v_cndmask_b32_e32 v40, v41, v40, vcc_lo
	v_and_b32_e32 v42, 7, v42
	v_and_b32_e32 v53, 0x80000000, v53
	v_lshl_add_u32 v40, v40, 23, 0x3b800000
	v_cndmask_b32_e32 v119, v119, v42, vcc_lo
	v_lshlrev_b32_e32 v119, 20, v119
	v_or3_b32 v119, v53, v40, v119
.LBB2_1563:                             ;   in Loop: Header=BB2_1437 Depth=2
	s_or_b32 exec_lo, exec_lo, s28
	s_waitcnt vmcnt(7) lgkmcnt(7)
	v_cmp_gt_i16_sdwa s28, v118, v84 src0_sel:BYTE_0 src1_sel:DWORD
	s_mov_b32 s13, 0
	s_and_saveexec_b32 s29, s28
	s_xor_b32 s28, exec_lo, s29
	s_cbranch_execz .LBB2_1733
; %bb.1564:                             ;   in Loop: Header=BB2_1437 Depth=2
	v_cmp_eq_u16_sdwa s40, v118, v85 src0_sel:BYTE_0 src1_sel:DWORD
	s_mov_b32 s13, -1
	s_and_saveexec_b32 s29, s40
; %bb.1565:                             ;   in Loop: Header=BB2_1437 Depth=2
	s_xor_b32 s13, exec_lo, -1
; %bb.1566:                             ;   in Loop: Header=BB2_1437 Depth=2
	s_or_b32 exec_lo, exec_lo, s29
	s_and_b32 s13, s13, exec_lo
	s_or_saveexec_b32 s28, s28
	v_mov_b32_e32 v53, 0x7f800001
	s_xor_b32 exec_lo, exec_lo, s28
	s_cbranch_execnz .LBB2_1734
.LBB2_1567:                             ;   in Loop: Header=BB2_1437 Depth=2
	s_or_b32 exec_lo, exec_lo, s28
	s_and_saveexec_b32 s28, s13
	s_cbranch_execz .LBB2_1569
.LBB2_1568:                             ;   in Loop: Header=BB2_1437 Depth=2
	v_and_b32_e32 v53, 7, v118
	v_lshrrev_b16 v41, 3, v118
	v_ffbh_u32_e32 v40, v53
	v_and_b32_e32 v41, 15, v41
	v_min_u32_e32 v40, 32, v40
	v_cmp_eq_u32_e32 vcc_lo, 0, v41
	v_subrev_nc_u32_e32 v42, 28, v40
	v_sub_nc_u32_e32 v40, 29, v40
	v_lshlrev_b32_e32 v42, v42, v118
	v_lshlrev_b32_e32 v118, 24, v118
	v_cndmask_b32_e32 v40, v41, v40, vcc_lo
	v_and_b32_e32 v42, 7, v42
	v_and_b32_e32 v118, 0x80000000, v118
	v_lshl_add_u32 v40, v40, 23, 0x3b800000
	v_cndmask_b32_e32 v53, v53, v42, vcc_lo
	v_lshlrev_b32_e32 v53, 20, v53
	v_or3_b32 v53, v118, v40, v53
.LBB2_1569:                             ;   in Loop: Header=BB2_1437 Depth=2
	s_or_b32 exec_lo, exec_lo, s28
	v_add_f32_e32 v118, v119, v53
	v_and_b32_e32 v53, 0x7f800000, v118
	v_cmp_ne_u32_e32 vcc_lo, 0x7f800000, v53
	v_mov_b32_e32 v53, 0x80
	s_and_saveexec_b32 s28, vcc_lo
	s_cbranch_execz .LBB2_1577
; %bb.1570:                             ;   in Loop: Header=BB2_1437 Depth=2
	v_mov_b32_e32 v53, 0
	s_mov_b32 s29, exec_lo
	v_cmpx_ne_u32_e32 0, v118
	s_cbranch_execz .LBB2_1576
; %bb.1571:                             ;   in Loop: Header=BB2_1437 Depth=2
	v_bfe_u32 v53, v118, 23, 8
	v_and_b32_e32 v119, 0x7fffff, v118
	v_sub_nc_u32_e32 v40, 0x78, v53
	v_cmp_gt_u32_e32 vcc_lo, 0x79, v53
	v_or_b32_e32 v41, 0x800000, v119
	v_cndmask_b32_e32 v40, 0, v40, vcc_lo
	v_cmp_eq_u32_e32 vcc_lo, 0, v53
	v_add_nc_u32_e32 v53, 0xffffff89, v53
	v_cndmask_b32_e64 v40, v40, 0x77, vcc_lo
	v_cndmask_b32_e32 v119, v41, v119, vcc_lo
	v_cndmask_b32_e64 v53, v53, 0xffffff8a, vcc_lo
	v_lshl_add_u32 v41, 0x100000, v40, -1
	v_lshrrev_b32_e32 v42, v40, v119
	v_lshlrev_b32_e64 v44, v40, 0x80000
	v_add_nc_u32_e32 v40, v40, v53
	v_and_b32_e32 v119, v41, v119
	v_bfe_u32 v43, v42, 20, 1
	v_cmp_eq_u32_e64 s13, v119, v44
	v_add_nc_u32_e32 v41, -1, v43
	v_cndmask_b32_e64 v119, 0, v41, s13
	v_lshrrev_b32_e32 v41, 23, v42
	s_mov_b32 s13, exec_lo
	v_add_nc_u32_e32 v119, v119, v42
	v_xor_b32_e32 v41, 1, v41
	v_and_b32_e32 v53, 0xfffff, v119
	v_add_nc_u32_e32 v119, v53, v42
                                        ; implicit-def: $vgpr53
	v_cmpx_ne_u32_e64 v40, v41
	s_xor_b32 s13, exec_lo, s13
; %bb.1572:                             ;   in Loop: Header=BB2_1437 Depth=2
	v_cmp_lt_u32_e32 vcc_lo, 0xffffff, v119
	v_sub_nc_u32_e32 v53, v40, v41
	v_cndmask_b32_e64 v40, 0, 1, vcc_lo
	v_add_co_ci_u32_e64 v53, null, 0, v53, vcc_lo
	v_lshrrev_b32_e32 v119, v40, v119
; %bb.1573:                             ;   in Loop: Header=BB2_1437 Depth=2
	s_andn2_saveexec_b32 s13, s13
; %bb.1574:                             ;   in Loop: Header=BB2_1437 Depth=2
	v_bfe_u32 v53, v119, 23, 1
; %bb.1575:                             ;   in Loop: Header=BB2_1437 Depth=2
	s_or_b32 exec_lo, exec_lo, s13
	v_lshrrev_b32_e32 v119, 20, v119
	v_cmp_gt_i32_e32 vcc_lo, 16, v53
	v_min_i32_e32 v40, 15, v53
	v_and_b32_sdwa v118, v118, v85 dst_sel:DWORD dst_unused:UNUSED_PAD src0_sel:BYTE_3 src1_sel:DWORD
	v_cndmask_b32_e32 v119, 7, v119, vcc_lo
	v_lshlrev_b32_e32 v40, 3, v40
	v_and_b32_e32 v41, 7, v119
	v_or_b32_e32 v53, v53, v119
	v_or3_b32 v118, v40, v118, v41
	v_cmp_ne_u32_e32 vcc_lo, 0, v53
	v_cndmask_b32_e32 v53, 0, v118, vcc_lo
.LBB2_1576:                             ;   in Loop: Header=BB2_1437 Depth=2
	s_or_b32 exec_lo, exec_lo, s29
.LBB2_1577:                             ;   in Loop: Header=BB2_1437 Depth=2
	s_or_b32 exec_lo, exec_lo, s28
	v_cmp_gt_i16_sdwa s28, v103, v84 src0_sel:BYTE_0 src1_sel:DWORD
	s_mov_b32 s13, 0
	s_and_saveexec_b32 s29, s28
	s_xor_b32 s28, exec_lo, s29
	s_cbranch_execz .LBB2_1735
; %bb.1578:                             ;   in Loop: Header=BB2_1437 Depth=2
	v_cmp_eq_u16_sdwa s40, v103, v85 src0_sel:BYTE_0 src1_sel:DWORD
	s_mov_b32 s13, -1
	s_and_saveexec_b32 s29, s40
; %bb.1579:                             ;   in Loop: Header=BB2_1437 Depth=2
	s_xor_b32 s13, exec_lo, -1
; %bb.1580:                             ;   in Loop: Header=BB2_1437 Depth=2
	s_or_b32 exec_lo, exec_lo, s29
	s_and_b32 s13, s13, exec_lo
	s_or_saveexec_b32 s28, s28
	v_mov_b32_e32 v118, 0x7f800001
	s_xor_b32 exec_lo, exec_lo, s28
	s_cbranch_execnz .LBB2_1736
.LBB2_1581:                             ;   in Loop: Header=BB2_1437 Depth=2
	s_or_b32 exec_lo, exec_lo, s28
	s_and_saveexec_b32 s28, s13
	s_cbranch_execz .LBB2_1583
.LBB2_1582:                             ;   in Loop: Header=BB2_1437 Depth=2
	v_and_b32_e32 v118, 7, v103
	v_lshrrev_b16 v40, 3, v103
	v_ffbh_u32_e32 v119, v118
	v_and_b32_e32 v40, 15, v40
	v_min_u32_e32 v119, 32, v119
	v_cmp_eq_u32_e32 vcc_lo, 0, v40
	v_subrev_nc_u32_e32 v41, 28, v119
	v_sub_nc_u32_e32 v119, 29, v119
	v_lshlrev_b32_e32 v41, v41, v103
	v_lshlrev_b32_e32 v103, 24, v103
	v_cndmask_b32_e32 v119, v40, v119, vcc_lo
	v_and_b32_e32 v41, 7, v41
	v_and_b32_e32 v103, 0x80000000, v103
	v_lshl_add_u32 v119, v119, 23, 0x3b800000
	v_cndmask_b32_e32 v118, v118, v41, vcc_lo
	v_lshlrev_b32_e32 v118, 20, v118
	v_or3_b32 v118, v103, v119, v118
.LBB2_1583:                             ;   in Loop: Header=BB2_1437 Depth=2
	s_or_b32 exec_lo, exec_lo, s28
	s_waitcnt vmcnt(6) lgkmcnt(6)
	v_cmp_gt_i16_sdwa s28, v117, v84 src0_sel:BYTE_0 src1_sel:DWORD
	s_mov_b32 s13, 0
	s_and_saveexec_b32 s29, s28
	s_xor_b32 s28, exec_lo, s29
	s_cbranch_execz .LBB2_1737
; %bb.1584:                             ;   in Loop: Header=BB2_1437 Depth=2
	v_cmp_eq_u16_sdwa s40, v117, v85 src0_sel:BYTE_0 src1_sel:DWORD
	s_mov_b32 s13, -1
	s_and_saveexec_b32 s29, s40
; %bb.1585:                             ;   in Loop: Header=BB2_1437 Depth=2
	s_xor_b32 s13, exec_lo, -1
; %bb.1586:                             ;   in Loop: Header=BB2_1437 Depth=2
	s_or_b32 exec_lo, exec_lo, s29
	s_and_b32 s13, s13, exec_lo
	s_or_saveexec_b32 s28, s28
	v_mov_b32_e32 v103, 0x7f800001
	s_xor_b32 exec_lo, exec_lo, s28
	s_cbranch_execnz .LBB2_1738
.LBB2_1587:                             ;   in Loop: Header=BB2_1437 Depth=2
	s_or_b32 exec_lo, exec_lo, s28
	s_and_saveexec_b32 s28, s13
	s_cbranch_execz .LBB2_1589
.LBB2_1588:                             ;   in Loop: Header=BB2_1437 Depth=2
	v_and_b32_e32 v103, 7, v117
	v_lshrrev_b16 v40, 3, v117
	v_ffbh_u32_e32 v119, v103
	v_and_b32_e32 v40, 15, v40
	v_min_u32_e32 v119, 32, v119
	v_cmp_eq_u32_e32 vcc_lo, 0, v40
	v_subrev_nc_u32_e32 v41, 28, v119
	v_sub_nc_u32_e32 v119, 29, v119
	v_lshlrev_b32_e32 v41, v41, v117
	v_lshlrev_b32_e32 v117, 24, v117
	v_cndmask_b32_e32 v119, v40, v119, vcc_lo
	v_and_b32_e32 v41, 7, v41
	v_and_b32_e32 v117, 0x80000000, v117
	v_lshl_add_u32 v119, v119, 23, 0x3b800000
	v_cndmask_b32_e32 v103, v103, v41, vcc_lo
	v_lshlrev_b32_e32 v103, 20, v103
	v_or3_b32 v103, v117, v119, v103
.LBB2_1589:                             ;   in Loop: Header=BB2_1437 Depth=2
	s_or_b32 exec_lo, exec_lo, s28
	v_add_f32_e32 v117, v118, v103
	v_and_b32_e32 v103, 0x7f800000, v117
	v_cmp_ne_u32_e32 vcc_lo, 0x7f800000, v103
	v_mov_b32_e32 v103, 0x80
	s_and_saveexec_b32 s28, vcc_lo
	s_cbranch_execz .LBB2_1597
; %bb.1590:                             ;   in Loop: Header=BB2_1437 Depth=2
	v_mov_b32_e32 v103, 0
	s_mov_b32 s29, exec_lo
	v_cmpx_ne_u32_e32 0, v117
	s_cbranch_execz .LBB2_1596
; %bb.1591:                             ;   in Loop: Header=BB2_1437 Depth=2
	v_bfe_u32 v103, v117, 23, 8
	v_and_b32_e32 v118, 0x7fffff, v117
	v_sub_nc_u32_e32 v119, 0x78, v103
	v_cmp_gt_u32_e32 vcc_lo, 0x79, v103
	v_or_b32_e32 v40, 0x800000, v118
	v_cndmask_b32_e32 v119, 0, v119, vcc_lo
	v_cmp_eq_u32_e32 vcc_lo, 0, v103
	v_add_nc_u32_e32 v103, 0xffffff89, v103
	v_cndmask_b32_e64 v119, v119, 0x77, vcc_lo
	v_cndmask_b32_e32 v118, v40, v118, vcc_lo
	v_cndmask_b32_e64 v103, v103, 0xffffff8a, vcc_lo
	v_lshl_add_u32 v40, 0x100000, v119, -1
	v_lshrrev_b32_e32 v41, v119, v118
	v_lshlrev_b32_e64 v43, v119, 0x80000
	v_add_nc_u32_e32 v119, v119, v103
	v_and_b32_e32 v118, v40, v118
	v_bfe_u32 v42, v41, 20, 1
	v_cmp_eq_u32_e64 s13, v118, v43
	v_add_nc_u32_e32 v40, -1, v42
	v_cndmask_b32_e64 v118, 0, v40, s13
	v_lshrrev_b32_e32 v40, 23, v41
	s_mov_b32 s13, exec_lo
	v_add_nc_u32_e32 v118, v118, v41
	v_xor_b32_e32 v40, 1, v40
	v_and_b32_e32 v103, 0xfffff, v118
	v_add_nc_u32_e32 v118, v103, v41
                                        ; implicit-def: $vgpr103
	v_cmpx_ne_u32_e64 v119, v40
	s_xor_b32 s13, exec_lo, s13
; %bb.1592:                             ;   in Loop: Header=BB2_1437 Depth=2
	v_cmp_lt_u32_e32 vcc_lo, 0xffffff, v118
	v_sub_nc_u32_e32 v103, v119, v40
	v_cndmask_b32_e64 v119, 0, 1, vcc_lo
	v_add_co_ci_u32_e64 v103, null, 0, v103, vcc_lo
	v_lshrrev_b32_e32 v118, v119, v118
; %bb.1593:                             ;   in Loop: Header=BB2_1437 Depth=2
	s_andn2_saveexec_b32 s13, s13
; %bb.1594:                             ;   in Loop: Header=BB2_1437 Depth=2
	v_bfe_u32 v103, v118, 23, 1
; %bb.1595:                             ;   in Loop: Header=BB2_1437 Depth=2
	s_or_b32 exec_lo, exec_lo, s13
	v_lshrrev_b32_e32 v118, 20, v118
	v_cmp_gt_i32_e32 vcc_lo, 16, v103
	v_min_i32_e32 v119, 15, v103
	v_and_b32_sdwa v117, v117, v85 dst_sel:DWORD dst_unused:UNUSED_PAD src0_sel:BYTE_3 src1_sel:DWORD
	v_cndmask_b32_e32 v118, 7, v118, vcc_lo
	v_lshlrev_b32_e32 v119, 3, v119
	v_and_b32_e32 v40, 7, v118
	v_or_b32_e32 v103, v103, v118
	v_or3_b32 v117, v119, v117, v40
	v_cmp_ne_u32_e32 vcc_lo, 0, v103
	v_cndmask_b32_e32 v103, 0, v117, vcc_lo
.LBB2_1596:                             ;   in Loop: Header=BB2_1437 Depth=2
	s_or_b32 exec_lo, exec_lo, s29
.LBB2_1597:                             ;   in Loop: Header=BB2_1437 Depth=2
	s_or_b32 exec_lo, exec_lo, s28
	v_cmp_gt_i16_sdwa s28, v112, v84 src0_sel:BYTE_0 src1_sel:DWORD
	s_mov_b32 s13, 0
	s_and_saveexec_b32 s29, s28
	s_xor_b32 s28, exec_lo, s29
	s_cbranch_execz .LBB2_1739
; %bb.1598:                             ;   in Loop: Header=BB2_1437 Depth=2
	v_cmp_eq_u16_sdwa s40, v112, v85 src0_sel:BYTE_0 src1_sel:DWORD
	s_mov_b32 s13, -1
	s_and_saveexec_b32 s29, s40
; %bb.1599:                             ;   in Loop: Header=BB2_1437 Depth=2
	s_xor_b32 s13, exec_lo, -1
; %bb.1600:                             ;   in Loop: Header=BB2_1437 Depth=2
	s_or_b32 exec_lo, exec_lo, s29
	s_and_b32 s13, s13, exec_lo
	s_or_saveexec_b32 s28, s28
	v_mov_b32_e32 v117, 0x7f800001
	s_xor_b32 exec_lo, exec_lo, s28
	s_cbranch_execnz .LBB2_1740
.LBB2_1601:                             ;   in Loop: Header=BB2_1437 Depth=2
	s_or_b32 exec_lo, exec_lo, s28
	s_and_saveexec_b32 s28, s13
	s_cbranch_execz .LBB2_1603
.LBB2_1602:                             ;   in Loop: Header=BB2_1437 Depth=2
	v_and_b32_e32 v117, 7, v112
	v_lshrrev_b16 v119, 3, v112
	v_ffbh_u32_e32 v118, v117
	v_and_b32_e32 v119, 15, v119
	v_min_u32_e32 v118, 32, v118
	v_cmp_eq_u32_e32 vcc_lo, 0, v119
	v_subrev_nc_u32_e32 v40, 28, v118
	v_sub_nc_u32_e32 v118, 29, v118
	v_lshlrev_b32_e32 v40, v40, v112
	v_lshlrev_b32_e32 v112, 24, v112
	v_cndmask_b32_e32 v118, v119, v118, vcc_lo
	v_and_b32_e32 v40, 7, v40
	v_and_b32_e32 v112, 0x80000000, v112
	v_lshl_add_u32 v118, v118, 23, 0x3b800000
	v_cndmask_b32_e32 v117, v117, v40, vcc_lo
	v_lshlrev_b32_e32 v117, 20, v117
	v_or3_b32 v117, v112, v118, v117
.LBB2_1603:                             ;   in Loop: Header=BB2_1437 Depth=2
	s_or_b32 exec_lo, exec_lo, s28
	s_waitcnt vmcnt(5) lgkmcnt(5)
	v_cmp_gt_i16_sdwa s28, v116, v84 src0_sel:BYTE_0 src1_sel:DWORD
	s_mov_b32 s13, 0
	s_and_saveexec_b32 s29, s28
	s_xor_b32 s28, exec_lo, s29
	s_cbranch_execz .LBB2_1741
; %bb.1604:                             ;   in Loop: Header=BB2_1437 Depth=2
	v_cmp_eq_u16_sdwa s40, v116, v85 src0_sel:BYTE_0 src1_sel:DWORD
	s_mov_b32 s13, -1
	s_and_saveexec_b32 s29, s40
; %bb.1605:                             ;   in Loop: Header=BB2_1437 Depth=2
	s_xor_b32 s13, exec_lo, -1
; %bb.1606:                             ;   in Loop: Header=BB2_1437 Depth=2
	s_or_b32 exec_lo, exec_lo, s29
	s_and_b32 s13, s13, exec_lo
	s_or_saveexec_b32 s28, s28
	v_mov_b32_e32 v112, 0x7f800001
	s_xor_b32 exec_lo, exec_lo, s28
	s_cbranch_execnz .LBB2_1742
.LBB2_1607:                             ;   in Loop: Header=BB2_1437 Depth=2
	s_or_b32 exec_lo, exec_lo, s28
	s_and_saveexec_b32 s28, s13
	s_cbranch_execz .LBB2_1609
.LBB2_1608:                             ;   in Loop: Header=BB2_1437 Depth=2
	v_and_b32_e32 v112, 7, v116
	v_lshrrev_b16 v119, 3, v116
	v_ffbh_u32_e32 v118, v112
	v_and_b32_e32 v119, 15, v119
	v_min_u32_e32 v118, 32, v118
	v_cmp_eq_u32_e32 vcc_lo, 0, v119
	v_subrev_nc_u32_e32 v40, 28, v118
	v_sub_nc_u32_e32 v118, 29, v118
	v_lshlrev_b32_e32 v40, v40, v116
	v_lshlrev_b32_e32 v116, 24, v116
	v_cndmask_b32_e32 v118, v119, v118, vcc_lo
	v_and_b32_e32 v40, 7, v40
	v_and_b32_e32 v116, 0x80000000, v116
	v_lshl_add_u32 v118, v118, 23, 0x3b800000
	v_cndmask_b32_e32 v112, v112, v40, vcc_lo
	v_lshlrev_b32_e32 v112, 20, v112
	v_or3_b32 v112, v116, v118, v112
.LBB2_1609:                             ;   in Loop: Header=BB2_1437 Depth=2
	s_or_b32 exec_lo, exec_lo, s28
	v_add_f32_e32 v116, v117, v112
	v_and_b32_e32 v112, 0x7f800000, v116
	v_cmp_ne_u32_e32 vcc_lo, 0x7f800000, v112
	v_mov_b32_e32 v112, 0x80
	s_and_saveexec_b32 s28, vcc_lo
	s_cbranch_execz .LBB2_1617
; %bb.1610:                             ;   in Loop: Header=BB2_1437 Depth=2
	v_mov_b32_e32 v112, 0
	s_mov_b32 s29, exec_lo
	v_cmpx_ne_u32_e32 0, v116
	s_cbranch_execz .LBB2_1616
; %bb.1611:                             ;   in Loop: Header=BB2_1437 Depth=2
	v_bfe_u32 v112, v116, 23, 8
	v_and_b32_e32 v117, 0x7fffff, v116
	v_sub_nc_u32_e32 v118, 0x78, v112
	v_cmp_gt_u32_e32 vcc_lo, 0x79, v112
	v_or_b32_e32 v119, 0x800000, v117
	v_cndmask_b32_e32 v118, 0, v118, vcc_lo
	v_cmp_eq_u32_e32 vcc_lo, 0, v112
	v_add_nc_u32_e32 v112, 0xffffff89, v112
	v_cndmask_b32_e64 v118, v118, 0x77, vcc_lo
	v_cndmask_b32_e32 v117, v119, v117, vcc_lo
	v_cndmask_b32_e64 v112, v112, 0xffffff8a, vcc_lo
	v_lshl_add_u32 v119, 0x100000, v118, -1
	v_lshrrev_b32_e32 v40, v118, v117
	v_lshlrev_b32_e64 v42, v118, 0x80000
	v_add_nc_u32_e32 v118, v118, v112
	v_and_b32_e32 v117, v119, v117
	v_bfe_u32 v41, v40, 20, 1
	v_cmp_eq_u32_e64 s13, v117, v42
	v_add_nc_u32_e32 v119, -1, v41
	v_cndmask_b32_e64 v117, 0, v119, s13
	v_lshrrev_b32_e32 v119, 23, v40
	s_mov_b32 s13, exec_lo
	v_add_nc_u32_e32 v117, v117, v40
	v_xor_b32_e32 v119, 1, v119
	v_and_b32_e32 v112, 0xfffff, v117
	v_add_nc_u32_e32 v117, v112, v40
                                        ; implicit-def: $vgpr112
	v_cmpx_ne_u32_e64 v118, v119
	s_xor_b32 s13, exec_lo, s13
; %bb.1612:                             ;   in Loop: Header=BB2_1437 Depth=2
	v_cmp_lt_u32_e32 vcc_lo, 0xffffff, v117
	v_sub_nc_u32_e32 v112, v118, v119
	v_cndmask_b32_e64 v118, 0, 1, vcc_lo
	v_add_co_ci_u32_e64 v112, null, 0, v112, vcc_lo
	v_lshrrev_b32_e32 v117, v118, v117
; %bb.1613:                             ;   in Loop: Header=BB2_1437 Depth=2
	s_andn2_saveexec_b32 s13, s13
; %bb.1614:                             ;   in Loop: Header=BB2_1437 Depth=2
	v_bfe_u32 v112, v117, 23, 1
; %bb.1615:                             ;   in Loop: Header=BB2_1437 Depth=2
	s_or_b32 exec_lo, exec_lo, s13
	v_lshrrev_b32_e32 v117, 20, v117
	v_cmp_gt_i32_e32 vcc_lo, 16, v112
	v_min_i32_e32 v118, 15, v112
	v_and_b32_sdwa v116, v116, v85 dst_sel:DWORD dst_unused:UNUSED_PAD src0_sel:BYTE_3 src1_sel:DWORD
	v_cndmask_b32_e32 v117, 7, v117, vcc_lo
	v_lshlrev_b32_e32 v118, 3, v118
	v_and_b32_e32 v119, 7, v117
	v_or_b32_e32 v112, v112, v117
	v_or3_b32 v116, v118, v116, v119
	v_cmp_ne_u32_e32 vcc_lo, 0, v112
	v_cndmask_b32_e32 v112, 0, v116, vcc_lo
.LBB2_1616:                             ;   in Loop: Header=BB2_1437 Depth=2
	s_or_b32 exec_lo, exec_lo, s29
.LBB2_1617:                             ;   in Loop: Header=BB2_1437 Depth=2
	s_or_b32 exec_lo, exec_lo, s28
	v_cmp_gt_i16_sdwa s28, v102, v84 src0_sel:BYTE_0 src1_sel:DWORD
	s_mov_b32 s13, 0
	s_and_saveexec_b32 s29, s28
	s_xor_b32 s28, exec_lo, s29
	s_cbranch_execz .LBB2_1743
; %bb.1618:                             ;   in Loop: Header=BB2_1437 Depth=2
	v_cmp_eq_u16_sdwa s40, v102, v85 src0_sel:BYTE_0 src1_sel:DWORD
	s_mov_b32 s13, -1
	s_and_saveexec_b32 s29, s40
; %bb.1619:                             ;   in Loop: Header=BB2_1437 Depth=2
	s_xor_b32 s13, exec_lo, -1
; %bb.1620:                             ;   in Loop: Header=BB2_1437 Depth=2
	s_or_b32 exec_lo, exec_lo, s29
	s_and_b32 s13, s13, exec_lo
	s_or_saveexec_b32 s28, s28
	v_mov_b32_e32 v116, 0x7f800001
	s_xor_b32 exec_lo, exec_lo, s28
	s_cbranch_execnz .LBB2_1744
.LBB2_1621:                             ;   in Loop: Header=BB2_1437 Depth=2
	s_or_b32 exec_lo, exec_lo, s28
	s_and_saveexec_b32 s28, s13
	s_cbranch_execz .LBB2_1623
.LBB2_1622:                             ;   in Loop: Header=BB2_1437 Depth=2
	v_and_b32_e32 v116, 7, v102
	v_lshrrev_b16 v118, 3, v102
	v_ffbh_u32_e32 v117, v116
	v_and_b32_e32 v118, 15, v118
	v_min_u32_e32 v117, 32, v117
	v_cmp_eq_u32_e32 vcc_lo, 0, v118
	v_subrev_nc_u32_e32 v119, 28, v117
	v_sub_nc_u32_e32 v117, 29, v117
	v_lshlrev_b32_e32 v119, v119, v102
	v_lshlrev_b32_e32 v102, 24, v102
	v_cndmask_b32_e32 v117, v118, v117, vcc_lo
	v_and_b32_e32 v119, 7, v119
	v_and_b32_e32 v102, 0x80000000, v102
	v_lshl_add_u32 v117, v117, 23, 0x3b800000
	v_cndmask_b32_e32 v116, v116, v119, vcc_lo
	v_lshlrev_b32_e32 v116, 20, v116
	v_or3_b32 v116, v102, v117, v116
.LBB2_1623:                             ;   in Loop: Header=BB2_1437 Depth=2
	s_or_b32 exec_lo, exec_lo, s28
	s_waitcnt vmcnt(4) lgkmcnt(4)
	v_cmp_gt_i16_sdwa s28, v115, v84 src0_sel:BYTE_0 src1_sel:DWORD
	s_mov_b32 s13, 0
	s_and_saveexec_b32 s29, s28
	s_xor_b32 s28, exec_lo, s29
	s_cbranch_execz .LBB2_1745
; %bb.1624:                             ;   in Loop: Header=BB2_1437 Depth=2
	v_cmp_eq_u16_sdwa s40, v115, v85 src0_sel:BYTE_0 src1_sel:DWORD
	s_mov_b32 s13, -1
	s_and_saveexec_b32 s29, s40
; %bb.1625:                             ;   in Loop: Header=BB2_1437 Depth=2
	s_xor_b32 s13, exec_lo, -1
; %bb.1626:                             ;   in Loop: Header=BB2_1437 Depth=2
	s_or_b32 exec_lo, exec_lo, s29
	s_and_b32 s13, s13, exec_lo
	s_or_saveexec_b32 s28, s28
	v_mov_b32_e32 v102, 0x7f800001
	s_xor_b32 exec_lo, exec_lo, s28
	s_cbranch_execnz .LBB2_1746
.LBB2_1627:                             ;   in Loop: Header=BB2_1437 Depth=2
	s_or_b32 exec_lo, exec_lo, s28
	s_and_saveexec_b32 s28, s13
	s_cbranch_execz .LBB2_1629
.LBB2_1628:                             ;   in Loop: Header=BB2_1437 Depth=2
	v_and_b32_e32 v102, 7, v115
	v_lshrrev_b16 v118, 3, v115
	v_ffbh_u32_e32 v117, v102
	v_and_b32_e32 v118, 15, v118
	v_min_u32_e32 v117, 32, v117
	v_cmp_eq_u32_e32 vcc_lo, 0, v118
	v_subrev_nc_u32_e32 v119, 28, v117
	v_sub_nc_u32_e32 v117, 29, v117
	v_lshlrev_b32_e32 v119, v119, v115
	v_lshlrev_b32_e32 v115, 24, v115
	v_cndmask_b32_e32 v117, v118, v117, vcc_lo
	v_and_b32_e32 v119, 7, v119
	v_and_b32_e32 v115, 0x80000000, v115
	v_lshl_add_u32 v117, v117, 23, 0x3b800000
	v_cndmask_b32_e32 v102, v102, v119, vcc_lo
	v_lshlrev_b32_e32 v102, 20, v102
	v_or3_b32 v102, v115, v117, v102
.LBB2_1629:                             ;   in Loop: Header=BB2_1437 Depth=2
	s_or_b32 exec_lo, exec_lo, s28
	v_add_f32_e32 v115, v116, v102
	v_and_b32_e32 v102, 0x7f800000, v115
	v_cmp_ne_u32_e32 vcc_lo, 0x7f800000, v102
	v_mov_b32_e32 v102, 0x80
	s_and_saveexec_b32 s28, vcc_lo
	s_cbranch_execz .LBB2_1637
; %bb.1630:                             ;   in Loop: Header=BB2_1437 Depth=2
	v_mov_b32_e32 v102, 0
	s_mov_b32 s29, exec_lo
	v_cmpx_ne_u32_e32 0, v115
	s_cbranch_execz .LBB2_1636
; %bb.1631:                             ;   in Loop: Header=BB2_1437 Depth=2
	v_bfe_u32 v102, v115, 23, 8
	v_and_b32_e32 v116, 0x7fffff, v115
	v_sub_nc_u32_e32 v117, 0x78, v102
	v_cmp_gt_u32_e32 vcc_lo, 0x79, v102
	v_or_b32_e32 v118, 0x800000, v116
	v_cndmask_b32_e32 v117, 0, v117, vcc_lo
	v_cmp_eq_u32_e32 vcc_lo, 0, v102
	v_add_nc_u32_e32 v102, 0xffffff89, v102
	v_cndmask_b32_e64 v117, v117, 0x77, vcc_lo
	v_cndmask_b32_e32 v116, v118, v116, vcc_lo
	v_cndmask_b32_e64 v102, v102, 0xffffff8a, vcc_lo
	v_lshl_add_u32 v118, 0x100000, v117, -1
	v_lshrrev_b32_e32 v119, v117, v116
	v_lshlrev_b32_e64 v41, v117, 0x80000
	v_add_nc_u32_e32 v117, v117, v102
	v_and_b32_e32 v116, v118, v116
	v_bfe_u32 v40, v119, 20, 1
	v_cmp_eq_u32_e64 s13, v116, v41
	v_add_nc_u32_e32 v118, -1, v40
	v_cndmask_b32_e64 v116, 0, v118, s13
	v_lshrrev_b32_e32 v118, 23, v119
	s_mov_b32 s13, exec_lo
	v_add_nc_u32_e32 v116, v116, v119
	v_xor_b32_e32 v118, 1, v118
	v_and_b32_e32 v102, 0xfffff, v116
	v_add_nc_u32_e32 v116, v102, v119
                                        ; implicit-def: $vgpr102
	v_cmpx_ne_u32_e64 v117, v118
	s_xor_b32 s13, exec_lo, s13
; %bb.1632:                             ;   in Loop: Header=BB2_1437 Depth=2
	v_cmp_lt_u32_e32 vcc_lo, 0xffffff, v116
	v_sub_nc_u32_e32 v102, v117, v118
	v_cndmask_b32_e64 v117, 0, 1, vcc_lo
	v_add_co_ci_u32_e64 v102, null, 0, v102, vcc_lo
	v_lshrrev_b32_e32 v116, v117, v116
; %bb.1633:                             ;   in Loop: Header=BB2_1437 Depth=2
	s_andn2_saveexec_b32 s13, s13
; %bb.1634:                             ;   in Loop: Header=BB2_1437 Depth=2
	v_bfe_u32 v102, v116, 23, 1
; %bb.1635:                             ;   in Loop: Header=BB2_1437 Depth=2
	s_or_b32 exec_lo, exec_lo, s13
	v_lshrrev_b32_e32 v116, 20, v116
	v_cmp_gt_i32_e32 vcc_lo, 16, v102
	v_min_i32_e32 v117, 15, v102
	v_and_b32_sdwa v115, v115, v85 dst_sel:DWORD dst_unused:UNUSED_PAD src0_sel:BYTE_3 src1_sel:DWORD
	v_cndmask_b32_e32 v116, 7, v116, vcc_lo
	v_lshlrev_b32_e32 v117, 3, v117
	v_and_b32_e32 v118, 7, v116
	v_or_b32_e32 v102, v102, v116
	v_or3_b32 v115, v117, v115, v118
	v_cmp_ne_u32_e32 vcc_lo, 0, v102
	v_cndmask_b32_e32 v102, 0, v115, vcc_lo
.LBB2_1636:                             ;   in Loop: Header=BB2_1437 Depth=2
	s_or_b32 exec_lo, exec_lo, s29
.LBB2_1637:                             ;   in Loop: Header=BB2_1437 Depth=2
	s_or_b32 exec_lo, exec_lo, s28
	v_cmp_gt_i16_sdwa s28, v101, v84 src0_sel:BYTE_0 src1_sel:DWORD
	s_mov_b32 s13, 0
	s_and_saveexec_b32 s29, s28
	s_xor_b32 s28, exec_lo, s29
	s_cbranch_execz .LBB2_1747
; %bb.1638:                             ;   in Loop: Header=BB2_1437 Depth=2
	v_cmp_eq_u16_sdwa s40, v101, v85 src0_sel:BYTE_0 src1_sel:DWORD
	s_mov_b32 s13, -1
	s_and_saveexec_b32 s29, s40
; %bb.1639:                             ;   in Loop: Header=BB2_1437 Depth=2
	s_xor_b32 s13, exec_lo, -1
; %bb.1640:                             ;   in Loop: Header=BB2_1437 Depth=2
	s_or_b32 exec_lo, exec_lo, s29
	s_and_b32 s13, s13, exec_lo
	s_or_saveexec_b32 s28, s28
	v_mov_b32_e32 v115, 0x7f800001
	s_xor_b32 exec_lo, exec_lo, s28
	s_cbranch_execnz .LBB2_1748
.LBB2_1641:                             ;   in Loop: Header=BB2_1437 Depth=2
	s_or_b32 exec_lo, exec_lo, s28
	s_and_saveexec_b32 s28, s13
	s_cbranch_execz .LBB2_1643
.LBB2_1642:                             ;   in Loop: Header=BB2_1437 Depth=2
	v_and_b32_e32 v115, 7, v101
	v_lshrrev_b16 v117, 3, v101
	v_ffbh_u32_e32 v116, v115
	v_and_b32_e32 v117, 15, v117
	v_min_u32_e32 v116, 32, v116
	v_cmp_eq_u32_e32 vcc_lo, 0, v117
	v_subrev_nc_u32_e32 v118, 28, v116
	v_sub_nc_u32_e32 v116, 29, v116
	v_lshlrev_b32_e32 v118, v118, v101
	v_lshlrev_b32_e32 v101, 24, v101
	v_cndmask_b32_e32 v116, v117, v116, vcc_lo
	v_and_b32_e32 v118, 7, v118
	v_and_b32_e32 v101, 0x80000000, v101
	v_lshl_add_u32 v116, v116, 23, 0x3b800000
	v_cndmask_b32_e32 v115, v115, v118, vcc_lo
	v_lshlrev_b32_e32 v115, 20, v115
	v_or3_b32 v115, v101, v116, v115
.LBB2_1643:                             ;   in Loop: Header=BB2_1437 Depth=2
	s_or_b32 exec_lo, exec_lo, s28
	s_waitcnt vmcnt(3) lgkmcnt(3)
	v_cmp_gt_i16_sdwa s28, v114, v84 src0_sel:BYTE_0 src1_sel:DWORD
	s_mov_b32 s13, 0
	s_and_saveexec_b32 s29, s28
	s_xor_b32 s28, exec_lo, s29
	s_cbranch_execz .LBB2_1749
; %bb.1644:                             ;   in Loop: Header=BB2_1437 Depth=2
	v_cmp_eq_u16_sdwa s40, v114, v85 src0_sel:BYTE_0 src1_sel:DWORD
	s_mov_b32 s13, -1
	s_and_saveexec_b32 s29, s40
; %bb.1645:                             ;   in Loop: Header=BB2_1437 Depth=2
	s_xor_b32 s13, exec_lo, -1
; %bb.1646:                             ;   in Loop: Header=BB2_1437 Depth=2
	s_or_b32 exec_lo, exec_lo, s29
	s_and_b32 s13, s13, exec_lo
	s_or_saveexec_b32 s28, s28
	v_mov_b32_e32 v101, 0x7f800001
	s_xor_b32 exec_lo, exec_lo, s28
	s_cbranch_execnz .LBB2_1750
.LBB2_1647:                             ;   in Loop: Header=BB2_1437 Depth=2
	s_or_b32 exec_lo, exec_lo, s28
	s_and_saveexec_b32 s28, s13
	s_cbranch_execz .LBB2_1649
.LBB2_1648:                             ;   in Loop: Header=BB2_1437 Depth=2
	v_and_b32_e32 v101, 7, v114
	v_lshrrev_b16 v117, 3, v114
	v_ffbh_u32_e32 v116, v101
	v_and_b32_e32 v117, 15, v117
	v_min_u32_e32 v116, 32, v116
	v_cmp_eq_u32_e32 vcc_lo, 0, v117
	v_subrev_nc_u32_e32 v118, 28, v116
	v_sub_nc_u32_e32 v116, 29, v116
	v_lshlrev_b32_e32 v118, v118, v114
	v_lshlrev_b32_e32 v114, 24, v114
	v_cndmask_b32_e32 v116, v117, v116, vcc_lo
	v_and_b32_e32 v118, 7, v118
	v_and_b32_e32 v114, 0x80000000, v114
	v_lshl_add_u32 v116, v116, 23, 0x3b800000
	v_cndmask_b32_e32 v101, v101, v118, vcc_lo
	v_lshlrev_b32_e32 v101, 20, v101
	v_or3_b32 v101, v114, v116, v101
.LBB2_1649:                             ;   in Loop: Header=BB2_1437 Depth=2
	s_or_b32 exec_lo, exec_lo, s28
	v_add_f32_e32 v114, v115, v101
	v_and_b32_e32 v101, 0x7f800000, v114
	v_cmp_ne_u32_e32 vcc_lo, 0x7f800000, v101
	v_mov_b32_e32 v101, 0x80
	s_and_saveexec_b32 s28, vcc_lo
	s_cbranch_execz .LBB2_1657
; %bb.1650:                             ;   in Loop: Header=BB2_1437 Depth=2
	v_mov_b32_e32 v101, 0
	s_mov_b32 s29, exec_lo
	v_cmpx_ne_u32_e32 0, v114
	s_cbranch_execz .LBB2_1656
; %bb.1651:                             ;   in Loop: Header=BB2_1437 Depth=2
	v_bfe_u32 v101, v114, 23, 8
	v_and_b32_e32 v115, 0x7fffff, v114
	v_sub_nc_u32_e32 v116, 0x78, v101
	v_cmp_gt_u32_e32 vcc_lo, 0x79, v101
	v_or_b32_e32 v117, 0x800000, v115
	v_cndmask_b32_e32 v116, 0, v116, vcc_lo
	v_cmp_eq_u32_e32 vcc_lo, 0, v101
	v_add_nc_u32_e32 v101, 0xffffff89, v101
	v_cndmask_b32_e64 v116, v116, 0x77, vcc_lo
	v_cndmask_b32_e32 v115, v117, v115, vcc_lo
	v_cndmask_b32_e64 v101, v101, 0xffffff8a, vcc_lo
	v_lshl_add_u32 v117, 0x100000, v116, -1
	v_lshrrev_b32_e32 v118, v116, v115
	v_lshlrev_b32_e64 v40, v116, 0x80000
	v_add_nc_u32_e32 v116, v116, v101
	v_and_b32_e32 v115, v117, v115
	v_bfe_u32 v119, v118, 20, 1
	v_cmp_eq_u32_e64 s13, v115, v40
	v_add_nc_u32_e32 v117, -1, v119
	v_cndmask_b32_e64 v115, 0, v117, s13
	v_lshrrev_b32_e32 v117, 23, v118
	s_mov_b32 s13, exec_lo
	v_add_nc_u32_e32 v115, v115, v118
	v_xor_b32_e32 v117, 1, v117
	v_and_b32_e32 v101, 0xfffff, v115
	v_add_nc_u32_e32 v115, v101, v118
                                        ; implicit-def: $vgpr101
	v_cmpx_ne_u32_e64 v116, v117
	s_xor_b32 s13, exec_lo, s13
; %bb.1652:                             ;   in Loop: Header=BB2_1437 Depth=2
	v_cmp_lt_u32_e32 vcc_lo, 0xffffff, v115
	v_sub_nc_u32_e32 v101, v116, v117
	v_cndmask_b32_e64 v116, 0, 1, vcc_lo
	v_add_co_ci_u32_e64 v101, null, 0, v101, vcc_lo
	v_lshrrev_b32_e32 v115, v116, v115
; %bb.1653:                             ;   in Loop: Header=BB2_1437 Depth=2
	s_andn2_saveexec_b32 s13, s13
; %bb.1654:                             ;   in Loop: Header=BB2_1437 Depth=2
	v_bfe_u32 v101, v115, 23, 1
; %bb.1655:                             ;   in Loop: Header=BB2_1437 Depth=2
	s_or_b32 exec_lo, exec_lo, s13
	v_lshrrev_b32_e32 v115, 20, v115
	v_cmp_gt_i32_e32 vcc_lo, 16, v101
	v_min_i32_e32 v116, 15, v101
	v_and_b32_sdwa v114, v114, v85 dst_sel:DWORD dst_unused:UNUSED_PAD src0_sel:BYTE_3 src1_sel:DWORD
	v_cndmask_b32_e32 v115, 7, v115, vcc_lo
	v_lshlrev_b32_e32 v116, 3, v116
	v_and_b32_e32 v117, 7, v115
	v_or_b32_e32 v101, v101, v115
	v_or3_b32 v114, v116, v114, v117
	v_cmp_ne_u32_e32 vcc_lo, 0, v101
	v_cndmask_b32_e32 v101, 0, v114, vcc_lo
.LBB2_1656:                             ;   in Loop: Header=BB2_1437 Depth=2
	s_or_b32 exec_lo, exec_lo, s29
.LBB2_1657:                             ;   in Loop: Header=BB2_1437 Depth=2
	s_or_b32 exec_lo, exec_lo, s28
	v_cmp_gt_i16_sdwa s28, v55, v84 src0_sel:BYTE_0 src1_sel:DWORD
	s_mov_b32 s13, 0
	s_and_saveexec_b32 s29, s28
	s_xor_b32 s28, exec_lo, s29
	s_cbranch_execz .LBB2_1751
; %bb.1658:                             ;   in Loop: Header=BB2_1437 Depth=2
	v_cmp_eq_u16_sdwa s40, v55, v85 src0_sel:BYTE_0 src1_sel:DWORD
	s_mov_b32 s13, -1
	s_and_saveexec_b32 s29, s40
; %bb.1659:                             ;   in Loop: Header=BB2_1437 Depth=2
	s_xor_b32 s13, exec_lo, -1
; %bb.1660:                             ;   in Loop: Header=BB2_1437 Depth=2
	s_or_b32 exec_lo, exec_lo, s29
	s_and_b32 s13, s13, exec_lo
	s_or_saveexec_b32 s28, s28
	v_mov_b32_e32 v114, 0x7f800001
	s_xor_b32 exec_lo, exec_lo, s28
	s_cbranch_execnz .LBB2_1752
.LBB2_1661:                             ;   in Loop: Header=BB2_1437 Depth=2
	s_or_b32 exec_lo, exec_lo, s28
	s_and_saveexec_b32 s28, s13
	s_cbranch_execz .LBB2_1663
.LBB2_1662:                             ;   in Loop: Header=BB2_1437 Depth=2
	v_and_b32_e32 v114, 7, v55
	v_lshrrev_b16 v116, 3, v55
	v_ffbh_u32_e32 v115, v114
	v_and_b32_e32 v116, 15, v116
	v_min_u32_e32 v115, 32, v115
	v_cmp_eq_u32_e32 vcc_lo, 0, v116
	v_subrev_nc_u32_e32 v117, 28, v115
	v_sub_nc_u32_e32 v115, 29, v115
	v_lshlrev_b32_e32 v117, v117, v55
	v_lshlrev_b32_e32 v55, 24, v55
	v_cndmask_b32_e32 v115, v116, v115, vcc_lo
	v_and_b32_e32 v117, 7, v117
	v_and_b32_e32 v55, 0x80000000, v55
	v_lshl_add_u32 v115, v115, 23, 0x3b800000
	v_cndmask_b32_e32 v114, v114, v117, vcc_lo
	v_lshlrev_b32_e32 v114, 20, v114
	v_or3_b32 v114, v55, v115, v114
.LBB2_1663:                             ;   in Loop: Header=BB2_1437 Depth=2
	s_or_b32 exec_lo, exec_lo, s28
	s_waitcnt vmcnt(2) lgkmcnt(2)
	v_cmp_gt_i16_sdwa s28, v113, v84 src0_sel:BYTE_0 src1_sel:DWORD
	s_mov_b32 s13, 0
	s_and_saveexec_b32 s29, s28
	s_xor_b32 s28, exec_lo, s29
	s_cbranch_execz .LBB2_1753
; %bb.1664:                             ;   in Loop: Header=BB2_1437 Depth=2
	v_cmp_eq_u16_sdwa s40, v113, v85 src0_sel:BYTE_0 src1_sel:DWORD
	s_mov_b32 s13, -1
	s_and_saveexec_b32 s29, s40
; %bb.1665:                             ;   in Loop: Header=BB2_1437 Depth=2
	s_xor_b32 s13, exec_lo, -1
; %bb.1666:                             ;   in Loop: Header=BB2_1437 Depth=2
	s_or_b32 exec_lo, exec_lo, s29
	s_and_b32 s13, s13, exec_lo
	s_or_saveexec_b32 s28, s28
	v_mov_b32_e32 v55, 0x7f800001
	s_xor_b32 exec_lo, exec_lo, s28
	s_cbranch_execnz .LBB2_1754
.LBB2_1667:                             ;   in Loop: Header=BB2_1437 Depth=2
	s_or_b32 exec_lo, exec_lo, s28
	s_and_saveexec_b32 s28, s13
	s_cbranch_execz .LBB2_1669
.LBB2_1668:                             ;   in Loop: Header=BB2_1437 Depth=2
	v_and_b32_e32 v55, 7, v113
	v_lshrrev_b16 v116, 3, v113
	v_ffbh_u32_e32 v115, v55
	v_and_b32_e32 v116, 15, v116
	v_min_u32_e32 v115, 32, v115
	v_cmp_eq_u32_e32 vcc_lo, 0, v116
	v_subrev_nc_u32_e32 v117, 28, v115
	v_sub_nc_u32_e32 v115, 29, v115
	v_lshlrev_b32_e32 v117, v117, v113
	v_lshlrev_b32_e32 v113, 24, v113
	v_cndmask_b32_e32 v115, v116, v115, vcc_lo
	v_and_b32_e32 v117, 7, v117
	v_and_b32_e32 v113, 0x80000000, v113
	v_lshl_add_u32 v115, v115, 23, 0x3b800000
	v_cndmask_b32_e32 v55, v55, v117, vcc_lo
	v_lshlrev_b32_e32 v55, 20, v55
	v_or3_b32 v55, v113, v115, v55
.LBB2_1669:                             ;   in Loop: Header=BB2_1437 Depth=2
	s_or_b32 exec_lo, exec_lo, s28
	v_add_f32_e32 v113, v114, v55
	v_and_b32_e32 v55, 0x7f800000, v113
	v_cmp_ne_u32_e32 vcc_lo, 0x7f800000, v55
	v_mov_b32_e32 v55, 0x80
	s_and_saveexec_b32 s28, vcc_lo
	s_cbranch_execz .LBB2_1677
; %bb.1670:                             ;   in Loop: Header=BB2_1437 Depth=2
	v_mov_b32_e32 v55, 0
	s_mov_b32 s29, exec_lo
	v_cmpx_ne_u32_e32 0, v113
	s_cbranch_execz .LBB2_1676
; %bb.1671:                             ;   in Loop: Header=BB2_1437 Depth=2
	v_bfe_u32 v55, v113, 23, 8
	v_and_b32_e32 v114, 0x7fffff, v113
	v_sub_nc_u32_e32 v115, 0x78, v55
	v_cmp_gt_u32_e32 vcc_lo, 0x79, v55
	v_or_b32_e32 v116, 0x800000, v114
	v_cndmask_b32_e32 v115, 0, v115, vcc_lo
	v_cmp_eq_u32_e32 vcc_lo, 0, v55
	v_add_nc_u32_e32 v55, 0xffffff89, v55
	v_cndmask_b32_e64 v115, v115, 0x77, vcc_lo
	v_cndmask_b32_e32 v114, v116, v114, vcc_lo
	v_cndmask_b32_e64 v55, v55, 0xffffff8a, vcc_lo
	v_lshl_add_u32 v116, 0x100000, v115, -1
	v_lshrrev_b32_e32 v117, v115, v114
	v_lshlrev_b32_e64 v119, v115, 0x80000
	v_add_nc_u32_e32 v115, v115, v55
	v_and_b32_e32 v114, v116, v114
	v_bfe_u32 v118, v117, 20, 1
	v_cmp_eq_u32_e64 s13, v114, v119
	v_add_nc_u32_e32 v116, -1, v118
	v_cndmask_b32_e64 v114, 0, v116, s13
	v_lshrrev_b32_e32 v116, 23, v117
	s_mov_b32 s13, exec_lo
	v_add_nc_u32_e32 v114, v114, v117
	v_xor_b32_e32 v116, 1, v116
	v_and_b32_e32 v55, 0xfffff, v114
	v_add_nc_u32_e32 v114, v55, v117
                                        ; implicit-def: $vgpr55
	v_cmpx_ne_u32_e64 v115, v116
	s_xor_b32 s13, exec_lo, s13
; %bb.1672:                             ;   in Loop: Header=BB2_1437 Depth=2
	v_cmp_lt_u32_e32 vcc_lo, 0xffffff, v114
	v_sub_nc_u32_e32 v55, v115, v116
	v_cndmask_b32_e64 v115, 0, 1, vcc_lo
	v_add_co_ci_u32_e64 v55, null, 0, v55, vcc_lo
	v_lshrrev_b32_e32 v114, v115, v114
; %bb.1673:                             ;   in Loop: Header=BB2_1437 Depth=2
	s_andn2_saveexec_b32 s13, s13
; %bb.1674:                             ;   in Loop: Header=BB2_1437 Depth=2
	v_bfe_u32 v55, v114, 23, 1
; %bb.1675:                             ;   in Loop: Header=BB2_1437 Depth=2
	s_or_b32 exec_lo, exec_lo, s13
	v_lshrrev_b32_e32 v114, 20, v114
	v_cmp_gt_i32_e32 vcc_lo, 16, v55
	v_min_i32_e32 v115, 15, v55
	v_and_b32_sdwa v113, v113, v85 dst_sel:DWORD dst_unused:UNUSED_PAD src0_sel:BYTE_3 src1_sel:DWORD
	v_cndmask_b32_e32 v114, 7, v114, vcc_lo
	v_lshlrev_b32_e32 v115, 3, v115
	v_and_b32_e32 v116, 7, v114
	v_or_b32_e32 v55, v55, v114
	v_or3_b32 v113, v115, v113, v116
	v_cmp_ne_u32_e32 vcc_lo, 0, v55
	v_cndmask_b32_e32 v55, 0, v113, vcc_lo
.LBB2_1676:                             ;   in Loop: Header=BB2_1437 Depth=2
	s_or_b32 exec_lo, exec_lo, s29
.LBB2_1677:                             ;   in Loop: Header=BB2_1437 Depth=2
	s_or_b32 exec_lo, exec_lo, s28
	v_cmp_gt_i16_sdwa s28, v54, v84 src0_sel:BYTE_0 src1_sel:DWORD
	s_mov_b32 s13, 0
	s_and_saveexec_b32 s29, s28
	s_xor_b32 s28, exec_lo, s29
	s_cbranch_execz .LBB2_1755
; %bb.1678:                             ;   in Loop: Header=BB2_1437 Depth=2
	v_cmp_eq_u16_sdwa s40, v54, v85 src0_sel:BYTE_0 src1_sel:DWORD
	s_mov_b32 s13, -1
	s_and_saveexec_b32 s29, s40
; %bb.1679:                             ;   in Loop: Header=BB2_1437 Depth=2
	s_xor_b32 s13, exec_lo, -1
; %bb.1680:                             ;   in Loop: Header=BB2_1437 Depth=2
	s_or_b32 exec_lo, exec_lo, s29
	s_and_b32 s13, s13, exec_lo
	s_or_saveexec_b32 s28, s28
	v_mov_b32_e32 v113, 0x7f800001
	s_xor_b32 exec_lo, exec_lo, s28
	s_cbranch_execnz .LBB2_1756
.LBB2_1681:                             ;   in Loop: Header=BB2_1437 Depth=2
	s_or_b32 exec_lo, exec_lo, s28
	s_and_saveexec_b32 s28, s13
	s_cbranch_execz .LBB2_1683
.LBB2_1682:                             ;   in Loop: Header=BB2_1437 Depth=2
	v_and_b32_e32 v113, 7, v54
	v_lshrrev_b16 v115, 3, v54
	v_ffbh_u32_e32 v114, v113
	v_and_b32_e32 v115, 15, v115
	v_min_u32_e32 v114, 32, v114
	v_cmp_eq_u32_e32 vcc_lo, 0, v115
	v_subrev_nc_u32_e32 v116, 28, v114
	v_sub_nc_u32_e32 v114, 29, v114
	v_lshlrev_b32_e32 v116, v116, v54
	v_lshlrev_b32_e32 v54, 24, v54
	v_cndmask_b32_e32 v114, v115, v114, vcc_lo
	v_and_b32_e32 v116, 7, v116
	v_and_b32_e32 v54, 0x80000000, v54
	v_lshl_add_u32 v114, v114, 23, 0x3b800000
	v_cndmask_b32_e32 v113, v113, v116, vcc_lo
	v_lshlrev_b32_e32 v113, 20, v113
	v_or3_b32 v113, v54, v114, v113
.LBB2_1683:                             ;   in Loop: Header=BB2_1437 Depth=2
	s_or_b32 exec_lo, exec_lo, s28
	s_waitcnt vmcnt(1) lgkmcnt(1)
	v_cmp_gt_i16_sdwa s28, v100, v84 src0_sel:BYTE_0 src1_sel:DWORD
	s_mov_b32 s13, 0
	s_and_saveexec_b32 s29, s28
	s_xor_b32 s28, exec_lo, s29
	s_cbranch_execz .LBB2_1757
; %bb.1684:                             ;   in Loop: Header=BB2_1437 Depth=2
	v_cmp_eq_u16_sdwa s40, v100, v85 src0_sel:BYTE_0 src1_sel:DWORD
	s_mov_b32 s13, -1
	s_and_saveexec_b32 s29, s40
; %bb.1685:                             ;   in Loop: Header=BB2_1437 Depth=2
	s_xor_b32 s13, exec_lo, -1
; %bb.1686:                             ;   in Loop: Header=BB2_1437 Depth=2
	s_or_b32 exec_lo, exec_lo, s29
	s_and_b32 s13, s13, exec_lo
	s_or_saveexec_b32 s28, s28
	v_mov_b32_e32 v54, 0x7f800001
	s_xor_b32 exec_lo, exec_lo, s28
	s_cbranch_execnz .LBB2_1758
.LBB2_1687:                             ;   in Loop: Header=BB2_1437 Depth=2
	s_or_b32 exec_lo, exec_lo, s28
	s_and_saveexec_b32 s28, s13
	s_cbranch_execz .LBB2_1689
.LBB2_1688:                             ;   in Loop: Header=BB2_1437 Depth=2
	v_and_b32_e32 v54, 7, v100
	v_lshrrev_b16 v115, 3, v100
	v_ffbh_u32_e32 v114, v54
	v_and_b32_e32 v115, 15, v115
	v_min_u32_e32 v114, 32, v114
	v_cmp_eq_u32_e32 vcc_lo, 0, v115
	v_subrev_nc_u32_e32 v116, 28, v114
	v_sub_nc_u32_e32 v114, 29, v114
	v_lshlrev_b32_e32 v116, v116, v100
	v_lshlrev_b32_e32 v100, 24, v100
	v_cndmask_b32_e32 v114, v115, v114, vcc_lo
	v_and_b32_e32 v116, 7, v116
	v_and_b32_e32 v100, 0x80000000, v100
	v_lshl_add_u32 v114, v114, 23, 0x3b800000
	v_cndmask_b32_e32 v54, v54, v116, vcc_lo
	v_lshlrev_b32_e32 v54, 20, v54
	v_or3_b32 v54, v100, v114, v54
.LBB2_1689:                             ;   in Loop: Header=BB2_1437 Depth=2
	s_or_b32 exec_lo, exec_lo, s28
	v_add_f32_e32 v100, v113, v54
	v_and_b32_e32 v54, 0x7f800000, v100
	v_cmp_ne_u32_e32 vcc_lo, 0x7f800000, v54
	v_mov_b32_e32 v54, 0x80
	s_and_saveexec_b32 s28, vcc_lo
	s_cbranch_execz .LBB2_1697
; %bb.1690:                             ;   in Loop: Header=BB2_1437 Depth=2
	v_mov_b32_e32 v54, 0
	s_mov_b32 s29, exec_lo
	v_cmpx_ne_u32_e32 0, v100
	s_cbranch_execz .LBB2_1696
; %bb.1691:                             ;   in Loop: Header=BB2_1437 Depth=2
	v_bfe_u32 v54, v100, 23, 8
	v_and_b32_e32 v113, 0x7fffff, v100
	v_sub_nc_u32_e32 v114, 0x78, v54
	v_cmp_gt_u32_e32 vcc_lo, 0x79, v54
	v_or_b32_e32 v115, 0x800000, v113
	v_cndmask_b32_e32 v114, 0, v114, vcc_lo
	v_cmp_eq_u32_e32 vcc_lo, 0, v54
	v_add_nc_u32_e32 v54, 0xffffff89, v54
	v_cndmask_b32_e64 v114, v114, 0x77, vcc_lo
	v_cndmask_b32_e32 v113, v115, v113, vcc_lo
	v_cndmask_b32_e64 v54, v54, 0xffffff8a, vcc_lo
	v_lshl_add_u32 v115, 0x100000, v114, -1
	v_lshrrev_b32_e32 v116, v114, v113
	v_lshlrev_b32_e64 v118, v114, 0x80000
	v_add_nc_u32_e32 v114, v114, v54
	v_and_b32_e32 v113, v115, v113
	v_bfe_u32 v117, v116, 20, 1
	v_cmp_eq_u32_e64 s13, v113, v118
	v_add_nc_u32_e32 v115, -1, v117
	v_cndmask_b32_e64 v113, 0, v115, s13
	v_lshrrev_b32_e32 v115, 23, v116
	s_mov_b32 s13, exec_lo
	v_add_nc_u32_e32 v113, v113, v116
	v_xor_b32_e32 v115, 1, v115
	v_and_b32_e32 v54, 0xfffff, v113
	v_add_nc_u32_e32 v113, v54, v116
                                        ; implicit-def: $vgpr54
	v_cmpx_ne_u32_e64 v114, v115
	s_xor_b32 s13, exec_lo, s13
; %bb.1692:                             ;   in Loop: Header=BB2_1437 Depth=2
	v_cmp_lt_u32_e32 vcc_lo, 0xffffff, v113
	v_sub_nc_u32_e32 v54, v114, v115
	v_cndmask_b32_e64 v114, 0, 1, vcc_lo
	v_add_co_ci_u32_e64 v54, null, 0, v54, vcc_lo
	v_lshrrev_b32_e32 v113, v114, v113
; %bb.1693:                             ;   in Loop: Header=BB2_1437 Depth=2
	s_andn2_saveexec_b32 s13, s13
; %bb.1694:                             ;   in Loop: Header=BB2_1437 Depth=2
	v_bfe_u32 v54, v113, 23, 1
; %bb.1695:                             ;   in Loop: Header=BB2_1437 Depth=2
	s_or_b32 exec_lo, exec_lo, s13
	v_lshrrev_b32_e32 v113, 20, v113
	v_cmp_gt_i32_e32 vcc_lo, 16, v54
	v_min_i32_e32 v114, 15, v54
	v_and_b32_sdwa v100, v100, v85 dst_sel:DWORD dst_unused:UNUSED_PAD src0_sel:BYTE_3 src1_sel:DWORD
	v_cndmask_b32_e32 v113, 7, v113, vcc_lo
	v_lshlrev_b32_e32 v114, 3, v114
	v_and_b32_e32 v115, 7, v113
	v_or_b32_e32 v54, v54, v113
	v_or3_b32 v100, v114, v100, v115
	v_cmp_ne_u32_e32 vcc_lo, 0, v54
	v_cndmask_b32_e32 v54, 0, v100, vcc_lo
.LBB2_1696:                             ;   in Loop: Header=BB2_1437 Depth=2
	s_or_b32 exec_lo, exec_lo, s29
.LBB2_1697:                             ;   in Loop: Header=BB2_1437 Depth=2
	s_or_b32 exec_lo, exec_lo, s28
	v_cmp_gt_i16_sdwa s28, v49, v84 src0_sel:BYTE_0 src1_sel:DWORD
	s_mov_b32 s13, 0
	s_and_saveexec_b32 s29, s28
	s_xor_b32 s28, exec_lo, s29
	s_cbranch_execz .LBB2_1759
; %bb.1698:                             ;   in Loop: Header=BB2_1437 Depth=2
	v_cmp_eq_u16_sdwa s40, v49, v85 src0_sel:BYTE_0 src1_sel:DWORD
	s_mov_b32 s13, -1
	s_and_saveexec_b32 s29, s40
; %bb.1699:                             ;   in Loop: Header=BB2_1437 Depth=2
	s_xor_b32 s13, exec_lo, -1
; %bb.1700:                             ;   in Loop: Header=BB2_1437 Depth=2
	s_or_b32 exec_lo, exec_lo, s29
	s_and_b32 s13, s13, exec_lo
	s_or_saveexec_b32 s28, s28
	v_mov_b32_e32 v100, 0x7f800001
	s_xor_b32 exec_lo, exec_lo, s28
	s_cbranch_execnz .LBB2_1760
.LBB2_1701:                             ;   in Loop: Header=BB2_1437 Depth=2
	s_or_b32 exec_lo, exec_lo, s28
	s_and_saveexec_b32 s28, s13
	s_cbranch_execz .LBB2_1703
.LBB2_1702:                             ;   in Loop: Header=BB2_1437 Depth=2
	v_and_b32_e32 v100, 7, v49
	v_lshrrev_b16 v114, 3, v49
	v_ffbh_u32_e32 v113, v100
	v_and_b32_e32 v114, 15, v114
	v_min_u32_e32 v113, 32, v113
	v_cmp_eq_u32_e32 vcc_lo, 0, v114
	v_subrev_nc_u32_e32 v115, 28, v113
	v_sub_nc_u32_e32 v113, 29, v113
	v_lshlrev_b32_e32 v115, v115, v49
	v_lshlrev_b32_e32 v49, 24, v49
	v_cndmask_b32_e32 v113, v114, v113, vcc_lo
	v_and_b32_e32 v115, 7, v115
	v_and_b32_e32 v49, 0x80000000, v49
	v_lshl_add_u32 v113, v113, 23, 0x3b800000
	v_cndmask_b32_e32 v100, v100, v115, vcc_lo
	v_lshlrev_b32_e32 v100, 20, v100
	v_or3_b32 v100, v49, v113, v100
.LBB2_1703:                             ;   in Loop: Header=BB2_1437 Depth=2
	s_or_b32 exec_lo, exec_lo, s28
	s_waitcnt vmcnt(0) lgkmcnt(0)
	v_cmp_gt_i16_sdwa s28, v48, v84 src0_sel:BYTE_0 src1_sel:DWORD
	s_mov_b32 s13, 0
	s_and_saveexec_b32 s29, s28
	s_xor_b32 s28, exec_lo, s29
	s_cbranch_execz .LBB2_1761
; %bb.1704:                             ;   in Loop: Header=BB2_1437 Depth=2
	v_cmp_eq_u16_sdwa s40, v48, v85 src0_sel:BYTE_0 src1_sel:DWORD
	s_mov_b32 s13, -1
	s_and_saveexec_b32 s29, s40
; %bb.1705:                             ;   in Loop: Header=BB2_1437 Depth=2
	s_xor_b32 s13, exec_lo, -1
; %bb.1706:                             ;   in Loop: Header=BB2_1437 Depth=2
	s_or_b32 exec_lo, exec_lo, s29
	s_and_b32 s13, s13, exec_lo
	s_or_saveexec_b32 s28, s28
	v_mov_b32_e32 v49, 0x7f800001
	s_xor_b32 exec_lo, exec_lo, s28
	s_cbranch_execnz .LBB2_1762
.LBB2_1707:                             ;   in Loop: Header=BB2_1437 Depth=2
	s_or_b32 exec_lo, exec_lo, s28
	s_and_saveexec_b32 s28, s13
	s_cbranch_execz .LBB2_1709
.LBB2_1708:                             ;   in Loop: Header=BB2_1437 Depth=2
	v_and_b32_e32 v49, 7, v48
	v_lshrrev_b16 v114, 3, v48
	v_ffbh_u32_e32 v113, v49
	v_and_b32_e32 v114, 15, v114
	v_min_u32_e32 v113, 32, v113
	v_cmp_eq_u32_e32 vcc_lo, 0, v114
	v_subrev_nc_u32_e32 v115, 28, v113
	v_sub_nc_u32_e32 v113, 29, v113
	v_lshlrev_b32_e32 v115, v115, v48
	v_lshlrev_b32_e32 v48, 24, v48
	v_cndmask_b32_e32 v113, v114, v113, vcc_lo
	v_and_b32_e32 v115, 7, v115
	v_and_b32_e32 v48, 0x80000000, v48
	v_lshl_add_u32 v113, v113, 23, 0x3b800000
	v_cndmask_b32_e32 v49, v49, v115, vcc_lo
	v_lshlrev_b32_e32 v49, 20, v49
	v_or3_b32 v49, v48, v113, v49
.LBB2_1709:                             ;   in Loop: Header=BB2_1437 Depth=2
	s_or_b32 exec_lo, exec_lo, s28
	v_add_f32_e32 v48, v100, v49
	v_and_b32_e32 v49, 0x7f800000, v48
	v_cmp_ne_u32_e32 vcc_lo, 0x7f800000, v49
	v_mov_b32_e32 v49, 0x80
	s_and_saveexec_b32 s28, vcc_lo
	s_cbranch_execz .LBB2_1436
; %bb.1710:                             ;   in Loop: Header=BB2_1437 Depth=2
	v_mov_b32_e32 v49, 0
	s_mov_b32 s29, exec_lo
	v_cmpx_ne_u32_e32 0, v48
	s_cbranch_execz .LBB2_1435
; %bb.1711:                             ;   in Loop: Header=BB2_1437 Depth=2
	v_bfe_u32 v49, v48, 23, 8
	v_and_b32_e32 v100, 0x7fffff, v48
	v_sub_nc_u32_e32 v113, 0x78, v49
	v_cmp_gt_u32_e32 vcc_lo, 0x79, v49
	v_or_b32_e32 v114, 0x800000, v100
	v_cndmask_b32_e32 v113, 0, v113, vcc_lo
	v_cmp_eq_u32_e32 vcc_lo, 0, v49
	v_add_nc_u32_e32 v49, 0xffffff89, v49
	v_cndmask_b32_e64 v113, v113, 0x77, vcc_lo
	v_cndmask_b32_e32 v100, v114, v100, vcc_lo
	v_cndmask_b32_e64 v49, v49, 0xffffff8a, vcc_lo
	v_lshl_add_u32 v114, 0x100000, v113, -1
	v_lshrrev_b32_e32 v115, v113, v100
	v_lshlrev_b32_e64 v117, v113, 0x80000
	v_add_nc_u32_e32 v113, v113, v49
	v_and_b32_e32 v100, v114, v100
	v_bfe_u32 v116, v115, 20, 1
	v_cmp_eq_u32_e64 s13, v100, v117
	v_add_nc_u32_e32 v114, -1, v116
	v_cndmask_b32_e64 v100, 0, v114, s13
	v_lshrrev_b32_e32 v114, 23, v115
	s_mov_b32 s13, exec_lo
	v_add_nc_u32_e32 v100, v100, v115
	v_xor_b32_e32 v114, 1, v114
	v_and_b32_e32 v49, 0xfffff, v100
	v_add_nc_u32_e32 v100, v49, v115
                                        ; implicit-def: $vgpr49
	v_cmpx_ne_u32_e64 v113, v114
	s_xor_b32 s13, exec_lo, s13
; %bb.1712:                             ;   in Loop: Header=BB2_1437 Depth=2
	v_cmp_lt_u32_e32 vcc_lo, 0xffffff, v100
	v_sub_nc_u32_e32 v49, v113, v114
	v_cndmask_b32_e64 v113, 0, 1, vcc_lo
	v_add_co_ci_u32_e64 v49, null, 0, v49, vcc_lo
	v_lshrrev_b32_e32 v100, v113, v100
; %bb.1713:                             ;   in Loop: Header=BB2_1437 Depth=2
	s_andn2_saveexec_b32 s13, s13
	s_cbranch_execz .LBB2_1434
; %bb.1714:                             ;   in Loop: Header=BB2_1437 Depth=2
	v_bfe_u32 v49, v100, 23, 1
	s_branch .LBB2_1434
.LBB2_1715:                             ;   in Loop: Header=BB2_1437 Depth=2
	s_or_saveexec_b32 s28, s28
	v_mov_b32_e32 v53, 0x7f800001
	s_xor_b32 exec_lo, exec_lo, s28
	s_cbranch_execz .LBB2_1449
.LBB2_1716:                             ;   in Loop: Header=BB2_1437 Depth=2
	v_cmp_ne_u16_e32 vcc_lo, 0, v48
	v_mov_b32_e32 v53, 0
	s_andn2_b32 s13, s13, exec_lo
	s_and_b32 s29, vcc_lo, exec_lo
	s_or_b32 s13, s13, s29
	s_or_b32 exec_lo, exec_lo, s28
	s_and_saveexec_b32 s28, s13
	s_cbranch_execnz .LBB2_1450
	s_branch .LBB2_1451
.LBB2_1717:                             ;   in Loop: Header=BB2_1437 Depth=2
	s_or_saveexec_b32 s28, s28
	v_mov_b32_e32 v54, 0x7f800001
	s_xor_b32 exec_lo, exec_lo, s28
	s_cbranch_execz .LBB2_1463
.LBB2_1718:                             ;   in Loop: Header=BB2_1437 Depth=2
	v_cmp_ne_u16_e32 vcc_lo, 0, v48
	v_mov_b32_e32 v54, 0
	s_andn2_b32 s13, s13, exec_lo
	s_and_b32 s29, vcc_lo, exec_lo
	s_or_b32 s13, s13, s29
	s_or_b32 exec_lo, exec_lo, s28
	s_and_saveexec_b32 s28, s13
	s_cbranch_execnz .LBB2_1464
	s_branch .LBB2_1465
.LBB2_1719:                             ;   in Loop: Header=BB2_1437 Depth=2
	s_or_saveexec_b32 s28, s28
	v_mov_b32_e32 v54, 0x7f800001
	s_xor_b32 exec_lo, exec_lo, s28
	s_cbranch_execz .LBB2_1477
.LBB2_1720:                             ;   in Loop: Header=BB2_1437 Depth=2
	v_cmp_ne_u16_e32 vcc_lo, 0, v48
	v_mov_b32_e32 v54, 0
	s_andn2_b32 s13, s13, exec_lo
	s_and_b32 s29, vcc_lo, exec_lo
	s_or_b32 s13, s13, s29
	s_or_b32 exec_lo, exec_lo, s28
	s_and_saveexec_b32 s28, s13
	s_cbranch_execnz .LBB2_1478
	s_branch .LBB2_1479
.LBB2_1721:                             ;   in Loop: Header=BB2_1437 Depth=2
	s_or_saveexec_b32 s28, s28
	v_mov_b32_e32 v54, 0x7f800001
	s_xor_b32 exec_lo, exec_lo, s28
	s_cbranch_execz .LBB2_1491
.LBB2_1722:                             ;   in Loop: Header=BB2_1437 Depth=2
	v_cmp_ne_u16_e32 vcc_lo, 0, v48
	v_mov_b32_e32 v54, 0
	s_andn2_b32 s13, s13, exec_lo
	s_and_b32 s29, vcc_lo, exec_lo
	s_or_b32 s13, s13, s29
	s_or_b32 exec_lo, exec_lo, s28
	s_and_saveexec_b32 s28, s13
	s_cbranch_execnz .LBB2_1492
	s_branch .LBB2_1493
.LBB2_1723:                             ;   in Loop: Header=BB2_1437 Depth=2
	s_or_saveexec_b32 s28, s28
	v_mov_b32_e32 v54, 0x7f800001
	s_xor_b32 exec_lo, exec_lo, s28
	s_cbranch_execz .LBB2_1505
.LBB2_1724:                             ;   in Loop: Header=BB2_1437 Depth=2
	v_cmp_ne_u16_e32 vcc_lo, 0, v48
	v_mov_b32_e32 v54, 0
	s_andn2_b32 s13, s13, exec_lo
	s_and_b32 s29, vcc_lo, exec_lo
	s_or_b32 s13, s13, s29
	s_or_b32 exec_lo, exec_lo, s28
	s_and_saveexec_b32 s28, s13
	s_cbranch_execnz .LBB2_1506
	s_branch .LBB2_1507
.LBB2_1725:                             ;   in Loop: Header=BB2_1437 Depth=2
	s_or_saveexec_b32 s28, s28
	v_mov_b32_e32 v54, 0x7f800001
	s_xor_b32 exec_lo, exec_lo, s28
	s_cbranch_execz .LBB2_1519
.LBB2_1726:                             ;   in Loop: Header=BB2_1437 Depth=2
	v_cmp_ne_u16_e32 vcc_lo, 0, v48
	v_mov_b32_e32 v54, 0
	s_andn2_b32 s13, s13, exec_lo
	s_and_b32 s29, vcc_lo, exec_lo
	s_or_b32 s13, s13, s29
	s_or_b32 exec_lo, exec_lo, s28
	s_and_saveexec_b32 s28, s13
	s_cbranch_execnz .LBB2_1520
	s_branch .LBB2_1521
.LBB2_1727:                             ;   in Loop: Header=BB2_1437 Depth=2
	s_or_saveexec_b32 s28, s28
	v_mov_b32_e32 v54, 0x7f800001
	s_xor_b32 exec_lo, exec_lo, s28
	s_cbranch_execz .LBB2_1533
.LBB2_1728:                             ;   in Loop: Header=BB2_1437 Depth=2
	v_cmp_ne_u16_e32 vcc_lo, 0, v48
	v_mov_b32_e32 v54, 0
	s_andn2_b32 s13, s13, exec_lo
	s_and_b32 s29, vcc_lo, exec_lo
	s_or_b32 s13, s13, s29
	s_or_b32 exec_lo, exec_lo, s28
	s_and_saveexec_b32 s28, s13
	s_cbranch_execnz .LBB2_1534
	s_branch .LBB2_1535
.LBB2_1729:                             ;   in Loop: Header=BB2_1437 Depth=2
	s_or_saveexec_b32 s28, s28
	v_mov_b32_e32 v100, 0x7f800001
	s_xor_b32 exec_lo, exec_lo, s28
	s_cbranch_execz .LBB2_1547
.LBB2_1730:                             ;   in Loop: Header=BB2_1437 Depth=2
	v_cmp_ne_u16_e32 vcc_lo, 0, v48
	v_mov_b32_e32 v100, 0
	s_andn2_b32 s13, s13, exec_lo
	s_and_b32 s29, vcc_lo, exec_lo
	s_or_b32 s13, s13, s29
	s_or_b32 exec_lo, exec_lo, s28
	s_and_saveexec_b32 s28, s13
	s_cbranch_execnz .LBB2_1548
	s_branch .LBB2_1549
.LBB2_1731:                             ;   in Loop: Header=BB2_1437 Depth=2
	s_or_saveexec_b32 s28, s28
	v_mov_b32_e32 v119, 0x7f800001
	s_xor_b32 exec_lo, exec_lo, s28
	s_cbranch_execz .LBB2_1561
.LBB2_1732:                             ;   in Loop: Header=BB2_1437 Depth=2
	v_cmp_ne_u16_sdwa s29, v53, v32 src0_sel:BYTE_0 src1_sel:DWORD
	v_mov_b32_e32 v119, 0
	s_andn2_b32 s13, s13, exec_lo
	s_and_b32 s29, s29, exec_lo
	s_or_b32 s13, s13, s29
	s_or_b32 exec_lo, exec_lo, s28
	s_and_saveexec_b32 s28, s13
	s_cbranch_execnz .LBB2_1562
	s_branch .LBB2_1563
.LBB2_1733:                             ;   in Loop: Header=BB2_1437 Depth=2
	s_or_saveexec_b32 s28, s28
	v_mov_b32_e32 v53, 0x7f800001
	s_xor_b32 exec_lo, exec_lo, s28
	s_cbranch_execz .LBB2_1567
.LBB2_1734:                             ;   in Loop: Header=BB2_1437 Depth=2
	v_cmp_ne_u16_sdwa s29, v118, v32 src0_sel:BYTE_0 src1_sel:DWORD
	v_mov_b32_e32 v53, 0
	s_andn2_b32 s13, s13, exec_lo
	s_and_b32 s29, s29, exec_lo
	s_or_b32 s13, s13, s29
	s_or_b32 exec_lo, exec_lo, s28
	s_and_saveexec_b32 s28, s13
	s_cbranch_execnz .LBB2_1568
	s_branch .LBB2_1569
.LBB2_1735:                             ;   in Loop: Header=BB2_1437 Depth=2
	s_or_saveexec_b32 s28, s28
	v_mov_b32_e32 v118, 0x7f800001
	s_xor_b32 exec_lo, exec_lo, s28
	s_cbranch_execz .LBB2_1581
.LBB2_1736:                             ;   in Loop: Header=BB2_1437 Depth=2
	v_cmp_ne_u16_sdwa s29, v103, v32 src0_sel:BYTE_0 src1_sel:DWORD
	v_mov_b32_e32 v118, 0
	s_andn2_b32 s13, s13, exec_lo
	s_and_b32 s29, s29, exec_lo
	s_or_b32 s13, s13, s29
	s_or_b32 exec_lo, exec_lo, s28
	s_and_saveexec_b32 s28, s13
	s_cbranch_execnz .LBB2_1582
	s_branch .LBB2_1583
.LBB2_1737:                             ;   in Loop: Header=BB2_1437 Depth=2
	s_or_saveexec_b32 s28, s28
	v_mov_b32_e32 v103, 0x7f800001
	s_xor_b32 exec_lo, exec_lo, s28
	s_cbranch_execz .LBB2_1587
.LBB2_1738:                             ;   in Loop: Header=BB2_1437 Depth=2
	v_cmp_ne_u16_sdwa s29, v117, v32 src0_sel:BYTE_0 src1_sel:DWORD
	v_mov_b32_e32 v103, 0
	s_andn2_b32 s13, s13, exec_lo
	s_and_b32 s29, s29, exec_lo
	s_or_b32 s13, s13, s29
	s_or_b32 exec_lo, exec_lo, s28
	s_and_saveexec_b32 s28, s13
	s_cbranch_execnz .LBB2_1588
	s_branch .LBB2_1589
.LBB2_1739:                             ;   in Loop: Header=BB2_1437 Depth=2
	s_or_saveexec_b32 s28, s28
	v_mov_b32_e32 v117, 0x7f800001
	s_xor_b32 exec_lo, exec_lo, s28
	s_cbranch_execz .LBB2_1601
.LBB2_1740:                             ;   in Loop: Header=BB2_1437 Depth=2
	v_cmp_ne_u16_sdwa s29, v112, v32 src0_sel:BYTE_0 src1_sel:DWORD
	v_mov_b32_e32 v117, 0
	s_andn2_b32 s13, s13, exec_lo
	s_and_b32 s29, s29, exec_lo
	s_or_b32 s13, s13, s29
	s_or_b32 exec_lo, exec_lo, s28
	s_and_saveexec_b32 s28, s13
	s_cbranch_execnz .LBB2_1602
	s_branch .LBB2_1603
.LBB2_1741:                             ;   in Loop: Header=BB2_1437 Depth=2
	s_or_saveexec_b32 s28, s28
	v_mov_b32_e32 v112, 0x7f800001
	s_xor_b32 exec_lo, exec_lo, s28
	s_cbranch_execz .LBB2_1607
.LBB2_1742:                             ;   in Loop: Header=BB2_1437 Depth=2
	v_cmp_ne_u16_sdwa s29, v116, v32 src0_sel:BYTE_0 src1_sel:DWORD
	v_mov_b32_e32 v112, 0
	s_andn2_b32 s13, s13, exec_lo
	s_and_b32 s29, s29, exec_lo
	s_or_b32 s13, s13, s29
	s_or_b32 exec_lo, exec_lo, s28
	s_and_saveexec_b32 s28, s13
	s_cbranch_execnz .LBB2_1608
	s_branch .LBB2_1609
.LBB2_1743:                             ;   in Loop: Header=BB2_1437 Depth=2
	s_or_saveexec_b32 s28, s28
	v_mov_b32_e32 v116, 0x7f800001
	s_xor_b32 exec_lo, exec_lo, s28
	s_cbranch_execz .LBB2_1621
.LBB2_1744:                             ;   in Loop: Header=BB2_1437 Depth=2
	v_cmp_ne_u16_sdwa s29, v102, v32 src0_sel:BYTE_0 src1_sel:DWORD
	v_mov_b32_e32 v116, 0
	s_andn2_b32 s13, s13, exec_lo
	s_and_b32 s29, s29, exec_lo
	s_or_b32 s13, s13, s29
	s_or_b32 exec_lo, exec_lo, s28
	s_and_saveexec_b32 s28, s13
	s_cbranch_execnz .LBB2_1622
	s_branch .LBB2_1623
.LBB2_1745:                             ;   in Loop: Header=BB2_1437 Depth=2
	s_or_saveexec_b32 s28, s28
	v_mov_b32_e32 v102, 0x7f800001
	s_xor_b32 exec_lo, exec_lo, s28
	s_cbranch_execz .LBB2_1627
.LBB2_1746:                             ;   in Loop: Header=BB2_1437 Depth=2
	v_cmp_ne_u16_sdwa s29, v115, v32 src0_sel:BYTE_0 src1_sel:DWORD
	v_mov_b32_e32 v102, 0
	s_andn2_b32 s13, s13, exec_lo
	s_and_b32 s29, s29, exec_lo
	s_or_b32 s13, s13, s29
	s_or_b32 exec_lo, exec_lo, s28
	s_and_saveexec_b32 s28, s13
	s_cbranch_execnz .LBB2_1628
	s_branch .LBB2_1629
.LBB2_1747:                             ;   in Loop: Header=BB2_1437 Depth=2
	s_or_saveexec_b32 s28, s28
	v_mov_b32_e32 v115, 0x7f800001
	s_xor_b32 exec_lo, exec_lo, s28
	s_cbranch_execz .LBB2_1641
.LBB2_1748:                             ;   in Loop: Header=BB2_1437 Depth=2
	v_cmp_ne_u16_sdwa s29, v101, v32 src0_sel:BYTE_0 src1_sel:DWORD
	v_mov_b32_e32 v115, 0
	s_andn2_b32 s13, s13, exec_lo
	s_and_b32 s29, s29, exec_lo
	s_or_b32 s13, s13, s29
	s_or_b32 exec_lo, exec_lo, s28
	s_and_saveexec_b32 s28, s13
	s_cbranch_execnz .LBB2_1642
	s_branch .LBB2_1643
.LBB2_1749:                             ;   in Loop: Header=BB2_1437 Depth=2
	s_or_saveexec_b32 s28, s28
	v_mov_b32_e32 v101, 0x7f800001
	s_xor_b32 exec_lo, exec_lo, s28
	s_cbranch_execz .LBB2_1647
.LBB2_1750:                             ;   in Loop: Header=BB2_1437 Depth=2
	v_cmp_ne_u16_sdwa s29, v114, v32 src0_sel:BYTE_0 src1_sel:DWORD
	v_mov_b32_e32 v101, 0
	s_andn2_b32 s13, s13, exec_lo
	s_and_b32 s29, s29, exec_lo
	s_or_b32 s13, s13, s29
	s_or_b32 exec_lo, exec_lo, s28
	s_and_saveexec_b32 s28, s13
	s_cbranch_execnz .LBB2_1648
	s_branch .LBB2_1649
.LBB2_1751:                             ;   in Loop: Header=BB2_1437 Depth=2
	s_or_saveexec_b32 s28, s28
	v_mov_b32_e32 v114, 0x7f800001
	s_xor_b32 exec_lo, exec_lo, s28
	s_cbranch_execz .LBB2_1661
.LBB2_1752:                             ;   in Loop: Header=BB2_1437 Depth=2
	v_cmp_ne_u16_sdwa s29, v55, v32 src0_sel:BYTE_0 src1_sel:DWORD
	v_mov_b32_e32 v114, 0
	s_andn2_b32 s13, s13, exec_lo
	s_and_b32 s29, s29, exec_lo
	s_or_b32 s13, s13, s29
	s_or_b32 exec_lo, exec_lo, s28
	s_and_saveexec_b32 s28, s13
	s_cbranch_execnz .LBB2_1662
	s_branch .LBB2_1663
.LBB2_1753:                             ;   in Loop: Header=BB2_1437 Depth=2
	s_or_saveexec_b32 s28, s28
	v_mov_b32_e32 v55, 0x7f800001
	s_xor_b32 exec_lo, exec_lo, s28
	s_cbranch_execz .LBB2_1667
.LBB2_1754:                             ;   in Loop: Header=BB2_1437 Depth=2
	v_cmp_ne_u16_sdwa s29, v113, v32 src0_sel:BYTE_0 src1_sel:DWORD
	v_mov_b32_e32 v55, 0
	s_andn2_b32 s13, s13, exec_lo
	s_and_b32 s29, s29, exec_lo
	s_or_b32 s13, s13, s29
	s_or_b32 exec_lo, exec_lo, s28
	s_and_saveexec_b32 s28, s13
	s_cbranch_execnz .LBB2_1668
	s_branch .LBB2_1669
.LBB2_1755:                             ;   in Loop: Header=BB2_1437 Depth=2
	s_or_saveexec_b32 s28, s28
	v_mov_b32_e32 v113, 0x7f800001
	s_xor_b32 exec_lo, exec_lo, s28
	s_cbranch_execz .LBB2_1681
.LBB2_1756:                             ;   in Loop: Header=BB2_1437 Depth=2
	v_cmp_ne_u16_sdwa s29, v54, v32 src0_sel:BYTE_0 src1_sel:DWORD
	v_mov_b32_e32 v113, 0
	s_andn2_b32 s13, s13, exec_lo
	s_and_b32 s29, s29, exec_lo
	s_or_b32 s13, s13, s29
	s_or_b32 exec_lo, exec_lo, s28
	s_and_saveexec_b32 s28, s13
	s_cbranch_execnz .LBB2_1682
	s_branch .LBB2_1683
.LBB2_1757:                             ;   in Loop: Header=BB2_1437 Depth=2
	s_or_saveexec_b32 s28, s28
	v_mov_b32_e32 v54, 0x7f800001
	s_xor_b32 exec_lo, exec_lo, s28
	s_cbranch_execz .LBB2_1687
.LBB2_1758:                             ;   in Loop: Header=BB2_1437 Depth=2
	v_cmp_ne_u16_sdwa s29, v100, v32 src0_sel:BYTE_0 src1_sel:DWORD
	v_mov_b32_e32 v54, 0
	s_andn2_b32 s13, s13, exec_lo
	s_and_b32 s29, s29, exec_lo
	s_or_b32 s13, s13, s29
	s_or_b32 exec_lo, exec_lo, s28
	s_and_saveexec_b32 s28, s13
	s_cbranch_execnz .LBB2_1688
	s_branch .LBB2_1689
.LBB2_1759:                             ;   in Loop: Header=BB2_1437 Depth=2
	s_or_saveexec_b32 s28, s28
	v_mov_b32_e32 v100, 0x7f800001
	s_xor_b32 exec_lo, exec_lo, s28
	s_cbranch_execz .LBB2_1701
.LBB2_1760:                             ;   in Loop: Header=BB2_1437 Depth=2
	v_cmp_ne_u16_sdwa s29, v49, v32 src0_sel:BYTE_0 src1_sel:DWORD
	v_mov_b32_e32 v100, 0
	s_andn2_b32 s13, s13, exec_lo
	s_and_b32 s29, s29, exec_lo
	s_or_b32 s13, s13, s29
	s_or_b32 exec_lo, exec_lo, s28
	s_and_saveexec_b32 s28, s13
	s_cbranch_execnz .LBB2_1702
	s_branch .LBB2_1703
.LBB2_1761:                             ;   in Loop: Header=BB2_1437 Depth=2
	s_or_saveexec_b32 s28, s28
	v_mov_b32_e32 v49, 0x7f800001
	s_xor_b32 exec_lo, exec_lo, s28
	s_cbranch_execz .LBB2_1707
.LBB2_1762:                             ;   in Loop: Header=BB2_1437 Depth=2
	v_cmp_ne_u16_sdwa s29, v48, v32 src0_sel:BYTE_0 src1_sel:DWORD
	v_mov_b32_e32 v49, 0
	s_andn2_b32 s13, s13, exec_lo
	s_and_b32 s29, s29, exec_lo
	s_or_b32 s13, s13, s29
	s_or_b32 exec_lo, exec_lo, s28
	s_and_saveexec_b32 s28, s13
	s_cbranch_execnz .LBB2_1708
	s_branch .LBB2_1709
.LBB2_1763:                             ;   in Loop: Header=BB2_49 Depth=1
	s_or_b32 exec_lo, exec_lo, s27
.LBB2_1764:                             ;   in Loop: Header=BB2_49 Depth=1
	s_or_b32 exec_lo, exec_lo, s26
	v_and_b32_e32 v10, 0x7fffff00, v99
	v_cmp_ne_u32_e32 vcc_lo, v99, v10
	s_and_b32 exec_lo, exec_lo, vcc_lo
	s_cbranch_execz .LBB2_1816
; %bb.1765:                             ;   in Loop: Header=BB2_49 Depth=1
	v_lshlrev_b32_e32 v11, 5, v51
	v_lshlrev_b32_e32 v12, 5, v52
	v_sub_nc_u32_e32 v11, v50, v11
	v_sub_nc_u32_e32 v11, v11, v12
	v_sub_nc_u32_sdwa v50, v99, v11 dst_sel:DWORD dst_unused:UNUSED_PAD src0_sel:BYTE_0 src1_sel:DWORD
	v_cmp_lt_i32_e32 vcc_lo, 0, v50
	s_and_b32 exec_lo, exec_lo, vcc_lo
	s_cbranch_execz .LBB2_1816
; %bb.1766:                             ;   in Loop: Header=BB2_49 Depth=1
	s_trap 2
	ds_read_b128 v[51:54], v0
	ds_read_b64 v[38:39], v0
	v_add3_u32 v48, v10, v98, v11
	s_mov_b32 s26, 0
	v_ashrrev_i32_e32 v49, 31, v48
	s_waitcnt lgkmcnt(1)
	v_add_co_u32 v10, vcc_lo, v51, v48
	v_add_co_ci_u32_e64 v11, null, v52, v49, vcc_lo
	v_add_co_u32 v12, vcc_lo, v53, v48
	v_add_co_ci_u32_e64 v13, null, v54, v49, vcc_lo
	s_waitcnt lgkmcnt(0)
	v_add_co_u32 v38, vcc_lo, v38, v48
	v_add_co_ci_u32_e64 v39, null, v39, v49, vcc_lo
	s_branch .LBB2_1770
.LBB2_1767:                             ;   in Loop: Header=BB2_1770 Depth=2
	s_or_b32 exec_lo, exec_lo, s13
	v_lshrrev_b32_e32 v51, 20, v51
	v_cmp_gt_i32_e32 vcc_lo, 16, v49
	v_min_i32_e32 v52, 15, v49
	v_and_b32_sdwa v48, v48, v85 dst_sel:DWORD dst_unused:UNUSED_PAD src0_sel:BYTE_3 src1_sel:DWORD
	v_cndmask_b32_e32 v51, 7, v51, vcc_lo
	v_lshlrev_b32_e32 v52, 3, v52
	v_and_b32_e32 v53, 7, v51
	v_or_b32_e32 v49, v49, v51
	v_or3_b32 v48, v52, v48, v53
	v_cmp_ne_u32_e32 vcc_lo, 0, v49
	v_cndmask_b32_e32 v49, 0, v48, vcc_lo
.LBB2_1768:                             ;   in Loop: Header=BB2_1770 Depth=2
	s_or_b32 exec_lo, exec_lo, s28
.LBB2_1769:                             ;   in Loop: Header=BB2_1770 Depth=2
	s_or_b32 exec_lo, exec_lo, s27
	v_sub_nc_u32_e32 v50, v50, v81
	v_add_co_u32 v10, vcc_lo, v10, v81
	v_add_co_ci_u32_e64 v11, null, 0, v11, vcc_lo
	v_add_co_u32 v12, vcc_lo, v12, v81
	flat_store_byte v[38:39], v49 glc slc
	v_add_co_ci_u32_e64 v13, null, 0, v13, vcc_lo
	v_cmp_gt_i32_e32 vcc_lo, 1, v50
	v_add_co_u32 v38, s13, v38, v81
	v_add_co_ci_u32_e64 v39, null, 0, v39, s13
	s_or_b32 s26, vcc_lo, s26
	s_andn2_b32 exec_lo, exec_lo, s26
	s_cbranch_execz .LBB2_1816
.LBB2_1770:                             ;   Parent Loop BB2_49 Depth=1
                                        ; =>  This Inner Loop Header: Depth=2
	s_trap 2
	ds_read_b64 v[48:49], v0
	s_waitcnt lgkmcnt(0)
	v_readfirstlane_b32 s13, v48
	s_and_b32 s27, s13, 0xff
	s_cmpk_lt_i32 s27, 0x80
	s_cbranch_scc1 .LBB2_1774
; %bb.1771:                             ;   in Loop: Header=BB2_1770 Depth=2
	s_and_b32 s28, 0xffff, s27
	s_cmpk_eq_i32 s28, 0x80
	s_mov_b32 s28, -1
	s_cbranch_scc0 .LBB2_1773
; %bb.1772:                             ;   in Loop: Header=BB2_1770 Depth=2
	s_mov_b32 s28, 0
.LBB2_1773:                             ;   in Loop: Header=BB2_1770 Depth=2
	s_mov_b32 s29, 0x7f800001
	s_branch .LBB2_1776
.LBB2_1774:                             ;   in Loop: Header=BB2_1770 Depth=2
	s_mov_b32 s28, 0
	s_mov_b32 s29, 0x7f800001
	s_cbranch_execz .LBB2_1776
; %bb.1775:                             ;   in Loop: Header=BB2_1770 Depth=2
	s_and_b32 s27, 0xffff, s27
	s_mov_b32 s29, 0
	s_cmp_lg_u32 s27, 0
	s_cselect_b32 s28, -1, 0
.LBB2_1776:                             ;   in Loop: Header=BB2_1770 Depth=2
	v_mov_b32_e32 v49, s29
	s_andn2_b32 vcc_lo, exec_lo, s28
	s_cbranch_vccnz .LBB2_1778
; %bb.1777:                             ;   in Loop: Header=BB2_1770 Depth=2
	s_and_b32 s27, s13, 7
	s_bfe_u32 s29, s13, 0x40003
	s_flbit_i32_b32 s28, s27
	v_lshlrev_b32_e32 v48, 24, v48
	s_min_u32 s28, s28, 32
	s_sub_i32 s40, s28, 28
	s_sub_i32 s28, 29, s28
	s_lshl_b32 s13, s13, s40
	v_and_b32_e32 v48, 0x80000000, v48
	s_and_b32 s13, s13, 7
	s_cmp_eq_u32 s29, 0
	s_cselect_b32 s28, s28, s29
	s_cselect_b32 s13, s13, s27
	s_lshl_b32 s27, s28, 23
	s_lshl_b32 s13, s13, 20
	s_add_i32 s27, s27, 0x3b800000
	v_or_b32_e32 v48, s27, v48
	v_or_b32_e32 v49, s13, v48
.LBB2_1778:                             ;   in Loop: Header=BB2_1770 Depth=2
	flat_load_ubyte v48, v[10:11] slc
	s_mov_b32 s13, 0
	s_mov_b32 s27, exec_lo
	s_waitcnt vmcnt(0) lgkmcnt(0)
	v_cmpx_lt_i16_e32 0x7f, v48
	s_xor_b32 s27, exec_lo, s27
	s_cbranch_execz .LBB2_1810
; %bb.1779:                             ;   in Loop: Header=BB2_1770 Depth=2
	s_mov_b32 s13, -1
	s_mov_b32 s28, exec_lo
	v_cmpx_eq_u16_e32 0x80, v48
; %bb.1780:                             ;   in Loop: Header=BB2_1770 Depth=2
	s_xor_b32 s13, exec_lo, -1
; %bb.1781:                             ;   in Loop: Header=BB2_1770 Depth=2
	s_or_b32 exec_lo, exec_lo, s28
	s_and_b32 s13, s13, exec_lo
	s_or_saveexec_b32 s27, s27
	v_mov_b32_e32 v51, 0x7f800001
	s_xor_b32 exec_lo, exec_lo, s27
	s_cbranch_execnz .LBB2_1811
.LBB2_1782:                             ;   in Loop: Header=BB2_1770 Depth=2
	s_or_b32 exec_lo, exec_lo, s27
	s_and_saveexec_b32 s27, s13
	s_cbranch_execz .LBB2_1784
.LBB2_1783:                             ;   in Loop: Header=BB2_1770 Depth=2
	v_and_b32_e32 v51, 0xffff, v48
	v_lshlrev_b32_e32 v48, 24, v48
	v_and_b32_e32 v52, 7, v51
	v_bfe_u32 v55, v51, 3, 4
	v_and_b32_e32 v48, 0x80000000, v48
	v_ffbh_u32_e32 v53, v52
	v_cmp_eq_u32_e32 vcc_lo, 0, v55
	v_min_u32_e32 v53, 32, v53
	v_subrev_nc_u32_e32 v54, 28, v53
	v_sub_nc_u32_e32 v53, 29, v53
	v_lshlrev_b32_e32 v51, v54, v51
	v_cndmask_b32_e32 v53, v55, v53, vcc_lo
	v_and_b32_e32 v51, 7, v51
	v_cndmask_b32_e32 v51, v52, v51, vcc_lo
	v_lshl_add_u32 v52, v53, 23, 0x3b800000
	v_lshlrev_b32_e32 v51, 20, v51
	v_or3_b32 v51, v48, v52, v51
.LBB2_1784:                             ;   in Loop: Header=BB2_1770 Depth=2
	s_or_b32 exec_lo, exec_lo, s27
	v_mul_f32_e32 v48, v49, v51
	v_mov_b32_e32 v51, 0x80
	s_mov_b32 s27, exec_lo
	v_and_b32_e32 v49, 0x7f800000, v48
	v_cmpx_ne_u32_e32 0x7f800000, v49
	s_cbranch_execz .LBB2_1792
; %bb.1785:                             ;   in Loop: Header=BB2_1770 Depth=2
	v_mov_b32_e32 v51, 0
	s_mov_b32 s28, exec_lo
	v_cmpx_ne_u32_e32 0, v48
	s_cbranch_execz .LBB2_1791
; %bb.1786:                             ;   in Loop: Header=BB2_1770 Depth=2
	v_bfe_u32 v49, v48, 23, 8
	v_and_b32_e32 v51, 0x7fffff, v48
	v_sub_nc_u32_e32 v52, 0x78, v49
	v_cmp_gt_u32_e32 vcc_lo, 0x79, v49
	v_or_b32_e32 v53, 0x800000, v51
	v_cndmask_b32_e32 v52, 0, v52, vcc_lo
	v_cmp_eq_u32_e32 vcc_lo, 0, v49
	v_add_nc_u32_e32 v49, 0xffffff89, v49
	v_cndmask_b32_e64 v52, v52, 0x77, vcc_lo
	v_cndmask_b32_e32 v51, v53, v51, vcc_lo
	v_cndmask_b32_e64 v49, v49, 0xffffff8a, vcc_lo
	v_lshl_add_u32 v53, 0x100000, v52, -1
	v_lshrrev_b32_e32 v54, v52, v51
	v_lshlrev_b32_e64 v98, v52, 0x80000
	v_add_nc_u32_e32 v52, v52, v49
	v_and_b32_e32 v51, v53, v51
	v_bfe_u32 v55, v54, 20, 1
	v_cmp_eq_u32_e64 s13, v51, v98
	v_add_nc_u32_e32 v53, -1, v55
	v_cndmask_b32_e64 v51, 0, v53, s13
	v_lshrrev_b32_e32 v53, 23, v54
	s_mov_b32 s13, exec_lo
	v_add_nc_u32_e32 v51, v51, v54
	v_xor_b32_e32 v53, 1, v53
	v_and_b32_e32 v49, 0xfffff, v51
	v_add_nc_u32_e32 v51, v49, v54
                                        ; implicit-def: $vgpr49
	v_cmpx_ne_u32_e64 v52, v53
	s_xor_b32 s13, exec_lo, s13
; %bb.1787:                             ;   in Loop: Header=BB2_1770 Depth=2
	v_cmp_lt_u32_e32 vcc_lo, 0xffffff, v51
	v_sub_nc_u32_e32 v49, v52, v53
	v_cndmask_b32_e64 v52, 0, 1, vcc_lo
	v_add_co_ci_u32_e64 v49, null, 0, v49, vcc_lo
	v_lshrrev_b32_e32 v51, v52, v51
; %bb.1788:                             ;   in Loop: Header=BB2_1770 Depth=2
	s_andn2_saveexec_b32 s13, s13
; %bb.1789:                             ;   in Loop: Header=BB2_1770 Depth=2
	v_bfe_u32 v49, v51, 23, 1
; %bb.1790:                             ;   in Loop: Header=BB2_1770 Depth=2
	s_or_b32 exec_lo, exec_lo, s13
	v_lshrrev_b32_e32 v51, 20, v51
	v_cmp_gt_i32_e32 vcc_lo, 16, v49
	v_min_i32_e32 v52, 15, v49
	v_and_b32_sdwa v48, v48, v85 dst_sel:DWORD dst_unused:UNUSED_PAD src0_sel:BYTE_3 src1_sel:DWORD
	v_cndmask_b32_e32 v51, 7, v51, vcc_lo
	v_lshlrev_b32_e32 v52, 3, v52
	v_and_b32_e32 v53, 7, v51
	v_or_b32_e32 v49, v49, v51
	v_or3_b32 v48, v52, v48, v53
	v_cmp_ne_u32_e32 vcc_lo, 0, v49
	v_cndmask_b32_e32 v51, 0, v48, vcc_lo
.LBB2_1791:                             ;   in Loop: Header=BB2_1770 Depth=2
	s_or_b32 exec_lo, exec_lo, s28
.LBB2_1792:                             ;   in Loop: Header=BB2_1770 Depth=2
	s_or_b32 exec_lo, exec_lo, s27
	flat_load_ubyte v48, v[12:13] slc
	v_cmp_gt_i16_sdwa s27, v51, v84 src0_sel:BYTE_0 src1_sel:DWORD
	s_mov_b32 s13, 0
	s_and_saveexec_b32 s28, s27
	s_xor_b32 s27, exec_lo, s28
	s_cbranch_execz .LBB2_1812
; %bb.1793:                             ;   in Loop: Header=BB2_1770 Depth=2
	v_cmp_eq_u16_sdwa s29, v51, v85 src0_sel:BYTE_0 src1_sel:DWORD
	s_mov_b32 s13, -1
	s_and_saveexec_b32 s28, s29
; %bb.1794:                             ;   in Loop: Header=BB2_1770 Depth=2
	s_xor_b32 s13, exec_lo, -1
; %bb.1795:                             ;   in Loop: Header=BB2_1770 Depth=2
	s_or_b32 exec_lo, exec_lo, s28
	s_and_b32 s13, s13, exec_lo
	s_or_saveexec_b32 s27, s27
	v_mov_b32_e32 v49, 0x7f800001
	s_xor_b32 exec_lo, exec_lo, s27
	s_cbranch_execnz .LBB2_1813
.LBB2_1796:                             ;   in Loop: Header=BB2_1770 Depth=2
	s_or_b32 exec_lo, exec_lo, s27
	s_and_saveexec_b32 s27, s13
	s_cbranch_execz .LBB2_1798
.LBB2_1797:                             ;   in Loop: Header=BB2_1770 Depth=2
	v_and_b32_e32 v49, 7, v51
	v_lshrrev_b16 v53, 3, v51
	v_ffbh_u32_e32 v52, v49
	v_and_b32_e32 v53, 15, v53
	v_min_u32_e32 v52, 32, v52
	v_cmp_eq_u32_e32 vcc_lo, 0, v53
	v_subrev_nc_u32_e32 v54, 28, v52
	v_sub_nc_u32_e32 v52, 29, v52
	v_lshlrev_b32_e32 v54, v54, v51
	v_lshlrev_b32_e32 v51, 24, v51
	v_cndmask_b32_e32 v52, v53, v52, vcc_lo
	v_and_b32_e32 v54, 7, v54
	v_and_b32_e32 v51, 0x80000000, v51
	v_lshl_add_u32 v52, v52, 23, 0x3b800000
	v_cndmask_b32_e32 v49, v49, v54, vcc_lo
	v_lshlrev_b32_e32 v49, 20, v49
	v_or3_b32 v49, v51, v52, v49
.LBB2_1798:                             ;   in Loop: Header=BB2_1770 Depth=2
	s_or_b32 exec_lo, exec_lo, s27
	s_waitcnt vmcnt(0) lgkmcnt(0)
	v_cmp_gt_i16_sdwa s27, v48, v84 src0_sel:BYTE_0 src1_sel:DWORD
	s_mov_b32 s13, 0
	s_and_saveexec_b32 s28, s27
	s_xor_b32 s27, exec_lo, s28
	s_cbranch_execz .LBB2_1814
; %bb.1799:                             ;   in Loop: Header=BB2_1770 Depth=2
	v_cmp_eq_u16_sdwa s29, v48, v85 src0_sel:BYTE_0 src1_sel:DWORD
	s_mov_b32 s13, -1
	s_and_saveexec_b32 s28, s29
; %bb.1800:                             ;   in Loop: Header=BB2_1770 Depth=2
	s_xor_b32 s13, exec_lo, -1
; %bb.1801:                             ;   in Loop: Header=BB2_1770 Depth=2
	s_or_b32 exec_lo, exec_lo, s28
	s_and_b32 s13, s13, exec_lo
	s_or_saveexec_b32 s27, s27
	v_mov_b32_e32 v51, 0x7f800001
	s_xor_b32 exec_lo, exec_lo, s27
	s_cbranch_execnz .LBB2_1815
.LBB2_1802:                             ;   in Loop: Header=BB2_1770 Depth=2
	s_or_b32 exec_lo, exec_lo, s27
	s_and_saveexec_b32 s27, s13
	s_cbranch_execz .LBB2_1804
.LBB2_1803:                             ;   in Loop: Header=BB2_1770 Depth=2
	v_and_b32_e32 v51, 7, v48
	v_lshrrev_b16 v53, 3, v48
	v_ffbh_u32_e32 v52, v51
	v_and_b32_e32 v53, 15, v53
	v_min_u32_e32 v52, 32, v52
	v_cmp_eq_u32_e32 vcc_lo, 0, v53
	v_subrev_nc_u32_e32 v54, 28, v52
	v_sub_nc_u32_e32 v52, 29, v52
	v_lshlrev_b32_e32 v54, v54, v48
	v_lshlrev_b32_e32 v48, 24, v48
	v_cndmask_b32_e32 v52, v53, v52, vcc_lo
	v_and_b32_e32 v54, 7, v54
	v_and_b32_e32 v48, 0x80000000, v48
	v_lshl_add_u32 v52, v52, 23, 0x3b800000
	v_cndmask_b32_e32 v51, v51, v54, vcc_lo
	v_lshlrev_b32_e32 v51, 20, v51
	v_or3_b32 v51, v48, v52, v51
.LBB2_1804:                             ;   in Loop: Header=BB2_1770 Depth=2
	s_or_b32 exec_lo, exec_lo, s27
	v_add_f32_e32 v48, v49, v51
	v_and_b32_e32 v49, 0x7f800000, v48
	v_cmp_ne_u32_e32 vcc_lo, 0x7f800000, v49
	v_mov_b32_e32 v49, 0x80
	s_and_saveexec_b32 s27, vcc_lo
	s_cbranch_execz .LBB2_1769
; %bb.1805:                             ;   in Loop: Header=BB2_1770 Depth=2
	v_mov_b32_e32 v49, 0
	s_mov_b32 s28, exec_lo
	v_cmpx_ne_u32_e32 0, v48
	s_cbranch_execz .LBB2_1768
; %bb.1806:                             ;   in Loop: Header=BB2_1770 Depth=2
	v_bfe_u32 v49, v48, 23, 8
	v_and_b32_e32 v51, 0x7fffff, v48
	v_sub_nc_u32_e32 v52, 0x78, v49
	v_cmp_gt_u32_e32 vcc_lo, 0x79, v49
	v_or_b32_e32 v53, 0x800000, v51
	v_cndmask_b32_e32 v52, 0, v52, vcc_lo
	v_cmp_eq_u32_e32 vcc_lo, 0, v49
	v_add_nc_u32_e32 v49, 0xffffff89, v49
	v_cndmask_b32_e64 v52, v52, 0x77, vcc_lo
	v_cndmask_b32_e32 v51, v53, v51, vcc_lo
	v_cndmask_b32_e64 v49, v49, 0xffffff8a, vcc_lo
	v_lshl_add_u32 v53, 0x100000, v52, -1
	v_lshrrev_b32_e32 v54, v52, v51
	v_lshlrev_b32_e64 v98, v52, 0x80000
	v_add_nc_u32_e32 v52, v52, v49
	v_and_b32_e32 v51, v53, v51
	v_bfe_u32 v55, v54, 20, 1
	v_cmp_eq_u32_e64 s13, v51, v98
	v_add_nc_u32_e32 v53, -1, v55
	v_cndmask_b32_e64 v51, 0, v53, s13
	v_lshrrev_b32_e32 v53, 23, v54
	s_mov_b32 s13, exec_lo
	v_add_nc_u32_e32 v51, v51, v54
	v_xor_b32_e32 v53, 1, v53
	v_and_b32_e32 v49, 0xfffff, v51
	v_add_nc_u32_e32 v51, v49, v54
                                        ; implicit-def: $vgpr49
	v_cmpx_ne_u32_e64 v52, v53
	s_xor_b32 s13, exec_lo, s13
; %bb.1807:                             ;   in Loop: Header=BB2_1770 Depth=2
	v_cmp_lt_u32_e32 vcc_lo, 0xffffff, v51
	v_sub_nc_u32_e32 v49, v52, v53
	v_cndmask_b32_e64 v52, 0, 1, vcc_lo
	v_add_co_ci_u32_e64 v49, null, 0, v49, vcc_lo
	v_lshrrev_b32_e32 v51, v52, v51
; %bb.1808:                             ;   in Loop: Header=BB2_1770 Depth=2
	s_andn2_saveexec_b32 s13, s13
	s_cbranch_execz .LBB2_1767
; %bb.1809:                             ;   in Loop: Header=BB2_1770 Depth=2
	v_bfe_u32 v49, v51, 23, 1
	s_branch .LBB2_1767
.LBB2_1810:                             ;   in Loop: Header=BB2_1770 Depth=2
	s_or_saveexec_b32 s27, s27
	v_mov_b32_e32 v51, 0x7f800001
	s_xor_b32 exec_lo, exec_lo, s27
	s_cbranch_execz .LBB2_1782
.LBB2_1811:                             ;   in Loop: Header=BB2_1770 Depth=2
	v_cmp_ne_u16_e32 vcc_lo, 0, v48
	v_mov_b32_e32 v51, 0
	s_andn2_b32 s13, s13, exec_lo
	s_and_b32 s28, vcc_lo, exec_lo
	s_or_b32 s13, s13, s28
	s_or_b32 exec_lo, exec_lo, s27
	s_and_saveexec_b32 s27, s13
	s_cbranch_execnz .LBB2_1783
	s_branch .LBB2_1784
.LBB2_1812:                             ;   in Loop: Header=BB2_1770 Depth=2
	s_or_saveexec_b32 s27, s27
	v_mov_b32_e32 v49, 0x7f800001
	s_xor_b32 exec_lo, exec_lo, s27
	s_cbranch_execz .LBB2_1796
.LBB2_1813:                             ;   in Loop: Header=BB2_1770 Depth=2
	v_cmp_ne_u16_sdwa s28, v51, v32 src0_sel:BYTE_0 src1_sel:DWORD
	v_mov_b32_e32 v49, 0
	s_andn2_b32 s13, s13, exec_lo
	s_and_b32 s28, s28, exec_lo
	s_or_b32 s13, s13, s28
	s_or_b32 exec_lo, exec_lo, s27
	s_and_saveexec_b32 s27, s13
	s_cbranch_execnz .LBB2_1797
	s_branch .LBB2_1798
.LBB2_1814:                             ;   in Loop: Header=BB2_1770 Depth=2
	s_or_saveexec_b32 s27, s27
	v_mov_b32_e32 v51, 0x7f800001
	s_xor_b32 exec_lo, exec_lo, s27
	s_cbranch_execz .LBB2_1802
.LBB2_1815:                             ;   in Loop: Header=BB2_1770 Depth=2
	v_cmp_ne_u16_sdwa s28, v48, v32 src0_sel:BYTE_0 src1_sel:DWORD
	v_mov_b32_e32 v51, 0
	s_andn2_b32 s13, s13, exec_lo
	s_and_b32 s28, s28, exec_lo
	s_or_b32 s13, s13, s28
	s_or_b32 exec_lo, exec_lo, s27
	s_and_saveexec_b32 s27, s13
	s_cbranch_execnz .LBB2_1803
	s_branch .LBB2_1804
.LBB2_1816:                             ;   in Loop: Header=BB2_49 Depth=1
	s_or_b32 exec_lo, exec_lo, s14
	v_cmp_ne_u32_e64 s13, 0, v33
	s_and_saveexec_b32 s14, s6
	s_cbranch_execz .LBB2_1835
.LBB2_1817:                             ;   in Loop: Header=BB2_49 Depth=1
	s_and_saveexec_b32 s26, s20
	s_xor_b32 s26, exec_lo, s26
	s_cbranch_execz .LBB2_1832
; %bb.1818:                             ;   in Loop: Header=BB2_49 Depth=1
	s_and_saveexec_b32 s27, s7
	s_cbranch_execz .LBB2_1831
; %bb.1819:                             ;   in Loop: Header=BB2_49 Depth=1
	s_mov_b32 s29, exec_lo
	s_mov_b32 s28, exec_lo
	v_mbcnt_lo_u32_b32 v10, s29, 0
	s_waitcnt vmcnt(0) lgkmcnt(0)
	s_waitcnt_vscnt null, 0x0
	buffer_gl1_inv
	buffer_gl0_inv
	v_cmpx_eq_u32_e32 0, v10
	s_cbranch_execz .LBB2_1821
; %bb.1820:                             ;   in Loop: Header=BB2_49 Depth=1
	s_bcnt1_i32_b32 s29, s29
	v_mov_b32_e32 v11, v32
	v_mov_b32_e32 v10, s29
	ds_add_u64 v0, v[10:11]
	s_trap 2
.LBB2_1821:                             ;   in Loop: Header=BB2_49 Depth=1
	s_or_b32 exec_lo, exec_lo, s28
	s_trap 2
	ds_read_b64 v[10:11], v0
	s_waitcnt lgkmcnt(0)
	buffer_gl0_inv
	v_add_co_u32 v22, vcc_lo, v22, v68
	v_add_co_ci_u32_e64 v23, null, 0, v23, vcc_lo
	s_mov_b32 s28, exec_lo
	v_cmpx_lt_u64_e64 v[10:11], v[22:23]
	s_cbranch_execz .LBB2_1830
; %bb.1822:                             ;   in Loop: Header=BB2_49 Depth=1
	s_mov_b32 s29, 0
	s_mov_b32 s42, 0
                                        ; implicit-def: $sgpr40
                                        ; implicit-def: $sgpr41
	s_inst_prefetch 0x1
	s_branch .LBB2_1824
	.p2align	6
.LBB2_1823:                             ;   in Loop: Header=BB2_1824 Depth=2
	s_or_b32 exec_lo, exec_lo, s44
	s_and_b32 s43, exec_lo, s45
	s_or_b32 s29, s43, s29
	s_andn2_b32 s40, s40, exec_lo
	s_and_b32 s43, s41, exec_lo
	s_or_b32 s40, s40, s43
	s_andn2_b32 exec_lo, exec_lo, s29
	s_cbranch_execz .LBB2_1828
.LBB2_1824:                             ;   Parent Loop BB2_49 Depth=1
                                        ; =>  This Inner Loop Header: Depth=2
	s_add_i32 s42, s42, 1
	s_cmpk_lg_i32 s42, 0x2710
	s_cselect_b32 s43, -1, 0
	s_and_b32 vcc_lo, exec_lo, s43
	s_cbranch_vccz .LBB2_1826
; %bb.1825:                             ;   in Loop: Header=BB2_1824 Depth=2
	s_mov_b32 s45, -1
	s_or_b32 s41, s41, exec_lo
	s_and_saveexec_b32 s44, s43
	s_cbranch_execz .LBB2_1823
	s_branch .LBB2_1827
	.p2align	6
.LBB2_1826:                             ;   in Loop: Header=BB2_1824 Depth=2
	s_trap 2
	ds_read_b64 v[10:11], v0
	s_andn2_b32 s43, s43, exec_lo
	s_mov_b32 s42, 0
	s_waitcnt lgkmcnt(0)
	flat_load_dword v10, v[10:11] glc dlc
	s_waitcnt vmcnt(0) lgkmcnt(0)
	buffer_gl1_inv
	buffer_gl0_inv
	v_cmp_eq_u32_e32 vcc_lo, 0, v10
	s_and_b32 s44, vcc_lo, exec_lo
	s_or_b32 s43, s43, s44
	s_mov_b32 s45, -1
	s_or_b32 s41, s41, exec_lo
	s_and_saveexec_b32 s44, s43
	s_cbranch_execz .LBB2_1823
.LBB2_1827:                             ;   in Loop: Header=BB2_1824 Depth=2
	s_sleep 1
	s_trap 2
	ds_read_b64 v[10:11], v0
	s_waitcnt lgkmcnt(0)
	buffer_gl0_inv
	s_andn2_b32 s41, s41, exec_lo
	v_cmp_ge_u64_e32 vcc_lo, v[10:11], v[22:23]
	s_orn2_b32 s45, vcc_lo, exec_lo
	s_branch .LBB2_1823
.LBB2_1828:                             ;   in Loop: Header=BB2_49 Depth=1
	s_inst_prefetch 0x2
	s_or_b32 exec_lo, exec_lo, s29
	s_and_saveexec_b32 s29, s40
	s_xor_b32 s29, exec_lo, s29
	s_cbranch_execz .LBB2_1830
; %bb.1829:                             ;   in Loop: Header=BB2_49 Depth=1
	ds_write_b32 v0, v82
	s_trap 2
.LBB2_1830:                             ;   in Loop: Header=BB2_49 Depth=1
	s_or_b32 exec_lo, exec_lo, s28
	;;#ASMSTART
	s_wakeup
	;;#ASMEND
.LBB2_1831:                             ;   in Loop: Header=BB2_49 Depth=1
	s_or_b32 exec_lo, exec_lo, s27
.LBB2_1832:                             ;   in Loop: Header=BB2_49 Depth=1
	s_andn2_saveexec_b32 s26, s26
	s_cbranch_execz .LBB2_1834
; %bb.1833:                             ;   in Loop: Header=BB2_49 Depth=1
	s_waitcnt vmcnt(0) lgkmcnt(0)
	s_waitcnt_vscnt null, 0x0
	buffer_gl1_inv
	buffer_gl0_inv
	s_barrier
.LBB2_1834:                             ;   in Loop: Header=BB2_49 Depth=1
	s_or_b32 exec_lo, exec_lo, s26
.LBB2_1835:                             ;   in Loop: Header=BB2_49 Depth=1
	s_or_b32 exec_lo, exec_lo, s14
	v_and_b32_e32 v10, 16, v64
	v_cmp_ne_u32_e32 vcc_lo, 0, v10
	s_and_b32 s14, vcc_lo, s13
	s_and_saveexec_b32 s13, s14
	s_cbranch_execz .LBB2_1837
; %bb.1836:                             ;   in Loop: Header=BB2_49 Depth=1
	s_waitcnt vmcnt(0) lgkmcnt(0)
	s_waitcnt_vscnt null, 0x0
	buffer_gl1_inv
	buffer_gl0_inv
.LBB2_1837:                             ;   in Loop: Header=BB2_49 Depth=1
	s_or_b32 exec_lo, exec_lo, s13
	v_cmp_ne_u32_e32 vcc_lo, 0, v10
	s_xor_b32 s13, s12, -1
	s_and_b32 s14, vcc_lo, s13
	s_and_saveexec_b32 s13, s14
	s_cbranch_execz .LBB2_1839
; %bb.1838:                             ;   in Loop: Header=BB2_49 Depth=1
	s_waitcnt vmcnt(0) lgkmcnt(0)
	s_waitcnt_vscnt null, 0x0
	flat_store_dword v[28:29], v82
.LBB2_1839:                             ;   in Loop: Header=BB2_49 Depth=1
	s_or_b32 exec_lo, exec_lo, s13
	v_and_b32_e32 v10, 48, v64
	s_mov_b32 s13, exec_lo
	v_cmpx_ne_u32_e32 0, v10
	s_cbranch_execz .LBB2_1841
; %bb.1840:                             ;   in Loop: Header=BB2_49 Depth=1
	v_add_co_u32 v8, vcc_lo, v8, 1
	v_add_co_ci_u32_e64 v9, null, 0, v9, vcc_lo
	s_waitcnt vmcnt(0) lgkmcnt(0)
	s_waitcnt_vscnt null, 0x0
	flat_store_dwordx2 v[18:19], v[8:9]
.LBB2_1841:                             ;   in Loop: Header=BB2_49 Depth=1
	s_or_b32 exec_lo, exec_lo, s13
	v_mov_b32_e32 v10, v37
.LBB2_1842:                             ;   in Loop: Header=BB2_49 Depth=1
	s_or_b32 exec_lo, exec_lo, s25
	s_and_saveexec_b32 s14, s24
	s_cbranch_execz .LBB2_48
; %bb.1843:                             ;   in Loop: Header=BB2_49 Depth=1
	v_sub_nc_u32_e32 v10, v36, v10
	v_and_b32_e32 v11, 12, v64
	s_mov_b32 s24, exec_lo
	v_min_i32_e32 v10, v37, v10
	v_cmpx_ne_u32_e32 0, v11
	s_cbranch_execz .LBB2_1869
; %bb.1844:                             ;   in Loop: Header=BB2_49 Depth=1
	v_and_b32_e32 v33, 8, v64
	s_mov_b32 s25, exec_lo
	s_waitcnt vmcnt(0)
	v_add_co_u32 v36, vcc_lo, v24, v33
	v_add_co_ci_u32_e64 v37, null, 0, v25, vcc_lo
	s_waitcnt lgkmcnt(0)
	v_add_co_u32 v12, vcc_lo, v8, 1
	v_add_co_ci_u32_e64 v13, null, 0, v9, vcc_lo
	v_cmpx_lt_u64_e64 v[36:37], v[12:13]
	s_cbranch_execz .LBB2_1856
; %bb.1845:                             ;   in Loop: Header=BB2_49 Depth=1
	v_and_b32_e32 v9, 64, v64
	s_mov_b32 s26, 0
	s_mov_b32 s40, 0
                                        ; implicit-def: $sgpr27
                                        ; implicit-def: $sgpr28
                                        ; implicit-def: $sgpr29
	v_cmp_eq_u32_e32 vcc_lo, 0, v9
	s_branch .LBB2_1849
.LBB2_1846:                             ;   in Loop: Header=BB2_1849 Depth=2
	s_waitcnt vmcnt(0) lgkmcnt(0)
	v_add_co_u32 v36, s13, v24, v33
	v_add_co_ci_u32_e64 v37, null, 0, v25, s13
	s_or_b32 s43, s43, exec_lo
	v_cmp_ge_u64_e64 s13, v[36:37], v[12:13]
	s_orn2_b32 s42, s13, exec_lo
.LBB2_1847:                             ;   in Loop: Header=BB2_1849 Depth=2
	s_or_b32 exec_lo, exec_lo, s45
	s_andn2_b32 s13, s29, exec_lo
	s_and_b32 s29, s43, exec_lo
	s_andn2_b32 s28, s28, exec_lo
	s_and_b32 s42, s42, exec_lo
	s_or_b32 s29, s13, s29
	s_or_b32 s28, s28, s42
.LBB2_1848:                             ;   in Loop: Header=BB2_1849 Depth=2
	s_or_b32 exec_lo, exec_lo, s41
	s_and_b32 s13, exec_lo, s28
	s_or_b32 s26, s13, s26
	s_andn2_b32 s13, s27, exec_lo
	s_and_b32 s27, s29, exec_lo
	s_or_b32 s27, s13, s27
	s_andn2_b32 exec_lo, exec_lo, s26
	s_cbranch_execz .LBB2_1853
.LBB2_1849:                             ;   Parent Loop BB2_49 Depth=1
                                        ; =>  This Inner Loop Header: Depth=2
	s_sleep 1
	s_waitcnt vmcnt(0) lgkmcnt(0)
	flat_load_dwordx2 v[24:25], v[18:19] glc dlc
	s_or_b32 s29, s29, exec_lo
	s_or_b32 s28, s28, exec_lo
                                        ; implicit-def: $vgpr9
	s_and_saveexec_b32 s41, vcc_lo
	s_cbranch_execz .LBB2_1848
; %bb.1850:                             ;   in Loop: Header=BB2_1849 Depth=2
	s_cmpk_lt_i32 s40, 0x270f
	s_mov_b32 s42, -1
	s_cselect_b32 s44, -1, 0
	s_cmpk_gt_i32 s40, 0x270e
	s_cbranch_scc0 .LBB2_1852
; %bb.1851:                             ;   in Loop: Header=BB2_1849 Depth=2
	s_trap 2
	ds_read_b64 v[36:37], v0
	s_andn2_b32 s40, s44, exec_lo
	s_mov_b32 s43, 0
	s_waitcnt vmcnt(0) lgkmcnt(0)
	s_waitcnt_vscnt null, 0x0
	flat_load_dword v9, v[36:37] glc dlc
	s_waitcnt vmcnt(0) lgkmcnt(0)
	buffer_gl1_inv
	buffer_gl0_inv
	v_cmp_eq_u32_e64 s13, 0, v9
	s_and_b32 s13, s13, exec_lo
	s_or_b32 s44, s40, s13
	s_mov_b32 s40, 0
	s_and_saveexec_b32 s45, s44
	s_cbranch_execz .LBB2_1847
	s_branch .LBB2_1846
.LBB2_1852:                             ;   in Loop: Header=BB2_1849 Depth=2
	s_add_i32 s40, s40, 1
	s_mov_b32 s43, -1
                                        ; implicit-def: $vgpr9
	s_and_saveexec_b32 s45, s44
	s_cbranch_execz .LBB2_1847
	s_branch .LBB2_1846
.LBB2_1853:                             ;   in Loop: Header=BB2_49 Depth=1
	s_or_b32 exec_lo, exec_lo, s26
	s_xor_b32 s13, s27, -1
	s_and_saveexec_b32 s26, s13
	s_xor_b32 s13, exec_lo, s26
	s_cbranch_execz .LBB2_1855
; %bb.1854:                             ;   in Loop: Header=BB2_49 Depth=1
	v_or_b32_e32 v64, 64, v64
	s_waitcnt vmcnt(0) lgkmcnt(0)
	s_waitcnt_vscnt null, 0x0
	ds_write_b32 v0, v9
	s_trap 2
.LBB2_1855:                             ;   in Loop: Header=BB2_49 Depth=1
	s_or_b32 exec_lo, exec_lo, s13
.LBB2_1856:                             ;   in Loop: Header=BB2_49 Depth=1
	s_or_b32 exec_lo, exec_lo, s25
	v_and_b32_e32 v9, 0x108, v64
	v_and_b32_e32 v38, 7, v8
	s_mov_b32 s13, exec_lo
	;;#ASMSTART
	s_wakeup
	;;#ASMEND
	v_cmpx_ne_u32_e32 0x108, v9
	s_xor_b32 s13, exec_lo, s13
                                        ; implicit-def: $vgpr39
; %bb.1857:                             ;   in Loop: Header=BB2_49 Depth=1
	v_mov_b32_e32 v39, v32
; %bb.1858:                             ;   in Loop: Header=BB2_49 Depth=1
	s_andn2_saveexec_b32 s13, s13
	s_cbranch_execz .LBB2_1860
; %bb.1859:                             ;   in Loop: Header=BB2_49 Depth=1
	v_mad_u64_u32 v[8:9], null, v38, 24, v[6:7]
	v_ashrrev_i32_e32 v11, 31, v10
	v_mov_b32_e32 v39, v32
	flat_store_dwordx2 v[8:9], v[10:11] offset:8
.LBB2_1860:                             ;   in Loop: Header=BB2_49 Depth=1
	s_or_b32 exec_lo, exec_lo, s13
	v_and_b32_e32 v8, 0x100, v64
	s_mov_b32 s13, -1
	v_cmp_ne_u32_e32 vcc_lo, 0, v8
                                        ; implicit-def: $vgpr8_vgpr9
	s_and_saveexec_b32 s25, vcc_lo
	s_cbranch_execz .LBB2_1864
; %bb.1861:                             ;   in Loop: Header=BB2_49 Depth=1
	v_mad_u64_u32 v[36:37], null, v38, 24, v[6:7]
	v_mov_b32_e32 v8, v37
	v_mad_u64_u32 v[8:9], null, v39, 24, v[8:9]
	v_mov_b32_e32 v37, v8
	flat_load_dword v8, v[36:37]
	s_waitcnt vmcnt(0) lgkmcnt(0)
	v_cmp_eq_u32_e64 s13, 1, v8
	v_cmp_ne_u32_e32 vcc_lo, 1, v8
                                        ; implicit-def: $vgpr8_vgpr9
	s_and_saveexec_b32 s26, s13
	s_cbranch_execz .LBB2_1863
; %bb.1862:                             ;   in Loop: Header=BB2_49 Depth=1
	flat_load_dword v8, v[36:37] offset:4 glc dlc
	s_waitcnt vmcnt(0) lgkmcnt(0)
	v_ashrrev_i32_e32 v9, 31, v8
.LBB2_1863:                             ;   in Loop: Header=BB2_49 Depth=1
	s_or_b32 exec_lo, exec_lo, s26
	s_orn2_b32 s13, vcc_lo, exec_lo
.LBB2_1864:                             ;   in Loop: Header=BB2_49 Depth=1
	s_or_b32 exec_lo, exec_lo, s25
	s_and_saveexec_b32 s25, s13
; %bb.1865:                             ;   in Loop: Header=BB2_49 Depth=1
	v_mul_lo_u32 v11, v39, v65
	v_mul_lo_u32 v36, v38, v66
	v_mad_u64_u32 v[8:9], null, v38, v65, 0
	v_add3_u32 v9, v9, v36, v11
; %bb.1866:                             ;   in Loop: Header=BB2_49 Depth=1
	s_or_b32 exec_lo, exec_lo, s25
	v_cmp_eq_u32_e32 vcc_lo, 0, v33
	v_and_b32_e32 v33, 0x2000, v64
	s_mov_b32 s13, exec_lo
	v_cndmask_b32_e32 v11, 0xc8, v83, vcc_lo
	v_add_co_u32 v8, vcc_lo, v20, v8
	v_add_co_ci_u32_e64 v9, null, v21, v9, vcc_lo
	v_add_nc_u32_e32 v11, v0, v11
	ds_write_b64 v11, v[8:9] offset:584
	v_cmpx_ne_u32_e32 0, v33
	s_cbranch_execz .LBB2_1868
; %bb.1867:                             ;   in Loop: Header=BB2_49 Depth=1
	ds_read_b64 v[8:9], v0 offset:872
	s_waitcnt lgkmcnt(0)
	v_add_co_u32 v8, vcc_lo, v8, 1
	v_add_co_ci_u32_e64 v9, null, 0, v9, vcc_lo
	ds_write_b64 v0, v[8:9] offset:872
.LBB2_1868:                             ;   in Loop: Header=BB2_49 Depth=1
	s_or_b32 exec_lo, exec_lo, s13
	v_mov_b32_e32 v8, v12
	v_mov_b32_e32 v9, v13
.LBB2_1869:                             ;   in Loop: Header=BB2_49 Depth=1
	s_or_b32 exec_lo, exec_lo, s24
	s_and_saveexec_b32 s13, s6
	s_cbranch_execz .LBB2_1888
; %bb.1870:                             ;   in Loop: Header=BB2_49 Depth=1
	s_and_saveexec_b32 s24, s20
	s_xor_b32 s24, exec_lo, s24
	s_cbranch_execz .LBB2_1885
; %bb.1871:                             ;   in Loop: Header=BB2_49 Depth=1
	s_and_saveexec_b32 s25, s7
	s_cbranch_execz .LBB2_1884
; %bb.1872:                             ;   in Loop: Header=BB2_49 Depth=1
	s_mov_b32 s27, exec_lo
	s_mov_b32 s26, exec_lo
	v_mbcnt_lo_u32_b32 v11, s27, 0
	s_waitcnt vmcnt(0) lgkmcnt(0)
	s_waitcnt_vscnt null, 0x0
	buffer_gl1_inv
	buffer_gl0_inv
	v_cmpx_eq_u32_e32 0, v11
	s_cbranch_execz .LBB2_1874
; %bb.1873:                             ;   in Loop: Header=BB2_49 Depth=1
	s_bcnt1_i32_b32 s27, s27
	v_mov_b32_e32 v12, v32
	v_mov_b32_e32 v11, s27
	ds_add_u64 v0, v[11:12]
	s_trap 2
.LBB2_1874:                             ;   in Loop: Header=BB2_49 Depth=1
	s_or_b32 exec_lo, exec_lo, s26
	s_trap 2
	ds_read_b64 v[11:12], v0
	s_waitcnt lgkmcnt(0)
	buffer_gl0_inv
	v_add_co_u32 v22, vcc_lo, v22, v68
	v_add_co_ci_u32_e64 v23, null, 0, v23, vcc_lo
	s_mov_b32 s26, exec_lo
	v_cmpx_lt_u64_e64 v[11:12], v[22:23]
	s_cbranch_execz .LBB2_1883
; %bb.1875:                             ;   in Loop: Header=BB2_49 Depth=1
	s_mov_b32 s27, 0
	s_mov_b32 s40, 0
                                        ; implicit-def: $sgpr28
                                        ; implicit-def: $sgpr29
	s_inst_prefetch 0x1
	s_branch .LBB2_1877
	.p2align	6
.LBB2_1876:                             ;   in Loop: Header=BB2_1877 Depth=2
	s_or_b32 exec_lo, exec_lo, s42
	s_and_b32 s41, exec_lo, s43
	s_or_b32 s27, s41, s27
	s_andn2_b32 s28, s28, exec_lo
	s_and_b32 s41, s29, exec_lo
	s_or_b32 s28, s28, s41
	s_andn2_b32 exec_lo, exec_lo, s27
	s_cbranch_execz .LBB2_1881
.LBB2_1877:                             ;   Parent Loop BB2_49 Depth=1
                                        ; =>  This Inner Loop Header: Depth=2
	s_add_i32 s40, s40, 1
	s_cmpk_lg_i32 s40, 0x2710
	s_cselect_b32 s41, -1, 0
	s_and_b32 vcc_lo, exec_lo, s41
	s_cbranch_vccz .LBB2_1879
; %bb.1878:                             ;   in Loop: Header=BB2_1877 Depth=2
	s_mov_b32 s43, -1
	s_or_b32 s29, s29, exec_lo
	s_and_saveexec_b32 s42, s41
	s_cbranch_execz .LBB2_1876
	s_branch .LBB2_1880
	.p2align	6
.LBB2_1879:                             ;   in Loop: Header=BB2_1877 Depth=2
	s_trap 2
	ds_read_b64 v[11:12], v0
	s_andn2_b32 s41, s41, exec_lo
	s_mov_b32 s40, 0
	s_waitcnt lgkmcnt(0)
	flat_load_dword v11, v[11:12] glc dlc
	s_waitcnt vmcnt(0) lgkmcnt(0)
	buffer_gl1_inv
	buffer_gl0_inv
	v_cmp_eq_u32_e32 vcc_lo, 0, v11
	s_and_b32 s42, vcc_lo, exec_lo
	s_or_b32 s41, s41, s42
	s_mov_b32 s43, -1
	s_or_b32 s29, s29, exec_lo
	s_and_saveexec_b32 s42, s41
	s_cbranch_execz .LBB2_1876
.LBB2_1880:                             ;   in Loop: Header=BB2_1877 Depth=2
	s_sleep 1
	s_trap 2
	ds_read_b64 v[11:12], v0
	s_waitcnt lgkmcnt(0)
	buffer_gl0_inv
	s_andn2_b32 s29, s29, exec_lo
	v_cmp_ge_u64_e32 vcc_lo, v[11:12], v[22:23]
	s_orn2_b32 s43, vcc_lo, exec_lo
	s_branch .LBB2_1876
.LBB2_1881:                             ;   in Loop: Header=BB2_49 Depth=1
	s_inst_prefetch 0x2
	s_or_b32 exec_lo, exec_lo, s27
	s_and_saveexec_b32 s27, s28
	s_xor_b32 s27, exec_lo, s27
	s_cbranch_execz .LBB2_1883
; %bb.1882:                             ;   in Loop: Header=BB2_49 Depth=1
	ds_write_b32 v0, v82
	s_trap 2
.LBB2_1883:                             ;   in Loop: Header=BB2_49 Depth=1
	s_or_b32 exec_lo, exec_lo, s26
	;;#ASMSTART
	s_wakeup
	;;#ASMEND
.LBB2_1884:                             ;   in Loop: Header=BB2_49 Depth=1
	s_or_b32 exec_lo, exec_lo, s25
.LBB2_1885:                             ;   in Loop: Header=BB2_49 Depth=1
	s_andn2_saveexec_b32 s24, s24
	s_cbranch_execz .LBB2_1887
; %bb.1886:                             ;   in Loop: Header=BB2_49 Depth=1
	s_waitcnt vmcnt(0) lgkmcnt(0)
	s_waitcnt_vscnt null, 0x0
	buffer_gl1_inv
	buffer_gl0_inv
	s_barrier
.LBB2_1887:                             ;   in Loop: Header=BB2_49 Depth=1
	s_or_b32 exec_lo, exec_lo, s24
.LBB2_1888:                             ;   in Loop: Header=BB2_49 Depth=1
	s_or_b32 exec_lo, exec_lo, s13
	s_trap 2
	ds_read_b32 v11, v0
	v_cmp_lt_i32_e32 vcc_lo, 0, v10
	s_waitcnt lgkmcnt(0)
	v_readfirstlane_b32 s13, v11
	v_and_b32_e32 v11, 16, v64
	s_cmp_eq_u32 s13, 0
	v_cmp_ne_u32_e64 s13, 0, v11
	s_cselect_b32 s24, -1, 0
	s_and_b32 s24, vcc_lo, s24
	s_and_b32 s24, s13, s24
	s_and_saveexec_b32 s13, s24
	s_cbranch_execz .LBB2_1890
; %bb.1889:                             ;   in Loop: Header=BB2_49 Depth=1
	s_waitcnt vmcnt(0)
	s_waitcnt_vscnt null, 0x0
	buffer_gl1_inv
	buffer_gl0_inv
.LBB2_1890:                             ;   in Loop: Header=BB2_49 Depth=1
	s_or_b32 exec_lo, exec_lo, s13
	v_cmp_ne_u32_e32 vcc_lo, 0, v11
	s_xor_b32 s13, s12, -1
	s_and_b32 s24, vcc_lo, s13
	s_and_saveexec_b32 s13, s24
	s_cbranch_execz .LBB2_1892
; %bb.1891:                             ;   in Loop: Header=BB2_49 Depth=1
	s_waitcnt vmcnt(0)
	s_waitcnt_vscnt null, 0x0
	flat_store_dword v[28:29], v82
.LBB2_1892:                             ;   in Loop: Header=BB2_49 Depth=1
	s_or_b32 exec_lo, exec_lo, s13
	v_and_b32_e32 v10, 48, v64
	s_mov_b32 s13, exec_lo
	v_cmpx_ne_u32_e32 0, v10
	s_cbranch_execz .LBB2_47
; %bb.1893:                             ;   in Loop: Header=BB2_49 Depth=1
	v_add_co_u32 v8, vcc_lo, v8, 1
	v_add_co_ci_u32_e64 v9, null, 0, v9, vcc_lo
	s_waitcnt vmcnt(0) lgkmcnt(0)
	s_waitcnt_vscnt null, 0x0
	flat_store_dwordx2 v[18:19], v[8:9]
	s_branch .LBB2_47
.LBB2_1894:
	s_or_b32 exec_lo, exec_lo, s21
.LBB2_1895:
	s_or_b32 exec_lo, exec_lo, s19
                                        ; implicit-def: $vgpr14_vgpr15
                                        ; implicit-def: $vgpr4_vgpr5
                                        ; implicit-def: $vgpr65
                                        ; implicit-def: $vgpr24_vgpr25
                                        ; implicit-def: $vgpr20_vgpr21
                                        ; implicit-def: $vgpr18_vgpr19
                                        ; implicit-def: $vgpr0
                                        ; implicit-def: $vgpr37
                                        ; implicit-def: $vgpr26
.LBB2_1896:
	s_andn2_saveexec_b32 s14, s18
	s_cbranch_execz .LBB2_3736
; %bb.1897:
	v_mov_b32_e32 v22, 0
	v_mov_b32_e32 v23, 0
	s_mov_b32 s18, exec_lo
	v_cmpx_ne_u64_e32 0, v[4:5]
	s_cbranch_execz .LBB2_3735
; %bb.1898:
	v_and_b32_e32 v10, 31, v31
	v_and_b32_e32 v39, 31, v0
	v_lshrrev_b32_e32 v54, 5, v1
	s_ashr_i32 s6, s16, 31
	v_cmp_eq_u32_e32 vcc_lo, 32, v1
	s_lshr_b32 s6, s6, 24
	s_waitcnt vmcnt(1)
	v_mov_b32_e32 v32, 0
	v_mov_b32_e32 v22, 0
	v_cmp_ge_u32_e64 s5, v0, v1
	s_add_i32 s12, s16, s6
	v_cmp_ne_u32_e64 s6, 32, v1
	s_waitcnt vmcnt(0)
	v_cmp_ne_u32_sdwa s19, v1, v30 src0_sel:DWORD src1_sel:WORD_0
	v_cmp_eq_u32_e64 s7, 0, v10
	s_waitcnt lgkmcnt(1)
	v_mov_b32_e32 v29, 0
	v_cmp_le_u32_e64 s10, v39, v37
	v_cmp_eq_u32_e64 s11, 0, v39
	v_lshrrev_b32_e32 v55, 5, v0
	v_lshlrev_b32_e32 v66, 4, v0
	v_lshlrev_b32_e32 v67, 9, v54
	;; [unrolled: 1-line block ×3, first 2 shown]
	v_and_b32_e32 v69, 0x1fe0, v1
	v_mov_b32_e32 v33, 0
	v_mov_b32_e32 v70, 1
	v_mov_b32_e32 v71, 0x7f
	v_mov_b32_e32 v80, 0x80
	v_mov_b32_e32 v81, 0xffff
	v_mov_b32_e32 v82, 24
	v_mov_b32_e32 v83, 0xff
	v_mov_b32_e32 v23, 0
	v_mov_b32_e32 v84, 7
	s_ashr_i32 s21, s12, 8
	s_mov_b32 s20, 0
	s_xor_b32 s22, vcc_lo, -1
	s_trap 2
	s_branch .LBB2_1901
.LBB2_1899:                             ;   in Loop: Header=BB2_1901 Depth=1
	s_or_b32 exec_lo, exec_lo, s12
.LBB2_1900:                             ;   in Loop: Header=BB2_1901 Depth=1
	s_or_b32 exec_lo, exec_lo, s13
	v_add_co_u32 v32, vcc_lo, v32, v26
	v_add_co_ci_u32_e64 v33, null, 0, v33, vcc_lo
	v_cmp_ge_u64_e32 vcc_lo, v[32:33], v[4:5]
	s_or_b32 s20, vcc_lo, s20
	s_andn2_b32 exec_lo, exec_lo, s20
	s_cbranch_execz .LBB2_3734
.LBB2_1901:                             ; =>This Loop Header: Depth=1
                                        ;     Child Loop BB2_1910 Depth 2
                                        ;     Child Loop BB2_1934 Depth 2
	;; [unrolled: 1-line block ×10, first 2 shown]
	v_sub_co_u32 v10, vcc_lo, v4, v32
	v_sub_co_ci_u32_e64 v11, null, v5, v33, vcc_lo
	v_cmp_lt_u64_e32 vcc_lo, v[26:27], v[10:11]
	v_cndmask_b32_e32 v34, v10, v26, vcc_lo
	v_cndmask_b32_e64 v35, v11, 0, vcc_lo
	v_add_nc_u32_e32 v10, 15, v34
	v_cmp_eq_u64_e32 vcc_lo, 0, v[34:35]
	v_mov_b32_e32 v35, 0
	v_and_b32_e32 v10, 0x7ffffff0, v10
	s_or_b32 s23, s5, vcc_lo
	s_xor_b32 s12, s23, -1
	v_max_i32_e32 v85, s21, v10
	s_and_saveexec_b32 s24, s12
	s_cbranch_execz .LBB2_3688
; %bb.1902:                             ;   in Loop: Header=BB2_1901 Depth=1
	s_and_saveexec_b32 s13, s4
	s_cbranch_execz .LBB2_1904
; %bb.1903:                             ;   in Loop: Header=BB2_1901 Depth=1
	s_trap 2
	ds_read2_b64 v[10:13], v0 offset1:1
	ds_read_b64 v[35:36], v0
	v_add_co_u32 v28, vcc_lo, v32, v14
	v_add_co_ci_u32_e64 v37, null, v33, v15, vcc_lo
	s_waitcnt lgkmcnt(1)
	v_add_co_u32 v10, vcc_lo, v10, v28
	v_add_co_ci_u32_e64 v11, null, v11, v37, vcc_lo
	s_waitcnt lgkmcnt(0)
	v_add_co_u32 v38, vcc_lo, v35, v28
	v_add_co_ci_u32_e64 v48, null, v36, v37, vcc_lo
	v_cmp_ne_u64_e32 vcc_lo, 0, v[35:36]
	v_add_co_u32 v12, s12, v12, v28
	v_add_co_ci_u32_e64 v13, null, v13, v37, s12
	v_cndmask_b32_e32 v36, 0, v48, vcc_lo
	v_cndmask_b32_e32 v35, 0, v38, vcc_lo
	ds_write_b64 v0, v[10:11]
	ds_write_b64 v0, v[12:13]
	;; [unrolled: 1-line block ×3, first 2 shown]
.LBB2_1904:                             ;   in Loop: Header=BB2_1901 Depth=1
	s_or_b32 exec_lo, exec_lo, s13
	v_and_b32_e32 v10, 4, v64
	s_mov_b32 s13, exec_lo
	v_cmpx_ne_u32_e32 0, v10
	s_cbranch_execz .LBB2_1926
; %bb.1905:                             ;   in Loop: Header=BB2_1901 Depth=1
	s_waitcnt lgkmcnt(0)
	v_add_co_u32 v10, vcc_lo, v8, 1
	v_add_co_ci_u32_e64 v11, null, 0, v9, vcc_lo
	s_mov_b32 s25, exec_lo
	s_waitcnt vmcnt(0)
	v_cmpx_lt_u64_e64 v[24:25], v[10:11]
	s_cbranch_execz .LBB2_1917
; %bb.1906:                             ;   in Loop: Header=BB2_1901 Depth=1
	v_and_b32_e32 v9, 64, v64
	s_mov_b32 s26, 0
	s_mov_b32 s40, 0
                                        ; implicit-def: $sgpr27
                                        ; implicit-def: $sgpr28
                                        ; implicit-def: $sgpr29
	v_cmp_eq_u32_e32 vcc_lo, 0, v9
	s_branch .LBB2_1910
.LBB2_1907:                             ;   in Loop: Header=BB2_1910 Depth=2
	s_waitcnt vmcnt(0) lgkmcnt(0)
	v_cmp_ge_u64_e64 s12, v[24:25], v[10:11]
	s_or_b32 s43, s43, exec_lo
	s_orn2_b32 s42, s12, exec_lo
.LBB2_1908:                             ;   in Loop: Header=BB2_1910 Depth=2
	s_or_b32 exec_lo, exec_lo, s45
	s_andn2_b32 s12, s29, exec_lo
	s_and_b32 s29, s43, exec_lo
	s_andn2_b32 s28, s28, exec_lo
	s_and_b32 s42, s42, exec_lo
	s_or_b32 s29, s12, s29
	s_or_b32 s28, s28, s42
.LBB2_1909:                             ;   in Loop: Header=BB2_1910 Depth=2
	s_or_b32 exec_lo, exec_lo, s41
	s_and_b32 s12, exec_lo, s28
	s_or_b32 s26, s12, s26
	s_andn2_b32 s12, s27, exec_lo
	s_and_b32 s27, s29, exec_lo
	s_or_b32 s27, s12, s27
	s_andn2_b32 exec_lo, exec_lo, s26
	s_cbranch_execz .LBB2_1914
.LBB2_1910:                             ;   Parent Loop BB2_1901 Depth=1
                                        ; =>  This Inner Loop Header: Depth=2
	s_sleep 1
	s_waitcnt vmcnt(0) lgkmcnt(0)
	flat_load_dwordx2 v[24:25], v[18:19] glc dlc
	s_or_b32 s29, s29, exec_lo
	s_or_b32 s28, s28, exec_lo
                                        ; implicit-def: $vgpr9
	s_and_saveexec_b32 s41, vcc_lo
	s_cbranch_execz .LBB2_1909
; %bb.1911:                             ;   in Loop: Header=BB2_1910 Depth=2
	s_cmpk_lt_i32 s40, 0x270f
	s_mov_b32 s42, -1
	s_cselect_b32 s44, -1, 0
	s_cmpk_gt_i32 s40, 0x270e
	s_cbranch_scc0 .LBB2_1913
; %bb.1912:                             ;   in Loop: Header=BB2_1910 Depth=2
	s_trap 2
	ds_read_b64 v[12:13], v0
	s_andn2_b32 s40, s44, exec_lo
	s_mov_b32 s43, 0
	s_waitcnt vmcnt(0) lgkmcnt(0)
	s_waitcnt_vscnt null, 0x0
	flat_load_dword v9, v[12:13] glc dlc
	s_waitcnt vmcnt(0) lgkmcnt(0)
	buffer_gl1_inv
	buffer_gl0_inv
	v_cmp_eq_u32_e64 s12, 0, v9
	s_and_b32 s12, s12, exec_lo
	s_or_b32 s44, s40, s12
	s_mov_b32 s40, 0
	s_and_saveexec_b32 s45, s44
	s_cbranch_execz .LBB2_1908
	s_branch .LBB2_1907
.LBB2_1913:                             ;   in Loop: Header=BB2_1910 Depth=2
	s_add_i32 s40, s40, 1
	s_mov_b32 s43, -1
                                        ; implicit-def: $vgpr9
	s_and_saveexec_b32 s45, s44
	s_cbranch_execz .LBB2_1908
	s_branch .LBB2_1907
.LBB2_1914:                             ;   in Loop: Header=BB2_1901 Depth=1
	s_or_b32 exec_lo, exec_lo, s26
	s_xor_b32 s12, s27, -1
	s_and_saveexec_b32 s26, s12
	s_xor_b32 s12, exec_lo, s26
	s_cbranch_execz .LBB2_1916
; %bb.1915:                             ;   in Loop: Header=BB2_1901 Depth=1
	v_or_b32_e32 v64, 64, v64
	s_waitcnt vmcnt(0) lgkmcnt(0)
	s_waitcnt_vscnt null, 0x0
	ds_write_b32 v0, v9
	s_trap 2
.LBB2_1916:                             ;   in Loop: Header=BB2_1901 Depth=1
	s_or_b32 exec_lo, exec_lo, s12
.LBB2_1917:                             ;   in Loop: Header=BB2_1901 Depth=1
	s_or_b32 exec_lo, exec_lo, s25
	v_and_b32_e32 v9, 0x100, v64
	v_and_b32_e32 v28, 7, v8
	s_mov_b32 s12, -1
	;;#ASMSTART
	s_wakeup
	;;#ASMEND
	v_cmp_ne_u32_e32 vcc_lo, 0, v9
                                        ; implicit-def: $vgpr8_vgpr9
	s_and_saveexec_b32 s25, vcc_lo
	s_cbranch_execz .LBB2_1921
; %bb.1918:                             ;   in Loop: Header=BB2_1901 Depth=1
	v_mad_u64_u32 v[12:13], null, v28, 24, v[6:7]
	flat_load_dword v8, v[12:13]
	s_waitcnt vmcnt(0) lgkmcnt(0)
	v_cmp_eq_u32_e64 s12, 1, v8
	v_cmp_ne_u32_e32 vcc_lo, 1, v8
                                        ; implicit-def: $vgpr8_vgpr9
	s_and_saveexec_b32 s26, s12
	s_cbranch_execz .LBB2_1920
; %bb.1919:                             ;   in Loop: Header=BB2_1901 Depth=1
	flat_load_dword v8, v[12:13] offset:4 glc dlc
	s_waitcnt vmcnt(0) lgkmcnt(0)
	v_ashrrev_i32_e32 v9, 31, v8
.LBB2_1920:                             ;   in Loop: Header=BB2_1901 Depth=1
	s_or_b32 exec_lo, exec_lo, s26
	s_orn2_b32 s12, vcc_lo, exec_lo
.LBB2_1921:                             ;   in Loop: Header=BB2_1901 Depth=1
	s_or_b32 exec_lo, exec_lo, s25
	s_and_saveexec_b32 s25, s12
; %bb.1922:                             ;   in Loop: Header=BB2_1901 Depth=1
	v_mad_i64_i32 v[8:9], null, v28, v65, 0
; %bb.1923:                             ;   in Loop: Header=BB2_1901 Depth=1
	s_or_b32 exec_lo, exec_lo, s25
	v_add_co_u32 v8, vcc_lo, v20, v8
	v_and_b32_e32 v12, 0x2000, v64
	v_add_co_ci_u32_e64 v9, null, v21, v9, vcc_lo
	s_mov_b32 s12, exec_lo
	ds_write_b64 v0, v[8:9] offset:728
	v_cmpx_ne_u32_e32 0, v12
	s_cbranch_execz .LBB2_1925
; %bb.1924:                             ;   in Loop: Header=BB2_1901 Depth=1
	ds_read_b64 v[8:9], v0 offset:872
	s_waitcnt lgkmcnt(0)
	v_add_co_u32 v8, vcc_lo, v8, 1
	v_add_co_ci_u32_e64 v9, null, 0, v9, vcc_lo
	ds_write_b64 v0, v[8:9] offset:872
.LBB2_1925:                             ;   in Loop: Header=BB2_1901 Depth=1
	s_or_b32 exec_lo, exec_lo, s12
	v_mov_b32_e32 v8, v10
	v_mov_b32_e32 v9, v11
.LBB2_1926:                             ;   in Loop: Header=BB2_1901 Depth=1
	s_or_b32 exec_lo, exec_lo, s13
	s_and_saveexec_b32 s12, s6
	s_cbranch_execz .LBB2_1945
; %bb.1927:                             ;   in Loop: Header=BB2_1901 Depth=1
	s_and_saveexec_b32 s13, s19
	s_xor_b32 s13, exec_lo, s13
	s_cbranch_execz .LBB2_1942
; %bb.1928:                             ;   in Loop: Header=BB2_1901 Depth=1
	s_and_saveexec_b32 s25, s7
	s_cbranch_execz .LBB2_1941
; %bb.1929:                             ;   in Loop: Header=BB2_1901 Depth=1
	s_mov_b32 s27, exec_lo
	s_mov_b32 s26, exec_lo
	v_mbcnt_lo_u32_b32 v10, s27, 0
	s_waitcnt vmcnt(0) lgkmcnt(0)
	s_waitcnt_vscnt null, 0x0
	buffer_gl1_inv
	buffer_gl0_inv
	v_cmpx_eq_u32_e32 0, v10
	s_cbranch_execz .LBB2_1931
; %bb.1930:                             ;   in Loop: Header=BB2_1901 Depth=1
	s_bcnt1_i32_b32 s27, s27
	v_mov_b32_e32 v28, s27
	ds_add_u64 v0, v[28:29]
	s_trap 2
.LBB2_1931:                             ;   in Loop: Header=BB2_1901 Depth=1
	s_or_b32 exec_lo, exec_lo, s26
	s_trap 2
	ds_read_b64 v[10:11], v0
	s_waitcnt lgkmcnt(0)
	buffer_gl0_inv
	v_add_co_u32 v22, vcc_lo, v22, v54
	v_add_co_ci_u32_e64 v23, null, 0, v23, vcc_lo
	s_mov_b32 s26, exec_lo
	v_cmpx_lt_u64_e64 v[10:11], v[22:23]
	s_cbranch_execz .LBB2_1940
; %bb.1932:                             ;   in Loop: Header=BB2_1901 Depth=1
	s_mov_b32 s27, 0
	s_mov_b32 s40, 0
                                        ; implicit-def: $sgpr28
                                        ; implicit-def: $sgpr29
	s_inst_prefetch 0x1
	s_branch .LBB2_1934
	.p2align	6
.LBB2_1933:                             ;   in Loop: Header=BB2_1934 Depth=2
	s_or_b32 exec_lo, exec_lo, s42
	s_and_b32 s41, exec_lo, s43
	s_or_b32 s27, s41, s27
	s_andn2_b32 s28, s28, exec_lo
	s_and_b32 s41, s29, exec_lo
	s_or_b32 s28, s28, s41
	s_andn2_b32 exec_lo, exec_lo, s27
	s_cbranch_execz .LBB2_1938
.LBB2_1934:                             ;   Parent Loop BB2_1901 Depth=1
                                        ; =>  This Inner Loop Header: Depth=2
	s_add_i32 s40, s40, 1
	s_cmpk_lg_i32 s40, 0x2710
	s_cselect_b32 s41, -1, 0
	s_and_b32 vcc_lo, exec_lo, s41
	s_cbranch_vccz .LBB2_1936
; %bb.1935:                             ;   in Loop: Header=BB2_1934 Depth=2
	s_mov_b32 s43, -1
	s_or_b32 s29, s29, exec_lo
	s_and_saveexec_b32 s42, s41
	s_cbranch_execz .LBB2_1933
	s_branch .LBB2_1937
	.p2align	6
.LBB2_1936:                             ;   in Loop: Header=BB2_1934 Depth=2
	s_trap 2
	ds_read_b64 v[10:11], v0
	s_andn2_b32 s41, s41, exec_lo
	s_mov_b32 s40, 0
	s_waitcnt lgkmcnt(0)
	flat_load_dword v10, v[10:11] glc dlc
	s_waitcnt vmcnt(0) lgkmcnt(0)
	buffer_gl1_inv
	buffer_gl0_inv
	v_cmp_eq_u32_e32 vcc_lo, 0, v10
	s_and_b32 s42, vcc_lo, exec_lo
	s_or_b32 s41, s41, s42
	s_mov_b32 s43, -1
	s_or_b32 s29, s29, exec_lo
	s_and_saveexec_b32 s42, s41
	s_cbranch_execz .LBB2_1933
.LBB2_1937:                             ;   in Loop: Header=BB2_1934 Depth=2
	s_sleep 1
	s_trap 2
	ds_read_b64 v[10:11], v0
	s_waitcnt lgkmcnt(0)
	buffer_gl0_inv
	s_andn2_b32 s29, s29, exec_lo
	v_cmp_ge_u64_e32 vcc_lo, v[10:11], v[22:23]
	s_orn2_b32 s43, vcc_lo, exec_lo
	s_branch .LBB2_1933
.LBB2_1938:                             ;   in Loop: Header=BB2_1901 Depth=1
	s_inst_prefetch 0x2
	s_or_b32 exec_lo, exec_lo, s27
	s_and_saveexec_b32 s27, s28
	s_xor_b32 s27, exec_lo, s27
	s_cbranch_execz .LBB2_1940
; %bb.1939:                             ;   in Loop: Header=BB2_1901 Depth=1
	ds_write_b32 v0, v70
	s_trap 2
.LBB2_1940:                             ;   in Loop: Header=BB2_1901 Depth=1
	s_or_b32 exec_lo, exec_lo, s26
	;;#ASMSTART
	s_wakeup
	;;#ASMEND
.LBB2_1941:                             ;   in Loop: Header=BB2_1901 Depth=1
	s_or_b32 exec_lo, exec_lo, s25
.LBB2_1942:                             ;   in Loop: Header=BB2_1901 Depth=1
	s_andn2_saveexec_b32 s13, s13
	s_cbranch_execz .LBB2_1944
; %bb.1943:                             ;   in Loop: Header=BB2_1901 Depth=1
	s_waitcnt vmcnt(0) lgkmcnt(0)
	s_waitcnt_vscnt null, 0x0
	buffer_gl1_inv
	buffer_gl0_inv
	s_barrier
.LBB2_1944:                             ;   in Loop: Header=BB2_1901 Depth=1
	s_or_b32 exec_lo, exec_lo, s13
.LBB2_1945:                             ;   in Loop: Header=BB2_1901 Depth=1
	s_or_b32 exec_lo, exec_lo, s12
	s_trap 2
	ds_read_b32 v10, v0
	v_and_b32_e32 v11, 0x4000, v64
	v_cmp_ne_u32_e32 vcc_lo, 0, v11
	s_and_b32 s13, s22, vcc_lo
	s_and_saveexec_b32 s12, s13
	s_cbranch_execz .LBB2_1964
; %bb.1946:                             ;   in Loop: Header=BB2_1901 Depth=1
	s_and_saveexec_b32 s13, s19
	s_xor_b32 s13, exec_lo, s13
	s_cbranch_execz .LBB2_1961
; %bb.1947:                             ;   in Loop: Header=BB2_1901 Depth=1
	s_and_saveexec_b32 s25, s7
	s_cbranch_execz .LBB2_1960
; %bb.1948:                             ;   in Loop: Header=BB2_1901 Depth=1
	s_mov_b32 s27, exec_lo
	s_mov_b32 s26, exec_lo
	v_mbcnt_lo_u32_b32 v11, s27, 0
	s_waitcnt vmcnt(0) lgkmcnt(0)
	s_waitcnt_vscnt null, 0x0
	buffer_gl1_inv
	buffer_gl0_inv
	v_cmpx_eq_u32_e32 0, v11
	s_cbranch_execz .LBB2_1950
; %bb.1949:                             ;   in Loop: Header=BB2_1901 Depth=1
	s_bcnt1_i32_b32 s27, s27
	v_mov_b32_e32 v28, s27
	ds_add_u64 v0, v[28:29]
	s_trap 2
.LBB2_1950:                             ;   in Loop: Header=BB2_1901 Depth=1
	s_or_b32 exec_lo, exec_lo, s26
	s_trap 2
	ds_read_b64 v[11:12], v0
	s_waitcnt lgkmcnt(0)
	buffer_gl0_inv
	v_add_co_u32 v22, vcc_lo, v22, v54
	v_add_co_ci_u32_e64 v23, null, 0, v23, vcc_lo
	s_mov_b32 s26, exec_lo
	v_cmpx_lt_u64_e64 v[11:12], v[22:23]
	s_cbranch_execz .LBB2_1959
; %bb.1951:                             ;   in Loop: Header=BB2_1901 Depth=1
	s_mov_b32 s27, 0
	s_mov_b32 s40, 0
                                        ; implicit-def: $sgpr28
                                        ; implicit-def: $sgpr29
	s_inst_prefetch 0x1
	s_branch .LBB2_1953
	.p2align	6
.LBB2_1952:                             ;   in Loop: Header=BB2_1953 Depth=2
	s_or_b32 exec_lo, exec_lo, s42
	s_and_b32 s41, exec_lo, s43
	s_or_b32 s27, s41, s27
	s_andn2_b32 s28, s28, exec_lo
	s_and_b32 s41, s29, exec_lo
	s_or_b32 s28, s28, s41
	s_andn2_b32 exec_lo, exec_lo, s27
	s_cbranch_execz .LBB2_1957
.LBB2_1953:                             ;   Parent Loop BB2_1901 Depth=1
                                        ; =>  This Inner Loop Header: Depth=2
	s_add_i32 s40, s40, 1
	s_cmpk_lg_i32 s40, 0x2710
	s_cselect_b32 s41, -1, 0
	s_and_b32 vcc_lo, exec_lo, s41
	s_cbranch_vccz .LBB2_1955
; %bb.1954:                             ;   in Loop: Header=BB2_1953 Depth=2
	s_mov_b32 s43, -1
	s_or_b32 s29, s29, exec_lo
	s_and_saveexec_b32 s42, s41
	s_cbranch_execz .LBB2_1952
	s_branch .LBB2_1956
	.p2align	6
.LBB2_1955:                             ;   in Loop: Header=BB2_1953 Depth=2
	s_trap 2
	ds_read_b64 v[11:12], v0
	s_andn2_b32 s41, s41, exec_lo
	s_mov_b32 s40, 0
	s_waitcnt lgkmcnt(0)
	flat_load_dword v11, v[11:12] glc dlc
	s_waitcnt vmcnt(0) lgkmcnt(0)
	buffer_gl1_inv
	buffer_gl0_inv
	v_cmp_eq_u32_e32 vcc_lo, 0, v11
	s_and_b32 s42, vcc_lo, exec_lo
	s_or_b32 s41, s41, s42
	s_mov_b32 s43, -1
	s_or_b32 s29, s29, exec_lo
	s_and_saveexec_b32 s42, s41
	s_cbranch_execz .LBB2_1952
.LBB2_1956:                             ;   in Loop: Header=BB2_1953 Depth=2
	s_sleep 1
	s_trap 2
	ds_read_b64 v[11:12], v0
	s_waitcnt lgkmcnt(0)
	buffer_gl0_inv
	s_andn2_b32 s29, s29, exec_lo
	v_cmp_ge_u64_e32 vcc_lo, v[11:12], v[22:23]
	s_orn2_b32 s43, vcc_lo, exec_lo
	s_branch .LBB2_1952
.LBB2_1957:                             ;   in Loop: Header=BB2_1901 Depth=1
	s_inst_prefetch 0x2
	s_or_b32 exec_lo, exec_lo, s27
	s_and_saveexec_b32 s27, s28
	s_xor_b32 s27, exec_lo, s27
	s_cbranch_execz .LBB2_1959
; %bb.1958:                             ;   in Loop: Header=BB2_1901 Depth=1
	ds_write_b32 v0, v70
	s_trap 2
.LBB2_1959:                             ;   in Loop: Header=BB2_1901 Depth=1
	s_or_b32 exec_lo, exec_lo, s26
	;;#ASMSTART
	s_wakeup
	;;#ASMEND
.LBB2_1960:                             ;   in Loop: Header=BB2_1901 Depth=1
	s_or_b32 exec_lo, exec_lo, s25
.LBB2_1961:                             ;   in Loop: Header=BB2_1901 Depth=1
	s_andn2_saveexec_b32 s13, s13
	s_cbranch_execz .LBB2_1963
; %bb.1962:                             ;   in Loop: Header=BB2_1901 Depth=1
	s_waitcnt vmcnt(0) lgkmcnt(0)
	s_waitcnt_vscnt null, 0x0
	buffer_gl1_inv
	buffer_gl0_inv
	s_barrier
.LBB2_1963:                             ;   in Loop: Header=BB2_1901 Depth=1
	s_or_b32 exec_lo, exec_lo, s13
.LBB2_1964:                             ;   in Loop: Header=BB2_1901 Depth=1
	s_or_b32 exec_lo, exec_lo, s12
	s_trap 2
	ds_read_b64 v[35:36], v0
	v_min_u32_e32 v85, v85, v34
	s_waitcnt lgkmcnt(0)
	v_cmp_eq_u64_e32 vcc_lo, 0, v[35:36]
	s_cbranch_vccnz .LBB2_1972
; %bb.1965:                             ;   in Loop: Header=BB2_1901 Depth=1
	s_trap 2
	ds_read_b64 v[37:38], v0
	s_waitcnt lgkmcnt(0)
	v_cmp_eq_u64_e32 vcc_lo, 0, v[37:38]
	s_cbranch_vccnz .LBB2_1972
; %bb.1966:                             ;   in Loop: Header=BB2_1901 Depth=1
	s_mov_b32 s12, -1
	s_and_saveexec_b32 s13, s10
	s_cbranch_execz .LBB2_1968
; %bb.1967:                             ;   in Loop: Header=BB2_1901 Depth=1
	ds_read_b32 v11, v0 offset:720
	s_waitcnt lgkmcnt(0)
	v_and_b32_e32 v11, 15, v11
	v_cmp_eq_u32_e32 vcc_lo, 0, v11
	s_orn2_b32 s12, vcc_lo, exec_lo
.LBB2_1968:                             ;   in Loop: Header=BB2_1901 Depth=1
	s_or_b32 exec_lo, exec_lo, s13
	s_and_saveexec_b32 s13, s11
	s_cbranch_execz .LBB2_1970
; %bb.1969:                             ;   in Loop: Header=BB2_1901 Depth=1
	ds_read_b32 v11, v0 offset:784
	s_waitcnt lgkmcnt(0)
	v_and_b32_e32 v11, 15, v11
	v_cmp_eq_u32_e32 vcc_lo, 0, v11
	s_and_b32 s25, s12, vcc_lo
	s_andn2_b32 s12, s12, exec_lo
	s_and_b32 s25, s25, exec_lo
	s_or_b32 s12, s12, s25
.LBB2_1970:                             ;   in Loop: Header=BB2_1901 Depth=1
	s_or_b32 exec_lo, exec_lo, s13
	v_cmp_eq_u32_e32 vcc_lo, 0, v10
	s_xor_b32 s12, s12, -1
	v_mov_b32_e32 v86, 0
	v_cndmask_b32_e64 v11, 0, 1, s12
	v_mov_b32_e32 v48, v0
	v_cndmask_b32_e32 v28, 0, v85, vcc_lo
	s_mov_b32 s25, -1
	v_cmp_ne_u32_e32 vcc_lo, 0, v11
	v_mov_b32_e32 v87, v28
	s_cbranch_vccz .LBB2_1973
; %bb.1971:                             ;   in Loop: Header=BB2_1901 Depth=1
	s_and_saveexec_b32 s13, s25
	s_cbranch_execnz .LBB2_3280
	s_branch .LBB2_3664
.LBB2_1972:                             ;   in Loop: Header=BB2_1901 Depth=1
	s_mov_b32 s12, 0
	s_and_saveexec_b32 s13, s6
	s_cbranch_execnz .LBB2_3665
	s_branch .LBB2_3683
.LBB2_1973:                             ;   in Loop: Header=BB2_1901 Depth=1
	v_lshrrev_b32_e32 v10, 9, v28
	v_and_b32_e32 v86, 0x1ff, v28
	v_sub_nc_u32_e32 v87, v28, v66
	s_mov_b32 s25, exec_lo
	v_sub_nc_u32_e32 v10, v10, v55
	v_cmp_lt_u32_e64 s12, 15, v86
	v_add_co_ci_u32_e64 v96, null, 0, v10, s12
	v_cmpx_lt_i32_e32 15, v87
	s_cbranch_execz .LBB2_2625
; %bb.1974:                             ;   in Loop: Header=BB2_1901 Depth=1
	s_trap 2
	ds_read_b64 v[10:11], v0
	v_add_co_u32 v48, vcc_lo, v35, v66
	v_add_co_ci_u32_e64 v49, null, 0, v36, vcc_lo
	v_add_co_u32 v50, vcc_lo, v37, v66
	v_add_co_ci_u32_e64 v51, null, 0, v38, vcc_lo
	s_waitcnt lgkmcnt(0)
	v_readfirstlane_b32 s13, v10
	v_add_co_u32 v52, vcc_lo, v10, v66
	v_add_co_ci_u32_e64 v53, null, 0, v11, vcc_lo
	s_and_b32 s27, s13, 7
	s_bfe_u32 s40, s13, 0x40003
	s_flbit_i32_b32 s26, s27
	s_min_u32 s28, s26, 32
	s_mov_b32 s26, 0
	s_sub_i32 s29, s28, 28
	s_sub_i32 s28, 29, s28
	s_lshl_b32 s29, s13, s29
	s_and_b32 s29, s29, 7
	s_cmp_eq_u32 s40, 0
	s_cselect_b32 s28, s28, s40
	s_cselect_b32 s27, s29, s27
	s_lshl_b32 s29, s13, 24
	s_lshl_b32 s28, s28, 23
	s_and_b32 s29, s29, 0x80000000
	s_add_i32 s28, s28, 0x3b800000
	s_lshl_b32 s40, s27, 20
	s_or_b32 s28, s29, s28
	s_and_b32 s27, s13, 0xff
	s_or_b32 s28, s28, s40
	s_and_b32 s29, 0xffff, s27
	s_branch .LBB2_1978
.LBB2_1975:                             ;   in Loop: Header=BB2_1978 Depth=2
	s_or_b32 exec_lo, exec_lo, s13
	v_lshrrev_b32_e32 v103, 20, v103
	v_min_i32_e32 v118, 15, v101
	v_cmp_gt_i32_e32 vcc_lo, 16, v101
	v_and_b32_sdwa v13, v13, v80 dst_sel:DWORD dst_unused:UNUSED_PAD src0_sel:BYTE_3 src1_sel:DWORD
	v_lshlrev_b32_e32 v118, 3, v118
	v_cndmask_b32_e32 v103, 7, v103, vcc_lo
	v_and_b32_e32 v118, 0xf8, v118
	v_and_b32_e32 v40, 7, v103
	v_or_b32_e32 v101, v101, v103
	v_or3_b32 v13, v13, v118, v40
	v_cmp_ne_u32_e32 vcc_lo, 0, v101
	v_lshlrev_b32_e32 v13, 8, v13
	v_cndmask_b32_e32 v101, 0, v13, vcc_lo
.LBB2_1976:                             ;   in Loop: Header=BB2_1978 Depth=2
	s_or_b32 exec_lo, exec_lo, s41
.LBB2_1977:                             ;   in Loop: Header=BB2_1978 Depth=2
	s_or_b32 exec_lo, exec_lo, s40
	v_or_b32_sdwa v11, v11, v115 dst_sel:WORD_1 dst_unused:UNUSED_PAD src0_sel:DWORD src1_sel:DWORD
	v_or_b32_sdwa v10, v10, v113 dst_sel:WORD_1 dst_unused:UNUSED_PAD src0_sel:DWORD src1_sel:DWORD
	;; [unrolled: 1-line block ×4, first 2 shown]
	v_sub_nc_u32_e32 v87, v87, v67
	v_or3_b32 v11, v119, v117, v11
	v_or3_b32 v10, v100, v97, v10
	;; [unrolled: 1-line block ×4, first 2 shown]
	v_add_co_u32 v48, vcc_lo, v48, v67
	v_add_co_ci_u32_e64 v49, null, 0, v49, vcc_lo
	v_add_co_u32 v52, vcc_lo, v52, v67
	global_store_dwordx4 v[50:51], v[10:13], off glc slc
	v_add_co_ci_u32_e64 v53, null, 0, v53, vcc_lo
	v_cmp_gt_i32_e32 vcc_lo, 16, v87
	v_add_co_u32 v50, s13, v50, v67
	v_add_co_ci_u32_e64 v51, null, 0, v51, s13
	v_sub_nc_u32_e32 v96, v96, v54
	s_or_b32 s26, vcc_lo, s26
	s_andn2_b32 exec_lo, exec_lo, s26
	s_cbranch_execz .LBB2_2624
.LBB2_1978:                             ;   Parent Loop BB2_1901 Depth=1
                                        ; =>  This Inner Loop Header: Depth=2
	s_cmpk_lt_i32 s27, 0x80
	s_cbranch_scc1 .LBB2_1982
; %bb.1979:                             ;   in Loop: Header=BB2_1978 Depth=2
	s_cmpk_eq_i32 s29, 0x80
	s_mov_b32 s13, -1
	s_cbranch_scc0 .LBB2_1981
; %bb.1980:                             ;   in Loop: Header=BB2_1978 Depth=2
	s_mov_b32 s13, 0
.LBB2_1981:                             ;   in Loop: Header=BB2_1978 Depth=2
	s_mov_b32 s40, 0x7f800001
	s_branch .LBB2_1984
.LBB2_1982:                             ;   in Loop: Header=BB2_1978 Depth=2
	s_mov_b32 s13, 0
	s_mov_b32 s40, 0x7f800001
	s_cbranch_execz .LBB2_1984
; %bb.1983:                             ;   in Loop: Header=BB2_1978 Depth=2
	s_cmp_lg_u32 s29, 0
	s_mov_b32 s40, 0
	s_cselect_b32 s13, -1, 0
.LBB2_1984:                             ;   in Loop: Header=BB2_1978 Depth=2
	s_andn2_b32 vcc_lo, exec_lo, s13
	s_cbranch_vccnz .LBB2_1986
; %bb.1985:                             ;   in Loop: Header=BB2_1978 Depth=2
	s_mov_b32 s40, s28
.LBB2_1986:                             ;   in Loop: Header=BB2_1978 Depth=2
	global_load_dwordx4 v[10:13], v[48:49], off slc
	s_mov_b32 s13, 0
	s_waitcnt vmcnt(0)
	v_cmp_gt_i16_sdwa s41, v10, v71 src0_sel:BYTE_0 src1_sel:DWORD
	s_and_saveexec_b32 s42, s41
	s_xor_b32 s41, exec_lo, s42
	s_cbranch_execz .LBB2_2528
; %bb.1987:                             ;   in Loop: Header=BB2_1978 Depth=2
	v_cmp_eq_u16_sdwa s43, v10, v80 src0_sel:BYTE_0 src1_sel:DWORD
	s_mov_b32 s13, -1
	s_and_saveexec_b32 s42, s43
; %bb.1988:                             ;   in Loop: Header=BB2_1978 Depth=2
	s_xor_b32 s13, exec_lo, -1
; %bb.1989:                             ;   in Loop: Header=BB2_1978 Depth=2
	s_or_b32 exec_lo, exec_lo, s42
	s_and_b32 s13, s13, exec_lo
	s_or_saveexec_b32 s41, s41
	v_mov_b32_e32 v97, 0x7f800001
	s_xor_b32 exec_lo, exec_lo, s41
	s_cbranch_execnz .LBB2_2529
.LBB2_1990:                             ;   in Loop: Header=BB2_1978 Depth=2
	s_or_b32 exec_lo, exec_lo, s41
	s_and_saveexec_b32 s41, s13
	s_cbranch_execz .LBB2_1992
.LBB2_1991:                             ;   in Loop: Header=BB2_1978 Depth=2
	v_and_b32_e32 v97, 7, v10
	v_bfe_u32 v100, v10, 3, 4
	v_lshlrev_b32_e32 v101, 24, v10
	v_ffbh_u32_e32 v98, v97
	v_cmp_eq_u32_e32 vcc_lo, 0, v100
	v_min_u32_e32 v98, 32, v98
	v_subrev_nc_u32_e32 v99, 28, v98
	v_sub_nc_u32_e32 v98, 29, v98
	v_lshlrev_b32_e32 v99, v99, v10
	v_cndmask_b32_e32 v98, v100, v98, vcc_lo
	v_and_b32_e32 v99, 7, v99
	v_lshl_add_u32 v98, v98, 23, 0x3b800000
	v_cndmask_b32_e32 v97, v97, v99, vcc_lo
	v_and_b32_e32 v99, 0x80000000, v101
	v_lshlrev_b32_e32 v97, 20, v97
	v_or3_b32 v97, v99, v98, v97
.LBB2_1992:                             ;   in Loop: Header=BB2_1978 Depth=2
	s_or_b32 exec_lo, exec_lo, s41
	v_mul_f32_e32 v98, s40, v97
	v_and_b32_e32 v97, 0x7f800000, v98
	v_cmp_ne_u32_e32 vcc_lo, 0x7f800000, v97
	v_mov_b32_e32 v97, 0x80
	s_and_saveexec_b32 s41, vcc_lo
	s_cbranch_execz .LBB2_2000
; %bb.1993:                             ;   in Loop: Header=BB2_1978 Depth=2
	v_mov_b32_e32 v97, 0
	s_mov_b32 s42, exec_lo
	v_cmpx_ne_u32_e32 0, v98
	s_cbranch_execz .LBB2_1999
; %bb.1994:                             ;   in Loop: Header=BB2_1978 Depth=2
	v_bfe_u32 v97, v98, 23, 8
	v_and_b32_e32 v99, 0x7fffff, v98
	v_sub_nc_u32_e32 v100, 0x78, v97
	v_cmp_gt_u32_e32 vcc_lo, 0x79, v97
	v_or_b32_e32 v101, 0x800000, v99
	v_cndmask_b32_e32 v100, 0, v100, vcc_lo
	v_cmp_eq_u32_e32 vcc_lo, 0, v97
	v_add_nc_u32_e32 v97, 0xffffff89, v97
	v_cndmask_b32_e64 v100, v100, 0x77, vcc_lo
	v_cndmask_b32_e32 v99, v101, v99, vcc_lo
	v_cndmask_b32_e64 v97, v97, 0xffffff8a, vcc_lo
	v_lshl_add_u32 v101, 0x100000, v100, -1
	v_lshrrev_b32_e32 v102, v100, v99
	v_lshlrev_b32_e64 v112, v100, 0x80000
	v_add_nc_u32_e32 v100, v100, v97
	v_and_b32_e32 v99, v101, v99
	v_bfe_u32 v103, v102, 20, 1
	v_cmp_eq_u32_e64 s13, v99, v112
	v_add_nc_u32_e32 v101, -1, v103
	v_cndmask_b32_e64 v99, 0, v101, s13
	v_lshrrev_b32_e32 v101, 23, v102
	s_mov_b32 s13, exec_lo
	v_add_nc_u32_e32 v99, v99, v102
	v_xor_b32_e32 v101, 1, v101
	v_and_b32_e32 v97, 0xfffff, v99
	v_add_nc_u32_e32 v99, v97, v102
                                        ; implicit-def: $vgpr97
	v_cmpx_ne_u32_e64 v100, v101
	s_xor_b32 s13, exec_lo, s13
; %bb.1995:                             ;   in Loop: Header=BB2_1978 Depth=2
	v_cmp_lt_u32_e32 vcc_lo, 0xffffff, v99
	v_sub_nc_u32_e32 v97, v100, v101
	v_cndmask_b32_e64 v100, 0, 1, vcc_lo
	v_add_co_ci_u32_e64 v97, null, 0, v97, vcc_lo
	v_lshrrev_b32_e32 v99, v100, v99
; %bb.1996:                             ;   in Loop: Header=BB2_1978 Depth=2
	s_andn2_saveexec_b32 s13, s13
; %bb.1997:                             ;   in Loop: Header=BB2_1978 Depth=2
	v_bfe_u32 v97, v99, 23, 1
; %bb.1998:                             ;   in Loop: Header=BB2_1978 Depth=2
	s_or_b32 exec_lo, exec_lo, s13
	v_lshrrev_b32_e32 v99, 20, v99
	v_min_i32_e32 v100, 15, v97
	v_cmp_gt_i32_e32 vcc_lo, 16, v97
	v_and_b32_sdwa v98, v98, v80 dst_sel:DWORD dst_unused:UNUSED_PAD src0_sel:BYTE_3 src1_sel:DWORD
	v_lshlrev_b32_e32 v100, 3, v100
	v_cndmask_b32_e32 v99, 7, v99, vcc_lo
	v_and_b32_e32 v100, 0xf8, v100
	v_and_b32_e32 v101, 7, v99
	v_or_b32_e32 v97, v97, v99
	v_or3_b32 v98, v100, v98, v101
	v_cmp_ne_u32_e32 vcc_lo, 0, v97
	v_cndmask_b32_e32 v97, 0, v98, vcc_lo
.LBB2_1999:                             ;   in Loop: Header=BB2_1978 Depth=2
	s_or_b32 exec_lo, exec_lo, s42
.LBB2_2000:                             ;   in Loop: Header=BB2_1978 Depth=2
	s_or_b32 exec_lo, exec_lo, s41
	v_cmp_gt_i16_sdwa s41, v10, v71 src0_sel:BYTE_1 src1_sel:DWORD
	s_mov_b32 s13, 0
	s_and_saveexec_b32 s42, s41
	s_xor_b32 s41, exec_lo, s42
	s_cbranch_execz .LBB2_2530
; %bb.2001:                             ;   in Loop: Header=BB2_1978 Depth=2
	v_cmp_eq_u16_sdwa s43, v10, v80 src0_sel:BYTE_1 src1_sel:DWORD
	s_mov_b32 s13, -1
	s_and_saveexec_b32 s42, s43
; %bb.2002:                             ;   in Loop: Header=BB2_1978 Depth=2
	s_xor_b32 s13, exec_lo, -1
; %bb.2003:                             ;   in Loop: Header=BB2_1978 Depth=2
	s_or_b32 exec_lo, exec_lo, s42
	s_and_b32 s13, s13, exec_lo
	s_or_saveexec_b32 s41, s41
	v_mov_b32_e32 v98, 0x7f800001
	s_xor_b32 exec_lo, exec_lo, s41
	s_cbranch_execnz .LBB2_2531
.LBB2_2004:                             ;   in Loop: Header=BB2_1978 Depth=2
	s_or_b32 exec_lo, exec_lo, s41
	s_and_saveexec_b32 s41, s13
	s_cbranch_execz .LBB2_2006
.LBB2_2005:                             ;   in Loop: Header=BB2_1978 Depth=2
	v_and_b32_sdwa v98, v81, v10 dst_sel:DWORD dst_unused:UNUSED_PAD src0_sel:DWORD src1_sel:BYTE_1
	v_and_b32_e32 v99, 7, v98
	v_bfe_u32 v102, v98, 3, 4
	v_ffbh_u32_e32 v100, v99
	v_cmp_eq_u32_e32 vcc_lo, 0, v102
	v_min_u32_e32 v100, 32, v100
	v_subrev_nc_u32_e32 v101, 28, v100
	v_sub_nc_u32_e32 v100, 29, v100
	v_lshlrev_b32_e32 v98, v101, v98
	v_lshlrev_b32_sdwa v101, v82, v10 dst_sel:DWORD dst_unused:UNUSED_PAD src0_sel:DWORD src1_sel:BYTE_1
	v_cndmask_b32_e32 v100, v102, v100, vcc_lo
	v_and_b32_e32 v98, 7, v98
	v_lshl_add_u32 v100, v100, 23, 0x3b800000
	v_cndmask_b32_e32 v98, v99, v98, vcc_lo
	v_and_b32_e32 v99, 0x80000000, v101
	v_lshlrev_b32_e32 v98, 20, v98
	v_or3_b32 v98, v99, v100, v98
.LBB2_2006:                             ;   in Loop: Header=BB2_1978 Depth=2
	s_or_b32 exec_lo, exec_lo, s41
	v_mul_f32_e32 v98, s40, v98
	v_mov_b32_e32 v100, 0x8000
	s_mov_b32 s41, exec_lo
	v_and_b32_e32 v99, 0x7f800000, v98
	v_cmpx_ne_u32_e32 0x7f800000, v99
	s_cbranch_execz .LBB2_2014
; %bb.2007:                             ;   in Loop: Header=BB2_1978 Depth=2
	v_mov_b32_e32 v100, 0
	s_mov_b32 s42, exec_lo
	v_cmpx_ne_u32_e32 0, v98
	s_cbranch_execz .LBB2_2013
; %bb.2008:                             ;   in Loop: Header=BB2_1978 Depth=2
	v_bfe_u32 v99, v98, 23, 8
	v_and_b32_e32 v100, 0x7fffff, v98
	v_sub_nc_u32_e32 v101, 0x78, v99
	v_cmp_gt_u32_e32 vcc_lo, 0x79, v99
	v_or_b32_e32 v102, 0x800000, v100
	v_cndmask_b32_e32 v101, 0, v101, vcc_lo
	v_cmp_eq_u32_e32 vcc_lo, 0, v99
	v_add_nc_u32_e32 v99, 0xffffff89, v99
	v_cndmask_b32_e64 v101, v101, 0x77, vcc_lo
	v_cndmask_b32_e32 v100, v102, v100, vcc_lo
	v_cndmask_b32_e64 v99, v99, 0xffffff8a, vcc_lo
	v_lshl_add_u32 v102, 0x100000, v101, -1
	v_lshrrev_b32_e32 v103, v101, v100
	v_lshlrev_b32_e64 v113, v101, 0x80000
	v_add_nc_u32_e32 v101, v101, v99
	v_and_b32_e32 v100, v102, v100
	v_bfe_u32 v112, v103, 20, 1
	v_cmp_eq_u32_e64 s13, v100, v113
	v_add_nc_u32_e32 v102, -1, v112
	v_cndmask_b32_e64 v100, 0, v102, s13
	v_lshrrev_b32_e32 v102, 23, v103
	s_mov_b32 s13, exec_lo
	v_add_nc_u32_e32 v100, v100, v103
	v_xor_b32_e32 v102, 1, v102
	v_and_b32_e32 v99, 0xfffff, v100
	v_add_nc_u32_e32 v100, v99, v103
                                        ; implicit-def: $vgpr99
	v_cmpx_ne_u32_e64 v101, v102
	s_xor_b32 s13, exec_lo, s13
; %bb.2009:                             ;   in Loop: Header=BB2_1978 Depth=2
	v_cmp_lt_u32_e32 vcc_lo, 0xffffff, v100
	v_sub_nc_u32_e32 v99, v101, v102
	v_cndmask_b32_e64 v101, 0, 1, vcc_lo
	v_add_co_ci_u32_e64 v99, null, 0, v99, vcc_lo
	v_lshrrev_b32_e32 v100, v101, v100
; %bb.2010:                             ;   in Loop: Header=BB2_1978 Depth=2
	s_andn2_saveexec_b32 s13, s13
; %bb.2011:                             ;   in Loop: Header=BB2_1978 Depth=2
	v_bfe_u32 v99, v100, 23, 1
; %bb.2012:                             ;   in Loop: Header=BB2_1978 Depth=2
	s_or_b32 exec_lo, exec_lo, s13
	v_lshrrev_b32_e32 v100, 20, v100
	v_min_i32_e32 v101, 15, v99
	v_cmp_gt_i32_e32 vcc_lo, 16, v99
	v_and_b32_sdwa v98, v98, v80 dst_sel:DWORD dst_unused:UNUSED_PAD src0_sel:BYTE_3 src1_sel:DWORD
	v_lshlrev_b32_e32 v101, 3, v101
	v_cndmask_b32_e32 v100, 7, v100, vcc_lo
	v_and_b32_e32 v101, 0xf8, v101
	v_and_b32_e32 v102, 7, v100
	v_or_b32_e32 v99, v99, v100
	v_or3_b32 v98, v98, v101, v102
	v_cmp_ne_u32_e32 vcc_lo, 0, v99
	v_lshlrev_b32_e32 v98, 8, v98
	v_cndmask_b32_e32 v100, 0, v98, vcc_lo
.LBB2_2013:                             ;   in Loop: Header=BB2_1978 Depth=2
	s_or_b32 exec_lo, exec_lo, s42
.LBB2_2014:                             ;   in Loop: Header=BB2_1978 Depth=2
	s_or_b32 exec_lo, exec_lo, s41
	v_and_b32_sdwa v99, v10, v83 dst_sel:DWORD dst_unused:UNUSED_PAD src0_sel:WORD_1 src1_sel:DWORD
	s_mov_b32 s13, 0
	s_mov_b32 s41, exec_lo
	v_cmpx_lt_i16_e32 0x7f, v99
	s_xor_b32 s41, exec_lo, s41
	s_cbranch_execz .LBB2_2532
; %bb.2015:                             ;   in Loop: Header=BB2_1978 Depth=2
	s_mov_b32 s13, -1
	s_mov_b32 s42, exec_lo
	v_cmpx_eq_u16_e32 0x80, v99
; %bb.2016:                             ;   in Loop: Header=BB2_1978 Depth=2
	s_xor_b32 s13, exec_lo, -1
; %bb.2017:                             ;   in Loop: Header=BB2_1978 Depth=2
	s_or_b32 exec_lo, exec_lo, s42
	s_and_b32 s13, s13, exec_lo
                                        ; implicit-def: $vgpr99
	s_or_saveexec_b32 s41, s41
	v_mov_b32_e32 v98, 0x7f800001
	s_xor_b32 exec_lo, exec_lo, s41
	s_cbranch_execnz .LBB2_2533
.LBB2_2018:                             ;   in Loop: Header=BB2_1978 Depth=2
	s_or_b32 exec_lo, exec_lo, s41
	s_and_saveexec_b32 s41, s13
	s_cbranch_execz .LBB2_2020
.LBB2_2019:                             ;   in Loop: Header=BB2_1978 Depth=2
	v_bfe_u32 v98, v10, 16, 3
	v_bfe_u32 v102, v10, 19, 4
	v_lshlrev_b32_e32 v103, 8, v10
	v_ffbh_u32_e32 v99, v98
	v_cmp_eq_u32_e32 vcc_lo, 0, v102
	v_min_u32_e32 v99, 32, v99
	v_subrev_nc_u32_e32 v101, 28, v99
	v_sub_nc_u32_e32 v99, 29, v99
	v_lshlrev_b32_sdwa v101, v101, v10 dst_sel:DWORD dst_unused:UNUSED_PAD src0_sel:DWORD src1_sel:WORD_1
	v_cndmask_b32_e32 v99, v102, v99, vcc_lo
	v_and_b32_e32 v101, 7, v101
	v_lshl_add_u32 v99, v99, 23, 0x3b800000
	v_cndmask_b32_e32 v98, v98, v101, vcc_lo
	v_and_b32_e32 v101, 0x80000000, v103
	v_lshlrev_b32_e32 v98, 20, v98
	v_or3_b32 v98, v101, v99, v98
.LBB2_2020:                             ;   in Loop: Header=BB2_1978 Depth=2
	s_or_b32 exec_lo, exec_lo, s41
	v_mul_f32_e32 v98, s40, v98
	v_mov_b32_e32 v113, 0x80
	s_mov_b32 s41, exec_lo
	v_and_b32_e32 v99, 0x7f800000, v98
	v_cmpx_ne_u32_e32 0x7f800000, v99
	s_cbranch_execz .LBB2_2028
; %bb.2021:                             ;   in Loop: Header=BB2_1978 Depth=2
	v_mov_b32_e32 v113, 0
	s_mov_b32 s42, exec_lo
	v_cmpx_ne_u32_e32 0, v98
	s_cbranch_execz .LBB2_2027
; %bb.2022:                             ;   in Loop: Header=BB2_1978 Depth=2
	v_bfe_u32 v99, v98, 23, 8
	v_and_b32_e32 v101, 0x7fffff, v98
	v_sub_nc_u32_e32 v102, 0x78, v99
	v_cmp_gt_u32_e32 vcc_lo, 0x79, v99
	v_or_b32_e32 v103, 0x800000, v101
	v_cndmask_b32_e32 v102, 0, v102, vcc_lo
	v_cmp_eq_u32_e32 vcc_lo, 0, v99
	v_add_nc_u32_e32 v99, 0xffffff89, v99
	v_cndmask_b32_e64 v102, v102, 0x77, vcc_lo
	v_cndmask_b32_e32 v101, v103, v101, vcc_lo
	v_cndmask_b32_e64 v99, v99, 0xffffff8a, vcc_lo
	v_lshl_add_u32 v103, 0x100000, v102, -1
	v_lshrrev_b32_e32 v112, v102, v101
	v_lshlrev_b32_e64 v114, v102, 0x80000
	v_add_nc_u32_e32 v102, v102, v99
	v_and_b32_e32 v101, v103, v101
	v_bfe_u32 v113, v112, 20, 1
	v_cmp_eq_u32_e64 s13, v101, v114
	v_add_nc_u32_e32 v103, -1, v113
	v_cndmask_b32_e64 v101, 0, v103, s13
	v_lshrrev_b32_e32 v103, 23, v112
	s_mov_b32 s13, exec_lo
	v_add_nc_u32_e32 v101, v101, v112
	v_xor_b32_e32 v103, 1, v103
	v_and_b32_e32 v99, 0xfffff, v101
	v_add_nc_u32_e32 v101, v99, v112
                                        ; implicit-def: $vgpr99
	v_cmpx_ne_u32_e64 v102, v103
	s_xor_b32 s13, exec_lo, s13
; %bb.2023:                             ;   in Loop: Header=BB2_1978 Depth=2
	v_cmp_lt_u32_e32 vcc_lo, 0xffffff, v101
	v_sub_nc_u32_e32 v99, v102, v103
	v_cndmask_b32_e64 v102, 0, 1, vcc_lo
	v_add_co_ci_u32_e64 v99, null, 0, v99, vcc_lo
	v_lshrrev_b32_e32 v101, v102, v101
; %bb.2024:                             ;   in Loop: Header=BB2_1978 Depth=2
	s_andn2_saveexec_b32 s13, s13
; %bb.2025:                             ;   in Loop: Header=BB2_1978 Depth=2
	v_bfe_u32 v99, v101, 23, 1
; %bb.2026:                             ;   in Loop: Header=BB2_1978 Depth=2
	s_or_b32 exec_lo, exec_lo, s13
	v_lshrrev_b32_e32 v101, 20, v101
	v_min_i32_e32 v102, 15, v99
	v_cmp_gt_i32_e32 vcc_lo, 16, v99
	v_and_b32_sdwa v98, v98, v80 dst_sel:DWORD dst_unused:UNUSED_PAD src0_sel:BYTE_3 src1_sel:DWORD
	v_lshlrev_b32_e32 v102, 3, v102
	v_cndmask_b32_e32 v101, 7, v101, vcc_lo
	v_and_b32_e32 v102, 0xf8, v102
	v_and_b32_e32 v103, 7, v101
	v_or_b32_e32 v99, v99, v101
	v_or3_b32 v98, v102, v98, v103
	v_cmp_ne_u32_e32 vcc_lo, 0, v99
	v_cndmask_b32_e32 v113, 0, v98, vcc_lo
.LBB2_2027:                             ;   in Loop: Header=BB2_1978 Depth=2
	s_or_b32 exec_lo, exec_lo, s42
.LBB2_2028:                             ;   in Loop: Header=BB2_1978 Depth=2
	s_or_b32 exec_lo, exec_lo, s41
	v_cmp_gt_i16_sdwa s41, v10, v71 src0_sel:BYTE_3 src1_sel:DWORD
	s_mov_b32 s13, 0
	s_and_saveexec_b32 s42, s41
	s_xor_b32 s41, exec_lo, s42
	s_cbranch_execz .LBB2_2534
; %bb.2029:                             ;   in Loop: Header=BB2_1978 Depth=2
	v_cmp_eq_u16_sdwa s43, v10, v80 src0_sel:BYTE_3 src1_sel:DWORD
	s_mov_b32 s13, -1
	s_and_saveexec_b32 s42, s43
; %bb.2030:                             ;   in Loop: Header=BB2_1978 Depth=2
	s_xor_b32 s13, exec_lo, -1
; %bb.2031:                             ;   in Loop: Header=BB2_1978 Depth=2
	s_or_b32 exec_lo, exec_lo, s42
	s_and_b32 s13, s13, exec_lo
	s_or_saveexec_b32 s41, s41
	v_mov_b32_e32 v98, 0x7f800001
	s_xor_b32 exec_lo, exec_lo, s41
	s_cbranch_execnz .LBB2_2535
.LBB2_2032:                             ;   in Loop: Header=BB2_1978 Depth=2
	s_or_b32 exec_lo, exec_lo, s41
	s_and_saveexec_b32 s41, s13
	s_cbranch_execz .LBB2_2034
.LBB2_2033:                             ;   in Loop: Header=BB2_1978 Depth=2
	v_bfe_u32 v98, v10, 24, 3
	v_bfe_u32 v102, v10, 27, 4
	v_ffbh_u32_e32 v99, v98
	v_cmp_eq_u32_e32 vcc_lo, 0, v102
	v_min_u32_e32 v99, 32, v99
	v_subrev_nc_u32_e32 v101, 28, v99
	v_sub_nc_u32_e32 v99, 29, v99
	v_lshlrev_b32_sdwa v101, v101, v10 dst_sel:DWORD dst_unused:UNUSED_PAD src0_sel:DWORD src1_sel:BYTE_3
	v_cndmask_b32_e32 v99, v102, v99, vcc_lo
	v_and_b32_e32 v10, 0x80000000, v10
	v_and_b32_e32 v101, 7, v101
	v_lshl_add_u32 v99, v99, 23, 0x3b800000
	v_cndmask_b32_e32 v98, v98, v101, vcc_lo
	v_lshlrev_b32_e32 v98, 20, v98
	v_or3_b32 v98, v10, v99, v98
.LBB2_2034:                             ;   in Loop: Header=BB2_1978 Depth=2
	s_or_b32 exec_lo, exec_lo, s41
	v_mul_f32_e32 v10, s40, v98
	v_mov_b32_e32 v40, 0x8000
	s_mov_b32 s41, exec_lo
	v_and_b32_e32 v98, 0x7f800000, v10
	v_cmpx_ne_u32_e32 0x7f800000, v98
	s_cbranch_execz .LBB2_2042
; %bb.2035:                             ;   in Loop: Header=BB2_1978 Depth=2
	v_mov_b32_e32 v40, 0
	s_mov_b32 s42, exec_lo
	v_cmpx_ne_u32_e32 0, v10
	s_cbranch_execz .LBB2_2041
; %bb.2036:                             ;   in Loop: Header=BB2_1978 Depth=2
	v_bfe_u32 v98, v10, 23, 8
	v_and_b32_e32 v99, 0x7fffff, v10
	v_sub_nc_u32_e32 v101, 0x78, v98
	v_cmp_gt_u32_e32 vcc_lo, 0x79, v98
	v_or_b32_e32 v102, 0x800000, v99
	v_cndmask_b32_e32 v101, 0, v101, vcc_lo
	v_cmp_eq_u32_e32 vcc_lo, 0, v98
	v_add_nc_u32_e32 v98, 0xffffff89, v98
	v_cndmask_b32_e64 v101, v101, 0x77, vcc_lo
	v_cndmask_b32_e32 v99, v102, v99, vcc_lo
	v_cndmask_b32_e64 v98, v98, 0xffffff8a, vcc_lo
	v_lshl_add_u32 v102, 0x100000, v101, -1
	v_lshrrev_b32_e32 v103, v101, v99
	v_lshlrev_b32_e64 v114, v101, 0x80000
	v_add_nc_u32_e32 v101, v101, v98
	v_and_b32_e32 v99, v102, v99
	v_bfe_u32 v112, v103, 20, 1
	v_cmp_eq_u32_e64 s13, v99, v114
	v_add_nc_u32_e32 v102, -1, v112
	v_cndmask_b32_e64 v99, 0, v102, s13
	v_lshrrev_b32_e32 v102, 23, v103
	s_mov_b32 s13, exec_lo
	v_add_nc_u32_e32 v99, v99, v103
	v_xor_b32_e32 v102, 1, v102
	v_and_b32_e32 v98, 0xfffff, v99
	v_add_nc_u32_e32 v99, v98, v103
                                        ; implicit-def: $vgpr98
	v_cmpx_ne_u32_e64 v101, v102
	s_xor_b32 s13, exec_lo, s13
; %bb.2037:                             ;   in Loop: Header=BB2_1978 Depth=2
	v_cmp_lt_u32_e32 vcc_lo, 0xffffff, v99
	v_sub_nc_u32_e32 v98, v101, v102
	v_cndmask_b32_e64 v101, 0, 1, vcc_lo
	v_add_co_ci_u32_e64 v98, null, 0, v98, vcc_lo
	v_lshrrev_b32_e32 v99, v101, v99
; %bb.2038:                             ;   in Loop: Header=BB2_1978 Depth=2
	s_andn2_saveexec_b32 s13, s13
; %bb.2039:                             ;   in Loop: Header=BB2_1978 Depth=2
	v_bfe_u32 v98, v99, 23, 1
; %bb.2040:                             ;   in Loop: Header=BB2_1978 Depth=2
	s_or_b32 exec_lo, exec_lo, s13
	v_lshrrev_b32_e32 v99, 20, v99
	v_min_i32_e32 v101, 15, v98
	v_cmp_gt_i32_e32 vcc_lo, 16, v98
	v_and_b32_sdwa v10, v10, v80 dst_sel:DWORD dst_unused:UNUSED_PAD src0_sel:BYTE_3 src1_sel:DWORD
	v_lshlrev_b32_e32 v101, 3, v101
	v_cndmask_b32_e32 v99, 7, v99, vcc_lo
	v_and_b32_e32 v101, 0xf8, v101
	v_and_b32_e32 v102, 7, v99
	v_or_b32_e32 v98, v98, v99
	v_or3_b32 v10, v10, v101, v102
	v_cmp_ne_u32_e32 vcc_lo, 0, v98
	v_lshlrev_b32_e32 v10, 8, v10
	v_cndmask_b32_e32 v40, 0, v10, vcc_lo
.LBB2_2041:                             ;   in Loop: Header=BB2_1978 Depth=2
	s_or_b32 exec_lo, exec_lo, s42
.LBB2_2042:                             ;   in Loop: Header=BB2_1978 Depth=2
	s_or_b32 exec_lo, exec_lo, s41
	v_cmp_gt_i16_sdwa s41, v11, v71 src0_sel:BYTE_0 src1_sel:DWORD
	s_mov_b32 s13, 0
	s_and_saveexec_b32 s42, s41
	s_xor_b32 s41, exec_lo, s42
	s_cbranch_execz .LBB2_2536
; %bb.2043:                             ;   in Loop: Header=BB2_1978 Depth=2
	v_cmp_eq_u16_sdwa s43, v11, v80 src0_sel:BYTE_0 src1_sel:DWORD
	s_mov_b32 s13, -1
	s_and_saveexec_b32 s42, s43
; %bb.2044:                             ;   in Loop: Header=BB2_1978 Depth=2
	s_xor_b32 s13, exec_lo, -1
; %bb.2045:                             ;   in Loop: Header=BB2_1978 Depth=2
	s_or_b32 exec_lo, exec_lo, s42
	s_and_b32 s13, s13, exec_lo
	s_or_saveexec_b32 s41, s41
	v_mov_b32_e32 v10, 0x7f800001
	s_xor_b32 exec_lo, exec_lo, s41
	s_cbranch_execnz .LBB2_2537
.LBB2_2046:                             ;   in Loop: Header=BB2_1978 Depth=2
	s_or_b32 exec_lo, exec_lo, s41
	s_and_saveexec_b32 s41, s13
	s_cbranch_execz .LBB2_2048
.LBB2_2047:                             ;   in Loop: Header=BB2_1978 Depth=2
	v_and_b32_e32 v10, 7, v11
	v_bfe_u32 v101, v11, 3, 4
	v_lshlrev_b32_e32 v102, 24, v11
	v_ffbh_u32_e32 v98, v10
	v_cmp_eq_u32_e32 vcc_lo, 0, v101
	v_min_u32_e32 v98, 32, v98
	v_subrev_nc_u32_e32 v99, 28, v98
	v_sub_nc_u32_e32 v98, 29, v98
	v_lshlrev_b32_e32 v99, v99, v11
	v_cndmask_b32_e32 v98, v101, v98, vcc_lo
	v_and_b32_e32 v99, 7, v99
	v_lshl_add_u32 v98, v98, 23, 0x3b800000
	v_cndmask_b32_e32 v10, v10, v99, vcc_lo
	v_and_b32_e32 v99, 0x80000000, v102
	v_lshlrev_b32_e32 v10, 20, v10
	v_or3_b32 v10, v99, v98, v10
.LBB2_2048:                             ;   in Loop: Header=BB2_1978 Depth=2
	s_or_b32 exec_lo, exec_lo, s41
	v_mul_f32_e32 v10, s40, v10
	v_mov_b32_e32 v117, 0x80
	s_mov_b32 s41, exec_lo
	v_and_b32_e32 v98, 0x7f800000, v10
	v_cmpx_ne_u32_e32 0x7f800000, v98
	s_cbranch_execz .LBB2_2056
; %bb.2049:                             ;   in Loop: Header=BB2_1978 Depth=2
	v_mov_b32_e32 v117, 0
	s_mov_b32 s42, exec_lo
	v_cmpx_ne_u32_e32 0, v10
	s_cbranch_execz .LBB2_2055
; %bb.2050:                             ;   in Loop: Header=BB2_1978 Depth=2
	v_bfe_u32 v98, v10, 23, 8
	v_and_b32_e32 v99, 0x7fffff, v10
	v_sub_nc_u32_e32 v101, 0x78, v98
	v_cmp_gt_u32_e32 vcc_lo, 0x79, v98
	v_or_b32_e32 v102, 0x800000, v99
	v_cndmask_b32_e32 v101, 0, v101, vcc_lo
	v_cmp_eq_u32_e32 vcc_lo, 0, v98
	v_add_nc_u32_e32 v98, 0xffffff89, v98
	v_cndmask_b32_e64 v101, v101, 0x77, vcc_lo
	v_cndmask_b32_e32 v99, v102, v99, vcc_lo
	v_cndmask_b32_e64 v98, v98, 0xffffff8a, vcc_lo
	v_lshl_add_u32 v102, 0x100000, v101, -1
	v_lshrrev_b32_e32 v103, v101, v99
	v_lshlrev_b32_e64 v114, v101, 0x80000
	v_add_nc_u32_e32 v101, v101, v98
	v_and_b32_e32 v99, v102, v99
	v_bfe_u32 v112, v103, 20, 1
	v_cmp_eq_u32_e64 s13, v99, v114
	v_add_nc_u32_e32 v102, -1, v112
	v_cndmask_b32_e64 v99, 0, v102, s13
	v_lshrrev_b32_e32 v102, 23, v103
	s_mov_b32 s13, exec_lo
	v_add_nc_u32_e32 v99, v99, v103
	v_xor_b32_e32 v102, 1, v102
	v_and_b32_e32 v98, 0xfffff, v99
	v_add_nc_u32_e32 v99, v98, v103
                                        ; implicit-def: $vgpr98
	v_cmpx_ne_u32_e64 v101, v102
	s_xor_b32 s13, exec_lo, s13
; %bb.2051:                             ;   in Loop: Header=BB2_1978 Depth=2
	v_cmp_lt_u32_e32 vcc_lo, 0xffffff, v99
	v_sub_nc_u32_e32 v98, v101, v102
	v_cndmask_b32_e64 v101, 0, 1, vcc_lo
	v_add_co_ci_u32_e64 v98, null, 0, v98, vcc_lo
	v_lshrrev_b32_e32 v99, v101, v99
; %bb.2052:                             ;   in Loop: Header=BB2_1978 Depth=2
	s_andn2_saveexec_b32 s13, s13
; %bb.2053:                             ;   in Loop: Header=BB2_1978 Depth=2
	v_bfe_u32 v98, v99, 23, 1
; %bb.2054:                             ;   in Loop: Header=BB2_1978 Depth=2
	s_or_b32 exec_lo, exec_lo, s13
	v_lshrrev_b32_e32 v99, 20, v99
	v_min_i32_e32 v101, 15, v98
	v_cmp_gt_i32_e32 vcc_lo, 16, v98
	v_and_b32_sdwa v10, v10, v80 dst_sel:DWORD dst_unused:UNUSED_PAD src0_sel:BYTE_3 src1_sel:DWORD
	v_lshlrev_b32_e32 v101, 3, v101
	v_cndmask_b32_e32 v99, 7, v99, vcc_lo
	v_and_b32_e32 v101, 0xf8, v101
	v_and_b32_e32 v102, 7, v99
	v_or_b32_e32 v98, v98, v99
	v_or3_b32 v10, v101, v10, v102
	v_cmp_ne_u32_e32 vcc_lo, 0, v98
	v_cndmask_b32_e32 v117, 0, v10, vcc_lo
.LBB2_2055:                             ;   in Loop: Header=BB2_1978 Depth=2
	s_or_b32 exec_lo, exec_lo, s42
.LBB2_2056:                             ;   in Loop: Header=BB2_1978 Depth=2
	s_or_b32 exec_lo, exec_lo, s41
	v_cmp_gt_i16_sdwa s41, v11, v71 src0_sel:BYTE_1 src1_sel:DWORD
	s_mov_b32 s13, 0
	s_and_saveexec_b32 s42, s41
	s_xor_b32 s41, exec_lo, s42
	s_cbranch_execz .LBB2_2538
; %bb.2057:                             ;   in Loop: Header=BB2_1978 Depth=2
	v_cmp_eq_u16_sdwa s43, v11, v80 src0_sel:BYTE_1 src1_sel:DWORD
	s_mov_b32 s13, -1
	s_and_saveexec_b32 s42, s43
; %bb.2058:                             ;   in Loop: Header=BB2_1978 Depth=2
	s_xor_b32 s13, exec_lo, -1
; %bb.2059:                             ;   in Loop: Header=BB2_1978 Depth=2
	s_or_b32 exec_lo, exec_lo, s42
	s_and_b32 s13, s13, exec_lo
	s_or_saveexec_b32 s41, s41
	v_mov_b32_e32 v10, 0x7f800001
	s_xor_b32 exec_lo, exec_lo, s41
	s_cbranch_execnz .LBB2_2539
.LBB2_2060:                             ;   in Loop: Header=BB2_1978 Depth=2
	s_or_b32 exec_lo, exec_lo, s41
	s_and_saveexec_b32 s41, s13
	s_cbranch_execz .LBB2_2062
.LBB2_2061:                             ;   in Loop: Header=BB2_1978 Depth=2
	v_and_b32_sdwa v10, v81, v11 dst_sel:DWORD dst_unused:UNUSED_PAD src0_sel:DWORD src1_sel:BYTE_1
	v_and_b32_e32 v98, 7, v10
	v_bfe_u32 v102, v10, 3, 4
	v_ffbh_u32_e32 v99, v98
	v_cmp_eq_u32_e32 vcc_lo, 0, v102
	v_min_u32_e32 v99, 32, v99
	v_subrev_nc_u32_e32 v101, 28, v99
	v_sub_nc_u32_e32 v99, 29, v99
	v_lshlrev_b32_e32 v10, v101, v10
	v_lshlrev_b32_sdwa v101, v82, v11 dst_sel:DWORD dst_unused:UNUSED_PAD src0_sel:DWORD src1_sel:BYTE_1
	v_cndmask_b32_e32 v99, v102, v99, vcc_lo
	v_and_b32_e32 v10, 7, v10
	v_lshl_add_u32 v99, v99, 23, 0x3b800000
	v_cndmask_b32_e32 v10, v98, v10, vcc_lo
	v_and_b32_e32 v98, 0x80000000, v101
	v_lshlrev_b32_e32 v10, 20, v10
	v_or3_b32 v10, v98, v99, v10
.LBB2_2062:                             ;   in Loop: Header=BB2_1978 Depth=2
	s_or_b32 exec_lo, exec_lo, s41
	v_mul_f32_e32 v10, s40, v10
	v_mov_b32_e32 v119, 0x8000
	s_mov_b32 s41, exec_lo
	v_and_b32_e32 v98, 0x7f800000, v10
	v_cmpx_ne_u32_e32 0x7f800000, v98
	s_cbranch_execz .LBB2_2070
; %bb.2063:                             ;   in Loop: Header=BB2_1978 Depth=2
	v_mov_b32_e32 v119, 0
	s_mov_b32 s42, exec_lo
	v_cmpx_ne_u32_e32 0, v10
	s_cbranch_execz .LBB2_2069
; %bb.2064:                             ;   in Loop: Header=BB2_1978 Depth=2
	v_bfe_u32 v98, v10, 23, 8
	v_and_b32_e32 v99, 0x7fffff, v10
	v_sub_nc_u32_e32 v101, 0x78, v98
	v_cmp_gt_u32_e32 vcc_lo, 0x79, v98
	v_or_b32_e32 v102, 0x800000, v99
	v_cndmask_b32_e32 v101, 0, v101, vcc_lo
	v_cmp_eq_u32_e32 vcc_lo, 0, v98
	v_add_nc_u32_e32 v98, 0xffffff89, v98
	v_cndmask_b32_e64 v101, v101, 0x77, vcc_lo
	v_cndmask_b32_e32 v99, v102, v99, vcc_lo
	v_cndmask_b32_e64 v98, v98, 0xffffff8a, vcc_lo
	v_lshl_add_u32 v102, 0x100000, v101, -1
	v_lshrrev_b32_e32 v103, v101, v99
	v_lshlrev_b32_e64 v114, v101, 0x80000
	v_add_nc_u32_e32 v101, v101, v98
	v_and_b32_e32 v99, v102, v99
	v_bfe_u32 v112, v103, 20, 1
	v_cmp_eq_u32_e64 s13, v99, v114
	v_add_nc_u32_e32 v102, -1, v112
	v_cndmask_b32_e64 v99, 0, v102, s13
	v_lshrrev_b32_e32 v102, 23, v103
	s_mov_b32 s13, exec_lo
	v_add_nc_u32_e32 v99, v99, v103
	v_xor_b32_e32 v102, 1, v102
	v_and_b32_e32 v98, 0xfffff, v99
	v_add_nc_u32_e32 v99, v98, v103
                                        ; implicit-def: $vgpr98
	v_cmpx_ne_u32_e64 v101, v102
	s_xor_b32 s13, exec_lo, s13
; %bb.2065:                             ;   in Loop: Header=BB2_1978 Depth=2
	v_cmp_lt_u32_e32 vcc_lo, 0xffffff, v99
	v_sub_nc_u32_e32 v98, v101, v102
	v_cndmask_b32_e64 v101, 0, 1, vcc_lo
	v_add_co_ci_u32_e64 v98, null, 0, v98, vcc_lo
	v_lshrrev_b32_e32 v99, v101, v99
; %bb.2066:                             ;   in Loop: Header=BB2_1978 Depth=2
	s_andn2_saveexec_b32 s13, s13
; %bb.2067:                             ;   in Loop: Header=BB2_1978 Depth=2
	v_bfe_u32 v98, v99, 23, 1
; %bb.2068:                             ;   in Loop: Header=BB2_1978 Depth=2
	s_or_b32 exec_lo, exec_lo, s13
	v_lshrrev_b32_e32 v99, 20, v99
	v_min_i32_e32 v101, 15, v98
	v_cmp_gt_i32_e32 vcc_lo, 16, v98
	v_and_b32_sdwa v10, v10, v80 dst_sel:DWORD dst_unused:UNUSED_PAD src0_sel:BYTE_3 src1_sel:DWORD
	v_lshlrev_b32_e32 v101, 3, v101
	v_cndmask_b32_e32 v99, 7, v99, vcc_lo
	v_and_b32_e32 v101, 0xf8, v101
	v_and_b32_e32 v102, 7, v99
	v_or_b32_e32 v98, v98, v99
	v_or3_b32 v10, v10, v101, v102
	v_cmp_ne_u32_e32 vcc_lo, 0, v98
	v_lshlrev_b32_e32 v10, 8, v10
	v_cndmask_b32_e32 v119, 0, v10, vcc_lo
.LBB2_2069:                             ;   in Loop: Header=BB2_1978 Depth=2
	s_or_b32 exec_lo, exec_lo, s42
.LBB2_2070:                             ;   in Loop: Header=BB2_1978 Depth=2
	s_or_b32 exec_lo, exec_lo, s41
	v_and_b32_sdwa v98, v11, v83 dst_sel:DWORD dst_unused:UNUSED_PAD src0_sel:WORD_1 src1_sel:DWORD
	s_mov_b32 s13, 0
	s_mov_b32 s41, exec_lo
	v_cmpx_lt_i16_e32 0x7f, v98
	s_xor_b32 s41, exec_lo, s41
	s_cbranch_execz .LBB2_2540
; %bb.2071:                             ;   in Loop: Header=BB2_1978 Depth=2
	s_mov_b32 s13, -1
	s_mov_b32 s42, exec_lo
	v_cmpx_eq_u16_e32 0x80, v98
; %bb.2072:                             ;   in Loop: Header=BB2_1978 Depth=2
	s_xor_b32 s13, exec_lo, -1
; %bb.2073:                             ;   in Loop: Header=BB2_1978 Depth=2
	s_or_b32 exec_lo, exec_lo, s42
	s_and_b32 s13, s13, exec_lo
                                        ; implicit-def: $vgpr98
	s_or_saveexec_b32 s41, s41
	v_mov_b32_e32 v10, 0x7f800001
	s_xor_b32 exec_lo, exec_lo, s41
	s_cbranch_execnz .LBB2_2541
.LBB2_2074:                             ;   in Loop: Header=BB2_1978 Depth=2
	s_or_b32 exec_lo, exec_lo, s41
	s_and_saveexec_b32 s41, s13
	s_cbranch_execz .LBB2_2076
.LBB2_2075:                             ;   in Loop: Header=BB2_1978 Depth=2
	v_bfe_u32 v10, v11, 16, 3
	v_bfe_u32 v101, v11, 19, 4
	v_lshlrev_b32_e32 v102, 8, v11
	v_ffbh_u32_e32 v98, v10
	v_cmp_eq_u32_e32 vcc_lo, 0, v101
	v_min_u32_e32 v98, 32, v98
	v_subrev_nc_u32_e32 v99, 28, v98
	v_sub_nc_u32_e32 v98, 29, v98
	v_lshlrev_b32_sdwa v99, v99, v11 dst_sel:DWORD dst_unused:UNUSED_PAD src0_sel:DWORD src1_sel:WORD_1
	v_cndmask_b32_e32 v98, v101, v98, vcc_lo
	v_and_b32_e32 v99, 7, v99
	v_lshl_add_u32 v98, v98, 23, 0x3b800000
	v_cndmask_b32_e32 v10, v10, v99, vcc_lo
	v_and_b32_e32 v99, 0x80000000, v102
	v_lshlrev_b32_e32 v10, 20, v10
	v_or3_b32 v10, v99, v98, v10
.LBB2_2076:                             ;   in Loop: Header=BB2_1978 Depth=2
	s_or_b32 exec_lo, exec_lo, s41
	v_mul_f32_e32 v10, s40, v10
	v_mov_b32_e32 v115, 0x80
	s_mov_b32 s41, exec_lo
	v_and_b32_e32 v98, 0x7f800000, v10
	v_cmpx_ne_u32_e32 0x7f800000, v98
	s_cbranch_execz .LBB2_2084
; %bb.2077:                             ;   in Loop: Header=BB2_1978 Depth=2
	v_mov_b32_e32 v115, 0
	s_mov_b32 s42, exec_lo
	v_cmpx_ne_u32_e32 0, v10
	s_cbranch_execz .LBB2_2083
; %bb.2078:                             ;   in Loop: Header=BB2_1978 Depth=2
	v_bfe_u32 v98, v10, 23, 8
	v_and_b32_e32 v99, 0x7fffff, v10
	v_sub_nc_u32_e32 v101, 0x78, v98
	v_cmp_gt_u32_e32 vcc_lo, 0x79, v98
	v_or_b32_e32 v102, 0x800000, v99
	v_cndmask_b32_e32 v101, 0, v101, vcc_lo
	v_cmp_eq_u32_e32 vcc_lo, 0, v98
	v_add_nc_u32_e32 v98, 0xffffff89, v98
	v_cndmask_b32_e64 v101, v101, 0x77, vcc_lo
	v_cndmask_b32_e32 v99, v102, v99, vcc_lo
	v_cndmask_b32_e64 v98, v98, 0xffffff8a, vcc_lo
	v_lshl_add_u32 v102, 0x100000, v101, -1
	v_lshrrev_b32_e32 v103, v101, v99
	v_lshlrev_b32_e64 v114, v101, 0x80000
	v_add_nc_u32_e32 v101, v101, v98
	v_and_b32_e32 v99, v102, v99
	v_bfe_u32 v112, v103, 20, 1
	v_cmp_eq_u32_e64 s13, v99, v114
	v_add_nc_u32_e32 v102, -1, v112
	v_cndmask_b32_e64 v99, 0, v102, s13
	v_lshrrev_b32_e32 v102, 23, v103
	s_mov_b32 s13, exec_lo
	v_add_nc_u32_e32 v99, v99, v103
	v_xor_b32_e32 v102, 1, v102
	v_and_b32_e32 v98, 0xfffff, v99
	v_add_nc_u32_e32 v99, v98, v103
                                        ; implicit-def: $vgpr98
	v_cmpx_ne_u32_e64 v101, v102
	s_xor_b32 s13, exec_lo, s13
; %bb.2079:                             ;   in Loop: Header=BB2_1978 Depth=2
	v_cmp_lt_u32_e32 vcc_lo, 0xffffff, v99
	v_sub_nc_u32_e32 v98, v101, v102
	v_cndmask_b32_e64 v101, 0, 1, vcc_lo
	v_add_co_ci_u32_e64 v98, null, 0, v98, vcc_lo
	v_lshrrev_b32_e32 v99, v101, v99
; %bb.2080:                             ;   in Loop: Header=BB2_1978 Depth=2
	s_andn2_saveexec_b32 s13, s13
; %bb.2081:                             ;   in Loop: Header=BB2_1978 Depth=2
	v_bfe_u32 v98, v99, 23, 1
; %bb.2082:                             ;   in Loop: Header=BB2_1978 Depth=2
	s_or_b32 exec_lo, exec_lo, s13
	v_lshrrev_b32_e32 v99, 20, v99
	v_min_i32_e32 v101, 15, v98
	v_cmp_gt_i32_e32 vcc_lo, 16, v98
	v_and_b32_sdwa v10, v10, v80 dst_sel:DWORD dst_unused:UNUSED_PAD src0_sel:BYTE_3 src1_sel:DWORD
	v_lshlrev_b32_e32 v101, 3, v101
	v_cndmask_b32_e32 v99, 7, v99, vcc_lo
	v_and_b32_e32 v101, 0xf8, v101
	v_and_b32_e32 v102, 7, v99
	v_or_b32_e32 v98, v98, v99
	v_or3_b32 v10, v101, v10, v102
	v_cmp_ne_u32_e32 vcc_lo, 0, v98
	v_cndmask_b32_e32 v115, 0, v10, vcc_lo
.LBB2_2083:                             ;   in Loop: Header=BB2_1978 Depth=2
	s_or_b32 exec_lo, exec_lo, s42
.LBB2_2084:                             ;   in Loop: Header=BB2_1978 Depth=2
	s_or_b32 exec_lo, exec_lo, s41
	v_cmp_gt_i16_sdwa s41, v11, v71 src0_sel:BYTE_3 src1_sel:DWORD
	s_mov_b32 s13, 0
	s_and_saveexec_b32 s42, s41
	s_xor_b32 s41, exec_lo, s42
	s_cbranch_execz .LBB2_2542
; %bb.2085:                             ;   in Loop: Header=BB2_1978 Depth=2
	v_cmp_eq_u16_sdwa s43, v11, v80 src0_sel:BYTE_3 src1_sel:DWORD
	s_mov_b32 s13, -1
	s_and_saveexec_b32 s42, s43
; %bb.2086:                             ;   in Loop: Header=BB2_1978 Depth=2
	s_xor_b32 s13, exec_lo, -1
; %bb.2087:                             ;   in Loop: Header=BB2_1978 Depth=2
	s_or_b32 exec_lo, exec_lo, s42
	s_and_b32 s13, s13, exec_lo
	s_or_saveexec_b32 s41, s41
	v_mov_b32_e32 v10, 0x7f800001
	s_xor_b32 exec_lo, exec_lo, s41
	s_cbranch_execnz .LBB2_2543
.LBB2_2088:                             ;   in Loop: Header=BB2_1978 Depth=2
	s_or_b32 exec_lo, exec_lo, s41
	s_and_saveexec_b32 s41, s13
	s_cbranch_execz .LBB2_2090
.LBB2_2089:                             ;   in Loop: Header=BB2_1978 Depth=2
	v_bfe_u32 v10, v11, 24, 3
	v_bfe_u32 v101, v11, 27, 4
	v_ffbh_u32_e32 v98, v10
	v_cmp_eq_u32_e32 vcc_lo, 0, v101
	v_min_u32_e32 v98, 32, v98
	v_subrev_nc_u32_e32 v99, 28, v98
	v_sub_nc_u32_e32 v98, 29, v98
	v_lshlrev_b32_sdwa v99, v99, v11 dst_sel:DWORD dst_unused:UNUSED_PAD src0_sel:DWORD src1_sel:BYTE_3
	v_cndmask_b32_e32 v98, v101, v98, vcc_lo
	v_and_b32_e32 v11, 0x80000000, v11
	v_and_b32_e32 v99, 7, v99
	v_lshl_add_u32 v98, v98, 23, 0x3b800000
	v_cndmask_b32_e32 v10, v10, v99, vcc_lo
	v_lshlrev_b32_e32 v10, 20, v10
	v_or3_b32 v10, v11, v98, v10
.LBB2_2090:                             ;   in Loop: Header=BB2_1978 Depth=2
	s_or_b32 exec_lo, exec_lo, s41
	v_mul_f32_e32 v10, s40, v10
	v_mov_b32_e32 v118, 0x8000
	s_mov_b32 s41, exec_lo
	v_and_b32_e32 v11, 0x7f800000, v10
	v_cmpx_ne_u32_e32 0x7f800000, v11
	s_cbranch_execz .LBB2_2098
; %bb.2091:                             ;   in Loop: Header=BB2_1978 Depth=2
	v_mov_b32_e32 v118, 0
	s_mov_b32 s42, exec_lo
	v_cmpx_ne_u32_e32 0, v10
	s_cbranch_execz .LBB2_2097
; %bb.2092:                             ;   in Loop: Header=BB2_1978 Depth=2
	v_bfe_u32 v11, v10, 23, 8
	v_and_b32_e32 v98, 0x7fffff, v10
	v_sub_nc_u32_e32 v99, 0x78, v11
	v_cmp_gt_u32_e32 vcc_lo, 0x79, v11
	v_or_b32_e32 v101, 0x800000, v98
	v_cndmask_b32_e32 v99, 0, v99, vcc_lo
	v_cmp_eq_u32_e32 vcc_lo, 0, v11
	v_add_nc_u32_e32 v11, 0xffffff89, v11
	v_cndmask_b32_e64 v99, v99, 0x77, vcc_lo
	v_cndmask_b32_e32 v98, v101, v98, vcc_lo
	v_cndmask_b32_e64 v11, v11, 0xffffff8a, vcc_lo
	v_lshl_add_u32 v101, 0x100000, v99, -1
	v_lshrrev_b32_e32 v102, v99, v98
	v_lshlrev_b32_e64 v112, v99, 0x80000
	v_add_nc_u32_e32 v99, v99, v11
	v_and_b32_e32 v98, v101, v98
	v_bfe_u32 v103, v102, 20, 1
	v_cmp_eq_u32_e64 s13, v98, v112
	v_add_nc_u32_e32 v101, -1, v103
	v_cndmask_b32_e64 v98, 0, v101, s13
	v_lshrrev_b32_e32 v101, 23, v102
	s_mov_b32 s13, exec_lo
	v_add_nc_u32_e32 v98, v98, v102
	v_xor_b32_e32 v101, 1, v101
	v_and_b32_e32 v11, 0xfffff, v98
	v_add_nc_u32_e32 v98, v11, v102
                                        ; implicit-def: $vgpr11
	v_cmpx_ne_u32_e64 v99, v101
	s_xor_b32 s13, exec_lo, s13
; %bb.2093:                             ;   in Loop: Header=BB2_1978 Depth=2
	v_cmp_lt_u32_e32 vcc_lo, 0xffffff, v98
	v_sub_nc_u32_e32 v11, v99, v101
	v_cndmask_b32_e64 v99, 0, 1, vcc_lo
	v_add_co_ci_u32_e64 v11, null, 0, v11, vcc_lo
	v_lshrrev_b32_e32 v98, v99, v98
; %bb.2094:                             ;   in Loop: Header=BB2_1978 Depth=2
	s_andn2_saveexec_b32 s13, s13
; %bb.2095:                             ;   in Loop: Header=BB2_1978 Depth=2
	v_bfe_u32 v11, v98, 23, 1
; %bb.2096:                             ;   in Loop: Header=BB2_1978 Depth=2
	s_or_b32 exec_lo, exec_lo, s13
	v_lshrrev_b32_e32 v98, 20, v98
	v_min_i32_e32 v99, 15, v11
	v_cmp_gt_i32_e32 vcc_lo, 16, v11
	v_and_b32_sdwa v10, v10, v80 dst_sel:DWORD dst_unused:UNUSED_PAD src0_sel:BYTE_3 src1_sel:DWORD
	v_lshlrev_b32_e32 v99, 3, v99
	v_cndmask_b32_e32 v98, 7, v98, vcc_lo
	v_and_b32_e32 v99, 0xf8, v99
	v_and_b32_e32 v101, 7, v98
	v_or_b32_e32 v11, v11, v98
	v_or3_b32 v10, v10, v99, v101
	v_cmp_ne_u32_e32 vcc_lo, 0, v11
	v_lshlrev_b32_e32 v10, 8, v10
	v_cndmask_b32_e32 v118, 0, v10, vcc_lo
.LBB2_2097:                             ;   in Loop: Header=BB2_1978 Depth=2
	s_or_b32 exec_lo, exec_lo, s42
.LBB2_2098:                             ;   in Loop: Header=BB2_1978 Depth=2
	s_or_b32 exec_lo, exec_lo, s41
	v_cmp_gt_i16_sdwa s41, v12, v71 src0_sel:BYTE_0 src1_sel:DWORD
	s_mov_b32 s13, 0
	s_and_saveexec_b32 s42, s41
	s_xor_b32 s41, exec_lo, s42
	s_cbranch_execz .LBB2_2544
; %bb.2099:                             ;   in Loop: Header=BB2_1978 Depth=2
	v_cmp_eq_u16_sdwa s43, v12, v80 src0_sel:BYTE_0 src1_sel:DWORD
	s_mov_b32 s13, -1
	s_and_saveexec_b32 s42, s43
; %bb.2100:                             ;   in Loop: Header=BB2_1978 Depth=2
	s_xor_b32 s13, exec_lo, -1
; %bb.2101:                             ;   in Loop: Header=BB2_1978 Depth=2
	s_or_b32 exec_lo, exec_lo, s42
	s_and_b32 s13, s13, exec_lo
	s_or_saveexec_b32 s41, s41
	v_mov_b32_e32 v10, 0x7f800001
	s_xor_b32 exec_lo, exec_lo, s41
	s_cbranch_execnz .LBB2_2545
.LBB2_2102:                             ;   in Loop: Header=BB2_1978 Depth=2
	s_or_b32 exec_lo, exec_lo, s41
	s_and_saveexec_b32 s41, s13
	s_cbranch_execz .LBB2_2104
.LBB2_2103:                             ;   in Loop: Header=BB2_1978 Depth=2
	v_and_b32_e32 v10, 7, v12
	v_bfe_u32 v99, v12, 3, 4
	v_lshlrev_b32_e32 v101, 24, v12
	v_ffbh_u32_e32 v11, v10
	v_cmp_eq_u32_e32 vcc_lo, 0, v99
	v_min_u32_e32 v11, 32, v11
	v_subrev_nc_u32_e32 v98, 28, v11
	v_sub_nc_u32_e32 v11, 29, v11
	v_lshlrev_b32_e32 v98, v98, v12
	v_cndmask_b32_e32 v11, v99, v11, vcc_lo
	v_and_b32_e32 v98, 7, v98
	v_lshl_add_u32 v11, v11, 23, 0x3b800000
	v_cndmask_b32_e32 v10, v10, v98, vcc_lo
	v_and_b32_e32 v98, 0x80000000, v101
	v_lshlrev_b32_e32 v10, 20, v10
	v_or3_b32 v10, v98, v11, v10
.LBB2_2104:                             ;   in Loop: Header=BB2_1978 Depth=2
	s_or_b32 exec_lo, exec_lo, s41
	v_mul_f32_e32 v10, s40, v10
	v_mov_b32_e32 v112, 0x80
	s_mov_b32 s41, exec_lo
	v_and_b32_e32 v11, 0x7f800000, v10
	v_cmpx_ne_u32_e32 0x7f800000, v11
	s_cbranch_execz .LBB2_2112
; %bb.2105:                             ;   in Loop: Header=BB2_1978 Depth=2
	v_mov_b32_e32 v112, 0
	s_mov_b32 s42, exec_lo
	v_cmpx_ne_u32_e32 0, v10
	s_cbranch_execz .LBB2_2111
; %bb.2106:                             ;   in Loop: Header=BB2_1978 Depth=2
	v_bfe_u32 v11, v10, 23, 8
	v_and_b32_e32 v98, 0x7fffff, v10
	v_sub_nc_u32_e32 v99, 0x78, v11
	v_cmp_gt_u32_e32 vcc_lo, 0x79, v11
	v_or_b32_e32 v101, 0x800000, v98
	v_cndmask_b32_e32 v99, 0, v99, vcc_lo
	v_cmp_eq_u32_e32 vcc_lo, 0, v11
	v_add_nc_u32_e32 v11, 0xffffff89, v11
	v_cndmask_b32_e64 v99, v99, 0x77, vcc_lo
	v_cndmask_b32_e32 v98, v101, v98, vcc_lo
	v_cndmask_b32_e64 v11, v11, 0xffffff8a, vcc_lo
	v_lshl_add_u32 v101, 0x100000, v99, -1
	v_lshrrev_b32_e32 v102, v99, v98
	v_lshlrev_b32_e64 v112, v99, 0x80000
	v_add_nc_u32_e32 v99, v99, v11
	v_and_b32_e32 v98, v101, v98
	v_bfe_u32 v103, v102, 20, 1
	v_cmp_eq_u32_e64 s13, v98, v112
	v_add_nc_u32_e32 v101, -1, v103
	v_cndmask_b32_e64 v98, 0, v101, s13
	v_lshrrev_b32_e32 v101, 23, v102
	s_mov_b32 s13, exec_lo
	v_add_nc_u32_e32 v98, v98, v102
	v_xor_b32_e32 v101, 1, v101
	v_and_b32_e32 v11, 0xfffff, v98
	v_add_nc_u32_e32 v98, v11, v102
                                        ; implicit-def: $vgpr11
	v_cmpx_ne_u32_e64 v99, v101
	s_xor_b32 s13, exec_lo, s13
; %bb.2107:                             ;   in Loop: Header=BB2_1978 Depth=2
	v_cmp_lt_u32_e32 vcc_lo, 0xffffff, v98
	v_sub_nc_u32_e32 v11, v99, v101
	v_cndmask_b32_e64 v99, 0, 1, vcc_lo
	v_add_co_ci_u32_e64 v11, null, 0, v11, vcc_lo
	v_lshrrev_b32_e32 v98, v99, v98
; %bb.2108:                             ;   in Loop: Header=BB2_1978 Depth=2
	s_andn2_saveexec_b32 s13, s13
; %bb.2109:                             ;   in Loop: Header=BB2_1978 Depth=2
	v_bfe_u32 v11, v98, 23, 1
; %bb.2110:                             ;   in Loop: Header=BB2_1978 Depth=2
	s_or_b32 exec_lo, exec_lo, s13
	v_lshrrev_b32_e32 v98, 20, v98
	v_min_i32_e32 v99, 15, v11
	v_cmp_gt_i32_e32 vcc_lo, 16, v11
	v_and_b32_sdwa v10, v10, v80 dst_sel:DWORD dst_unused:UNUSED_PAD src0_sel:BYTE_3 src1_sel:DWORD
	v_lshlrev_b32_e32 v99, 3, v99
	v_cndmask_b32_e32 v98, 7, v98, vcc_lo
	v_and_b32_e32 v99, 0xf8, v99
	v_and_b32_e32 v101, 7, v98
	v_or_b32_e32 v11, v11, v98
	v_or3_b32 v10, v99, v10, v101
	v_cmp_ne_u32_e32 vcc_lo, 0, v11
	v_cndmask_b32_e32 v112, 0, v10, vcc_lo
.LBB2_2111:                             ;   in Loop: Header=BB2_1978 Depth=2
	s_or_b32 exec_lo, exec_lo, s42
.LBB2_2112:                             ;   in Loop: Header=BB2_1978 Depth=2
	s_or_b32 exec_lo, exec_lo, s41
	v_cmp_gt_i16_sdwa s41, v12, v71 src0_sel:BYTE_1 src1_sel:DWORD
	s_mov_b32 s13, 0
	s_and_saveexec_b32 s42, s41
	s_xor_b32 s41, exec_lo, s42
	s_cbranch_execz .LBB2_2546
; %bb.2113:                             ;   in Loop: Header=BB2_1978 Depth=2
	v_cmp_eq_u16_sdwa s43, v12, v80 src0_sel:BYTE_1 src1_sel:DWORD
	s_mov_b32 s13, -1
	s_and_saveexec_b32 s42, s43
; %bb.2114:                             ;   in Loop: Header=BB2_1978 Depth=2
	s_xor_b32 s13, exec_lo, -1
; %bb.2115:                             ;   in Loop: Header=BB2_1978 Depth=2
	s_or_b32 exec_lo, exec_lo, s42
	s_and_b32 s13, s13, exec_lo
	s_or_saveexec_b32 s41, s41
	v_mov_b32_e32 v10, 0x7f800001
	s_xor_b32 exec_lo, exec_lo, s41
	s_cbranch_execnz .LBB2_2547
.LBB2_2116:                             ;   in Loop: Header=BB2_1978 Depth=2
	s_or_b32 exec_lo, exec_lo, s41
	s_and_saveexec_b32 s41, s13
	s_cbranch_execz .LBB2_2118
.LBB2_2117:                             ;   in Loop: Header=BB2_1978 Depth=2
	v_and_b32_sdwa v10, v81, v12 dst_sel:DWORD dst_unused:UNUSED_PAD src0_sel:DWORD src1_sel:BYTE_1
	v_and_b32_e32 v11, 7, v10
	v_bfe_u32 v101, v10, 3, 4
	v_ffbh_u32_e32 v98, v11
	v_cmp_eq_u32_e32 vcc_lo, 0, v101
	v_min_u32_e32 v98, 32, v98
	v_subrev_nc_u32_e32 v99, 28, v98
	v_sub_nc_u32_e32 v98, 29, v98
	v_lshlrev_b32_e32 v10, v99, v10
	v_lshlrev_b32_sdwa v99, v82, v12 dst_sel:DWORD dst_unused:UNUSED_PAD src0_sel:DWORD src1_sel:BYTE_1
	v_cndmask_b32_e32 v98, v101, v98, vcc_lo
	v_and_b32_e32 v10, 7, v10
	v_lshl_add_u32 v98, v98, 23, 0x3b800000
	v_cndmask_b32_e32 v10, v11, v10, vcc_lo
	v_and_b32_e32 v11, 0x80000000, v99
	v_lshlrev_b32_e32 v10, 20, v10
	v_or3_b32 v10, v11, v98, v10
.LBB2_2118:                             ;   in Loop: Header=BB2_1978 Depth=2
	s_or_b32 exec_lo, exec_lo, s41
	v_mul_f32_e32 v10, s40, v10
	v_mov_b32_e32 v116, 0x8000
	s_mov_b32 s41, exec_lo
	v_and_b32_e32 v11, 0x7f800000, v10
	v_cmpx_ne_u32_e32 0x7f800000, v11
	s_cbranch_execz .LBB2_2126
; %bb.2119:                             ;   in Loop: Header=BB2_1978 Depth=2
	v_mov_b32_e32 v116, 0
	s_mov_b32 s42, exec_lo
	v_cmpx_ne_u32_e32 0, v10
	s_cbranch_execz .LBB2_2125
; %bb.2120:                             ;   in Loop: Header=BB2_1978 Depth=2
	v_bfe_u32 v11, v10, 23, 8
	v_and_b32_e32 v98, 0x7fffff, v10
	v_sub_nc_u32_e32 v99, 0x78, v11
	v_cmp_gt_u32_e32 vcc_lo, 0x79, v11
	v_or_b32_e32 v101, 0x800000, v98
	v_cndmask_b32_e32 v99, 0, v99, vcc_lo
	v_cmp_eq_u32_e32 vcc_lo, 0, v11
	v_add_nc_u32_e32 v11, 0xffffff89, v11
	v_cndmask_b32_e64 v99, v99, 0x77, vcc_lo
	v_cndmask_b32_e32 v98, v101, v98, vcc_lo
	v_cndmask_b32_e64 v11, v11, 0xffffff8a, vcc_lo
	v_lshl_add_u32 v101, 0x100000, v99, -1
	v_lshrrev_b32_e32 v102, v99, v98
	v_lshlrev_b32_e64 v114, v99, 0x80000
	v_add_nc_u32_e32 v99, v99, v11
	v_and_b32_e32 v98, v101, v98
	v_bfe_u32 v103, v102, 20, 1
	v_cmp_eq_u32_e64 s13, v98, v114
	v_add_nc_u32_e32 v101, -1, v103
	v_cndmask_b32_e64 v98, 0, v101, s13
	v_lshrrev_b32_e32 v101, 23, v102
	s_mov_b32 s13, exec_lo
	v_add_nc_u32_e32 v98, v98, v102
	v_xor_b32_e32 v101, 1, v101
	v_and_b32_e32 v11, 0xfffff, v98
	v_add_nc_u32_e32 v98, v11, v102
                                        ; implicit-def: $vgpr11
	v_cmpx_ne_u32_e64 v99, v101
	s_xor_b32 s13, exec_lo, s13
; %bb.2121:                             ;   in Loop: Header=BB2_1978 Depth=2
	v_cmp_lt_u32_e32 vcc_lo, 0xffffff, v98
	v_sub_nc_u32_e32 v11, v99, v101
	v_cndmask_b32_e64 v99, 0, 1, vcc_lo
	v_add_co_ci_u32_e64 v11, null, 0, v11, vcc_lo
	v_lshrrev_b32_e32 v98, v99, v98
; %bb.2122:                             ;   in Loop: Header=BB2_1978 Depth=2
	s_andn2_saveexec_b32 s13, s13
; %bb.2123:                             ;   in Loop: Header=BB2_1978 Depth=2
	v_bfe_u32 v11, v98, 23, 1
; %bb.2124:                             ;   in Loop: Header=BB2_1978 Depth=2
	s_or_b32 exec_lo, exec_lo, s13
	v_lshrrev_b32_e32 v98, 20, v98
	v_min_i32_e32 v99, 15, v11
	v_cmp_gt_i32_e32 vcc_lo, 16, v11
	v_and_b32_sdwa v10, v10, v80 dst_sel:DWORD dst_unused:UNUSED_PAD src0_sel:BYTE_3 src1_sel:DWORD
	v_lshlrev_b32_e32 v99, 3, v99
	v_cndmask_b32_e32 v98, 7, v98, vcc_lo
	v_and_b32_e32 v99, 0xf8, v99
	v_and_b32_e32 v101, 7, v98
	v_or_b32_e32 v11, v11, v98
	v_or3_b32 v10, v10, v99, v101
	v_cmp_ne_u32_e32 vcc_lo, 0, v11
	v_lshlrev_b32_e32 v10, 8, v10
	v_cndmask_b32_e32 v116, 0, v10, vcc_lo
.LBB2_2125:                             ;   in Loop: Header=BB2_1978 Depth=2
	s_or_b32 exec_lo, exec_lo, s42
.LBB2_2126:                             ;   in Loop: Header=BB2_1978 Depth=2
	s_or_b32 exec_lo, exec_lo, s41
	v_and_b32_sdwa v11, v12, v83 dst_sel:DWORD dst_unused:UNUSED_PAD src0_sel:WORD_1 src1_sel:DWORD
	s_mov_b32 s13, 0
	s_mov_b32 s41, exec_lo
	v_cmpx_lt_i16_e32 0x7f, v11
	s_xor_b32 s41, exec_lo, s41
	s_cbranch_execz .LBB2_2548
; %bb.2127:                             ;   in Loop: Header=BB2_1978 Depth=2
	s_mov_b32 s13, -1
	s_mov_b32 s42, exec_lo
	v_cmpx_eq_u16_e32 0x80, v11
; %bb.2128:                             ;   in Loop: Header=BB2_1978 Depth=2
	s_xor_b32 s13, exec_lo, -1
; %bb.2129:                             ;   in Loop: Header=BB2_1978 Depth=2
	s_or_b32 exec_lo, exec_lo, s42
	s_and_b32 s13, s13, exec_lo
                                        ; implicit-def: $vgpr11
	s_or_saveexec_b32 s41, s41
	v_mov_b32_e32 v10, 0x7f800001
	s_xor_b32 exec_lo, exec_lo, s41
	s_cbranch_execnz .LBB2_2549
.LBB2_2130:                             ;   in Loop: Header=BB2_1978 Depth=2
	s_or_b32 exec_lo, exec_lo, s41
	s_and_saveexec_b32 s41, s13
	s_cbranch_execz .LBB2_2132
.LBB2_2131:                             ;   in Loop: Header=BB2_1978 Depth=2
	v_bfe_u32 v10, v12, 16, 3
	v_bfe_u32 v99, v12, 19, 4
	v_lshlrev_b32_e32 v101, 8, v12
	v_ffbh_u32_e32 v11, v10
	v_cmp_eq_u32_e32 vcc_lo, 0, v99
	v_min_u32_e32 v11, 32, v11
	v_subrev_nc_u32_e32 v98, 28, v11
	v_sub_nc_u32_e32 v11, 29, v11
	v_lshlrev_b32_sdwa v98, v98, v12 dst_sel:DWORD dst_unused:UNUSED_PAD src0_sel:DWORD src1_sel:WORD_1
	v_cndmask_b32_e32 v11, v99, v11, vcc_lo
	v_and_b32_e32 v98, 7, v98
	v_lshl_add_u32 v11, v11, 23, 0x3b800000
	v_cndmask_b32_e32 v10, v10, v98, vcc_lo
	v_and_b32_e32 v98, 0x80000000, v101
	v_lshlrev_b32_e32 v10, 20, v10
	v_or3_b32 v10, v98, v11, v10
.LBB2_2132:                             ;   in Loop: Header=BB2_1978 Depth=2
	s_or_b32 exec_lo, exec_lo, s41
	v_mul_f32_e32 v10, s40, v10
	v_mov_b32_e32 v102, 0x80
	s_mov_b32 s41, exec_lo
	v_and_b32_e32 v11, 0x7f800000, v10
	v_cmpx_ne_u32_e32 0x7f800000, v11
	s_cbranch_execz .LBB2_2140
; %bb.2133:                             ;   in Loop: Header=BB2_1978 Depth=2
	v_mov_b32_e32 v102, 0
	s_mov_b32 s42, exec_lo
	v_cmpx_ne_u32_e32 0, v10
	s_cbranch_execz .LBB2_2139
; %bb.2134:                             ;   in Loop: Header=BB2_1978 Depth=2
	v_bfe_u32 v11, v10, 23, 8
	v_and_b32_e32 v98, 0x7fffff, v10
	v_sub_nc_u32_e32 v99, 0x78, v11
	v_cmp_gt_u32_e32 vcc_lo, 0x79, v11
	v_or_b32_e32 v101, 0x800000, v98
	v_cndmask_b32_e32 v99, 0, v99, vcc_lo
	v_cmp_eq_u32_e32 vcc_lo, 0, v11
	v_add_nc_u32_e32 v11, 0xffffff89, v11
	v_cndmask_b32_e64 v99, v99, 0x77, vcc_lo
	v_cndmask_b32_e32 v98, v101, v98, vcc_lo
	v_cndmask_b32_e64 v11, v11, 0xffffff8a, vcc_lo
	v_lshl_add_u32 v101, 0x100000, v99, -1
	v_lshrrev_b32_e32 v102, v99, v98
	v_lshlrev_b32_e64 v114, v99, 0x80000
	v_add_nc_u32_e32 v99, v99, v11
	v_and_b32_e32 v98, v101, v98
	v_bfe_u32 v103, v102, 20, 1
	v_cmp_eq_u32_e64 s13, v98, v114
	v_add_nc_u32_e32 v101, -1, v103
	v_cndmask_b32_e64 v98, 0, v101, s13
	v_lshrrev_b32_e32 v101, 23, v102
	s_mov_b32 s13, exec_lo
	v_add_nc_u32_e32 v98, v98, v102
	v_xor_b32_e32 v101, 1, v101
	v_and_b32_e32 v11, 0xfffff, v98
	v_add_nc_u32_e32 v98, v11, v102
                                        ; implicit-def: $vgpr11
	v_cmpx_ne_u32_e64 v99, v101
	s_xor_b32 s13, exec_lo, s13
; %bb.2135:                             ;   in Loop: Header=BB2_1978 Depth=2
	v_cmp_lt_u32_e32 vcc_lo, 0xffffff, v98
	v_sub_nc_u32_e32 v11, v99, v101
	v_cndmask_b32_e64 v99, 0, 1, vcc_lo
	v_add_co_ci_u32_e64 v11, null, 0, v11, vcc_lo
	v_lshrrev_b32_e32 v98, v99, v98
; %bb.2136:                             ;   in Loop: Header=BB2_1978 Depth=2
	s_andn2_saveexec_b32 s13, s13
; %bb.2137:                             ;   in Loop: Header=BB2_1978 Depth=2
	v_bfe_u32 v11, v98, 23, 1
; %bb.2138:                             ;   in Loop: Header=BB2_1978 Depth=2
	s_or_b32 exec_lo, exec_lo, s13
	v_lshrrev_b32_e32 v98, 20, v98
	v_min_i32_e32 v99, 15, v11
	v_cmp_gt_i32_e32 vcc_lo, 16, v11
	v_and_b32_sdwa v10, v10, v80 dst_sel:DWORD dst_unused:UNUSED_PAD src0_sel:BYTE_3 src1_sel:DWORD
	v_lshlrev_b32_e32 v99, 3, v99
	v_cndmask_b32_e32 v98, 7, v98, vcc_lo
	v_and_b32_e32 v99, 0xf8, v99
	v_and_b32_e32 v101, 7, v98
	v_or_b32_e32 v11, v11, v98
	v_or3_b32 v10, v99, v10, v101
	v_cmp_ne_u32_e32 vcc_lo, 0, v11
	v_cndmask_b32_e32 v102, 0, v10, vcc_lo
.LBB2_2139:                             ;   in Loop: Header=BB2_1978 Depth=2
	s_or_b32 exec_lo, exec_lo, s42
.LBB2_2140:                             ;   in Loop: Header=BB2_1978 Depth=2
	s_or_b32 exec_lo, exec_lo, s41
	v_cmp_gt_i16_sdwa s41, v12, v71 src0_sel:BYTE_3 src1_sel:DWORD
	s_mov_b32 s13, 0
	s_and_saveexec_b32 s42, s41
	s_xor_b32 s41, exec_lo, s42
	s_cbranch_execz .LBB2_2550
; %bb.2141:                             ;   in Loop: Header=BB2_1978 Depth=2
	v_cmp_eq_u16_sdwa s43, v12, v80 src0_sel:BYTE_3 src1_sel:DWORD
	s_mov_b32 s13, -1
	s_and_saveexec_b32 s42, s43
; %bb.2142:                             ;   in Loop: Header=BB2_1978 Depth=2
	s_xor_b32 s13, exec_lo, -1
; %bb.2143:                             ;   in Loop: Header=BB2_1978 Depth=2
	s_or_b32 exec_lo, exec_lo, s42
	s_and_b32 s13, s13, exec_lo
	s_or_saveexec_b32 s41, s41
	v_mov_b32_e32 v10, 0x7f800001
	s_xor_b32 exec_lo, exec_lo, s41
	s_cbranch_execnz .LBB2_2551
.LBB2_2144:                             ;   in Loop: Header=BB2_1978 Depth=2
	s_or_b32 exec_lo, exec_lo, s41
	s_and_saveexec_b32 s41, s13
	s_cbranch_execz .LBB2_2146
.LBB2_2145:                             ;   in Loop: Header=BB2_1978 Depth=2
	v_bfe_u32 v10, v12, 24, 3
	v_bfe_u32 v99, v12, 27, 4
	v_ffbh_u32_e32 v11, v10
	v_cmp_eq_u32_e32 vcc_lo, 0, v99
	v_min_u32_e32 v11, 32, v11
	v_subrev_nc_u32_e32 v98, 28, v11
	v_sub_nc_u32_e32 v11, 29, v11
	v_lshlrev_b32_sdwa v98, v98, v12 dst_sel:DWORD dst_unused:UNUSED_PAD src0_sel:DWORD src1_sel:BYTE_3
	v_cndmask_b32_e32 v11, v99, v11, vcc_lo
	v_and_b32_e32 v12, 0x80000000, v12
	v_and_b32_e32 v98, 7, v98
	v_lshl_add_u32 v11, v11, 23, 0x3b800000
	v_cndmask_b32_e32 v10, v10, v98, vcc_lo
	v_lshlrev_b32_e32 v10, 20, v10
	v_or3_b32 v10, v12, v11, v10
.LBB2_2146:                             ;   in Loop: Header=BB2_1978 Depth=2
	s_or_b32 exec_lo, exec_lo, s41
	v_mul_f32_e32 v10, s40, v10
	v_mov_b32_e32 v114, 0x8000
	s_mov_b32 s41, exec_lo
	v_and_b32_e32 v11, 0x7f800000, v10
	v_cmpx_ne_u32_e32 0x7f800000, v11
	s_cbranch_execz .LBB2_2154
; %bb.2147:                             ;   in Loop: Header=BB2_1978 Depth=2
	v_mov_b32_e32 v114, 0
	s_mov_b32 s42, exec_lo
	v_cmpx_ne_u32_e32 0, v10
	s_cbranch_execz .LBB2_2153
; %bb.2148:                             ;   in Loop: Header=BB2_1978 Depth=2
	v_bfe_u32 v11, v10, 23, 8
	v_and_b32_e32 v12, 0x7fffff, v10
	v_sub_nc_u32_e32 v98, 0x78, v11
	v_cmp_gt_u32_e32 vcc_lo, 0x79, v11
	v_or_b32_e32 v99, 0x800000, v12
	v_cndmask_b32_e32 v98, 0, v98, vcc_lo
	v_cmp_eq_u32_e32 vcc_lo, 0, v11
	v_add_nc_u32_e32 v11, 0xffffff89, v11
	v_cndmask_b32_e64 v98, v98, 0x77, vcc_lo
	v_cndmask_b32_e32 v12, v99, v12, vcc_lo
	v_cndmask_b32_e64 v11, v11, 0xffffff8a, vcc_lo
	v_lshl_add_u32 v99, 0x100000, v98, -1
	v_lshrrev_b32_e32 v101, v98, v12
	v_lshlrev_b32_e64 v114, v98, 0x80000
	v_add_nc_u32_e32 v98, v98, v11
	v_and_b32_e32 v12, v99, v12
	v_bfe_u32 v103, v101, 20, 1
	v_cmp_eq_u32_e64 s13, v12, v114
	v_add_nc_u32_e32 v99, -1, v103
	v_cndmask_b32_e64 v12, 0, v99, s13
	v_lshrrev_b32_e32 v99, 23, v101
	s_mov_b32 s13, exec_lo
	v_add_nc_u32_e32 v12, v12, v101
	v_xor_b32_e32 v99, 1, v99
	v_and_b32_e32 v11, 0xfffff, v12
	v_add_nc_u32_e32 v12, v11, v101
                                        ; implicit-def: $vgpr11
	v_cmpx_ne_u32_e64 v98, v99
	s_xor_b32 s13, exec_lo, s13
; %bb.2149:                             ;   in Loop: Header=BB2_1978 Depth=2
	v_cmp_lt_u32_e32 vcc_lo, 0xffffff, v12
	v_sub_nc_u32_e32 v11, v98, v99
	v_cndmask_b32_e64 v98, 0, 1, vcc_lo
	v_add_co_ci_u32_e64 v11, null, 0, v11, vcc_lo
	v_lshrrev_b32_e32 v12, v98, v12
; %bb.2150:                             ;   in Loop: Header=BB2_1978 Depth=2
	s_andn2_saveexec_b32 s13, s13
; %bb.2151:                             ;   in Loop: Header=BB2_1978 Depth=2
	v_bfe_u32 v11, v12, 23, 1
; %bb.2152:                             ;   in Loop: Header=BB2_1978 Depth=2
	s_or_b32 exec_lo, exec_lo, s13
	v_lshrrev_b32_e32 v12, 20, v12
	v_min_i32_e32 v98, 15, v11
	v_cmp_gt_i32_e32 vcc_lo, 16, v11
	v_and_b32_sdwa v10, v10, v80 dst_sel:DWORD dst_unused:UNUSED_PAD src0_sel:BYTE_3 src1_sel:DWORD
	v_lshlrev_b32_e32 v98, 3, v98
	v_cndmask_b32_e32 v12, 7, v12, vcc_lo
	v_and_b32_e32 v98, 0xf8, v98
	v_and_b32_e32 v99, 7, v12
	v_or_b32_e32 v11, v11, v12
	v_or3_b32 v10, v10, v98, v99
	v_cmp_ne_u32_e32 vcc_lo, 0, v11
	v_lshlrev_b32_e32 v10, 8, v10
	v_cndmask_b32_e32 v114, 0, v10, vcc_lo
.LBB2_2153:                             ;   in Loop: Header=BB2_1978 Depth=2
	s_or_b32 exec_lo, exec_lo, s42
.LBB2_2154:                             ;   in Loop: Header=BB2_1978 Depth=2
	s_or_b32 exec_lo, exec_lo, s41
	v_cmp_gt_i16_sdwa s41, v13, v71 src0_sel:BYTE_0 src1_sel:DWORD
	s_mov_b32 s13, 0
	s_and_saveexec_b32 s42, s41
	s_xor_b32 s41, exec_lo, s42
	s_cbranch_execz .LBB2_2552
; %bb.2155:                             ;   in Loop: Header=BB2_1978 Depth=2
	v_cmp_eq_u16_sdwa s43, v13, v80 src0_sel:BYTE_0 src1_sel:DWORD
	s_mov_b32 s13, -1
	s_and_saveexec_b32 s42, s43
; %bb.2156:                             ;   in Loop: Header=BB2_1978 Depth=2
	s_xor_b32 s13, exec_lo, -1
; %bb.2157:                             ;   in Loop: Header=BB2_1978 Depth=2
	s_or_b32 exec_lo, exec_lo, s42
	s_and_b32 s13, s13, exec_lo
	s_or_saveexec_b32 s41, s41
	v_mov_b32_e32 v10, 0x7f800001
	s_xor_b32 exec_lo, exec_lo, s41
	s_cbranch_execnz .LBB2_2553
.LBB2_2158:                             ;   in Loop: Header=BB2_1978 Depth=2
	s_or_b32 exec_lo, exec_lo, s41
	s_and_saveexec_b32 s41, s13
	s_cbranch_execz .LBB2_2160
.LBB2_2159:                             ;   in Loop: Header=BB2_1978 Depth=2
	v_and_b32_e32 v10, 7, v13
	v_bfe_u32 v98, v13, 3, 4
	v_lshlrev_b32_e32 v99, 24, v13
	v_ffbh_u32_e32 v11, v10
	v_cmp_eq_u32_e32 vcc_lo, 0, v98
	v_min_u32_e32 v11, 32, v11
	v_subrev_nc_u32_e32 v12, 28, v11
	v_sub_nc_u32_e32 v11, 29, v11
	v_lshlrev_b32_e32 v12, v12, v13
	v_cndmask_b32_e32 v11, v98, v11, vcc_lo
	v_and_b32_e32 v12, 7, v12
	v_lshl_add_u32 v11, v11, 23, 0x3b800000
	v_cndmask_b32_e32 v10, v10, v12, vcc_lo
	v_and_b32_e32 v12, 0x80000000, v99
	v_lshlrev_b32_e32 v10, 20, v10
	v_or3_b32 v10, v12, v11, v10
.LBB2_2160:                             ;   in Loop: Header=BB2_1978 Depth=2
	s_or_b32 exec_lo, exec_lo, s41
	v_mul_f32_e32 v10, s40, v10
	v_mov_b32_e32 v99, 0x80
	s_mov_b32 s41, exec_lo
	v_and_b32_e32 v11, 0x7f800000, v10
	v_cmpx_ne_u32_e32 0x7f800000, v11
	s_cbranch_execz .LBB2_2168
; %bb.2161:                             ;   in Loop: Header=BB2_1978 Depth=2
	v_mov_b32_e32 v99, 0
	s_mov_b32 s42, exec_lo
	v_cmpx_ne_u32_e32 0, v10
	s_cbranch_execz .LBB2_2167
; %bb.2162:                             ;   in Loop: Header=BB2_1978 Depth=2
	v_bfe_u32 v11, v10, 23, 8
	v_and_b32_e32 v12, 0x7fffff, v10
	v_sub_nc_u32_e32 v98, 0x78, v11
	v_cmp_gt_u32_e32 vcc_lo, 0x79, v11
	v_or_b32_e32 v99, 0x800000, v12
	v_cndmask_b32_e32 v98, 0, v98, vcc_lo
	v_cmp_eq_u32_e32 vcc_lo, 0, v11
	v_add_nc_u32_e32 v11, 0xffffff89, v11
	v_cndmask_b32_e64 v98, v98, 0x77, vcc_lo
	v_cndmask_b32_e32 v12, v99, v12, vcc_lo
	v_cndmask_b32_e64 v11, v11, 0xffffff8a, vcc_lo
	v_lshl_add_u32 v99, 0x100000, v98, -1
	v_lshrrev_b32_e32 v101, v98, v12
	v_lshlrev_b32_e64 v41, v98, 0x80000
	v_add_nc_u32_e32 v98, v98, v11
	v_and_b32_e32 v12, v99, v12
	v_bfe_u32 v103, v101, 20, 1
	v_cmp_eq_u32_e64 s13, v12, v41
	v_add_nc_u32_e32 v99, -1, v103
	v_cndmask_b32_e64 v12, 0, v99, s13
	v_lshrrev_b32_e32 v99, 23, v101
	s_mov_b32 s13, exec_lo
	v_add_nc_u32_e32 v12, v12, v101
	v_xor_b32_e32 v99, 1, v99
	v_and_b32_e32 v11, 0xfffff, v12
	v_add_nc_u32_e32 v12, v11, v101
                                        ; implicit-def: $vgpr11
	v_cmpx_ne_u32_e64 v98, v99
	s_xor_b32 s13, exec_lo, s13
; %bb.2163:                             ;   in Loop: Header=BB2_1978 Depth=2
	v_cmp_lt_u32_e32 vcc_lo, 0xffffff, v12
	v_sub_nc_u32_e32 v11, v98, v99
	v_cndmask_b32_e64 v98, 0, 1, vcc_lo
	v_add_co_ci_u32_e64 v11, null, 0, v11, vcc_lo
	v_lshrrev_b32_e32 v12, v98, v12
; %bb.2164:                             ;   in Loop: Header=BB2_1978 Depth=2
	s_andn2_saveexec_b32 s13, s13
; %bb.2165:                             ;   in Loop: Header=BB2_1978 Depth=2
	v_bfe_u32 v11, v12, 23, 1
; %bb.2166:                             ;   in Loop: Header=BB2_1978 Depth=2
	s_or_b32 exec_lo, exec_lo, s13
	v_lshrrev_b32_e32 v12, 20, v12
	v_min_i32_e32 v98, 15, v11
	v_cmp_gt_i32_e32 vcc_lo, 16, v11
	v_and_b32_sdwa v10, v10, v80 dst_sel:DWORD dst_unused:UNUSED_PAD src0_sel:BYTE_3 src1_sel:DWORD
	v_lshlrev_b32_e32 v98, 3, v98
	v_cndmask_b32_e32 v12, 7, v12, vcc_lo
	v_and_b32_e32 v98, 0xf8, v98
	v_and_b32_e32 v99, 7, v12
	v_or_b32_e32 v11, v11, v12
	v_or3_b32 v10, v98, v10, v99
	v_cmp_ne_u32_e32 vcc_lo, 0, v11
	v_cndmask_b32_e32 v99, 0, v10, vcc_lo
.LBB2_2167:                             ;   in Loop: Header=BB2_1978 Depth=2
	s_or_b32 exec_lo, exec_lo, s42
.LBB2_2168:                             ;   in Loop: Header=BB2_1978 Depth=2
	s_or_b32 exec_lo, exec_lo, s41
	v_cmp_gt_i16_sdwa s41, v13, v71 src0_sel:BYTE_1 src1_sel:DWORD
	s_mov_b32 s13, 0
	s_and_saveexec_b32 s42, s41
	s_xor_b32 s41, exec_lo, s42
	s_cbranch_execz .LBB2_2554
; %bb.2169:                             ;   in Loop: Header=BB2_1978 Depth=2
	v_cmp_eq_u16_sdwa s43, v13, v80 src0_sel:BYTE_1 src1_sel:DWORD
	s_mov_b32 s13, -1
	s_and_saveexec_b32 s42, s43
; %bb.2170:                             ;   in Loop: Header=BB2_1978 Depth=2
	s_xor_b32 s13, exec_lo, -1
; %bb.2171:                             ;   in Loop: Header=BB2_1978 Depth=2
	s_or_b32 exec_lo, exec_lo, s42
	s_and_b32 s13, s13, exec_lo
	s_or_saveexec_b32 s41, s41
	v_mov_b32_e32 v10, 0x7f800001
	s_xor_b32 exec_lo, exec_lo, s41
	s_cbranch_execnz .LBB2_2555
.LBB2_2172:                             ;   in Loop: Header=BB2_1978 Depth=2
	s_or_b32 exec_lo, exec_lo, s41
	s_and_saveexec_b32 s41, s13
	s_cbranch_execz .LBB2_2174
.LBB2_2173:                             ;   in Loop: Header=BB2_1978 Depth=2
	v_and_b32_sdwa v10, v81, v13 dst_sel:DWORD dst_unused:UNUSED_PAD src0_sel:DWORD src1_sel:BYTE_1
	v_and_b32_e32 v11, 7, v10
	v_bfe_u32 v101, v10, 3, 4
	v_ffbh_u32_e32 v12, v11
	v_cmp_eq_u32_e32 vcc_lo, 0, v101
	v_min_u32_e32 v12, 32, v12
	v_subrev_nc_u32_e32 v98, 28, v12
	v_sub_nc_u32_e32 v12, 29, v12
	v_lshlrev_b32_e32 v10, v98, v10
	v_lshlrev_b32_sdwa v98, v82, v13 dst_sel:DWORD dst_unused:UNUSED_PAD src0_sel:DWORD src1_sel:BYTE_1
	v_cndmask_b32_e32 v12, v101, v12, vcc_lo
	v_and_b32_e32 v10, 7, v10
	v_lshl_add_u32 v12, v12, 23, 0x3b800000
	v_cndmask_b32_e32 v10, v11, v10, vcc_lo
	v_and_b32_e32 v11, 0x80000000, v98
	v_lshlrev_b32_e32 v10, 20, v10
	v_or3_b32 v10, v11, v12, v10
.LBB2_2174:                             ;   in Loop: Header=BB2_1978 Depth=2
	s_or_b32 exec_lo, exec_lo, s41
	v_mul_f32_e32 v10, s40, v10
	v_mov_b32_e32 v103, 0x8000
	s_mov_b32 s41, exec_lo
	v_and_b32_e32 v11, 0x7f800000, v10
	v_cmpx_ne_u32_e32 0x7f800000, v11
	s_cbranch_execz .LBB2_2182
; %bb.2175:                             ;   in Loop: Header=BB2_1978 Depth=2
	v_mov_b32_e32 v103, 0
	s_mov_b32 s42, exec_lo
	v_cmpx_ne_u32_e32 0, v10
	s_cbranch_execz .LBB2_2181
; %bb.2176:                             ;   in Loop: Header=BB2_1978 Depth=2
	v_bfe_u32 v11, v10, 23, 8
	v_and_b32_e32 v12, 0x7fffff, v10
	v_sub_nc_u32_e32 v98, 0x78, v11
	v_cmp_gt_u32_e32 vcc_lo, 0x79, v11
	v_or_b32_e32 v101, 0x800000, v12
	v_cndmask_b32_e32 v98, 0, v98, vcc_lo
	v_cmp_eq_u32_e32 vcc_lo, 0, v11
	v_add_nc_u32_e32 v11, 0xffffff89, v11
	v_cndmask_b32_e64 v98, v98, 0x77, vcc_lo
	v_cndmask_b32_e32 v12, v101, v12, vcc_lo
	v_cndmask_b32_e64 v11, v11, 0xffffff8a, vcc_lo
	v_lshl_add_u32 v101, 0x100000, v98, -1
	v_lshrrev_b32_e32 v103, v98, v12
	v_lshlrev_b32_e64 v42, v98, 0x80000
	v_add_nc_u32_e32 v98, v98, v11
	v_and_b32_e32 v12, v101, v12
	v_bfe_u32 v41, v103, 20, 1
	v_cmp_eq_u32_e64 s13, v12, v42
	v_add_nc_u32_e32 v101, -1, v41
	v_cndmask_b32_e64 v12, 0, v101, s13
	v_lshrrev_b32_e32 v101, 23, v103
	s_mov_b32 s13, exec_lo
	v_add_nc_u32_e32 v12, v12, v103
	v_xor_b32_e32 v101, 1, v101
	v_and_b32_e32 v11, 0xfffff, v12
	v_add_nc_u32_e32 v12, v11, v103
                                        ; implicit-def: $vgpr11
	v_cmpx_ne_u32_e64 v98, v101
	s_xor_b32 s13, exec_lo, s13
; %bb.2177:                             ;   in Loop: Header=BB2_1978 Depth=2
	v_cmp_lt_u32_e32 vcc_lo, 0xffffff, v12
	v_sub_nc_u32_e32 v11, v98, v101
	v_cndmask_b32_e64 v98, 0, 1, vcc_lo
	v_add_co_ci_u32_e64 v11, null, 0, v11, vcc_lo
	v_lshrrev_b32_e32 v12, v98, v12
; %bb.2178:                             ;   in Loop: Header=BB2_1978 Depth=2
	s_andn2_saveexec_b32 s13, s13
; %bb.2179:                             ;   in Loop: Header=BB2_1978 Depth=2
	v_bfe_u32 v11, v12, 23, 1
; %bb.2180:                             ;   in Loop: Header=BB2_1978 Depth=2
	s_or_b32 exec_lo, exec_lo, s13
	v_lshrrev_b32_e32 v12, 20, v12
	v_min_i32_e32 v98, 15, v11
	v_cmp_gt_i32_e32 vcc_lo, 16, v11
	v_and_b32_sdwa v10, v10, v80 dst_sel:DWORD dst_unused:UNUSED_PAD src0_sel:BYTE_3 src1_sel:DWORD
	v_lshlrev_b32_e32 v98, 3, v98
	v_cndmask_b32_e32 v12, 7, v12, vcc_lo
	v_and_b32_e32 v98, 0xf8, v98
	v_and_b32_e32 v101, 7, v12
	v_or_b32_e32 v11, v11, v12
	v_or3_b32 v10, v10, v98, v101
	v_cmp_ne_u32_e32 vcc_lo, 0, v11
	v_lshlrev_b32_e32 v10, 8, v10
	v_cndmask_b32_e32 v103, 0, v10, vcc_lo
.LBB2_2181:                             ;   in Loop: Header=BB2_1978 Depth=2
	s_or_b32 exec_lo, exec_lo, s42
.LBB2_2182:                             ;   in Loop: Header=BB2_1978 Depth=2
	s_or_b32 exec_lo, exec_lo, s41
	v_and_b32_sdwa v11, v13, v83 dst_sel:DWORD dst_unused:UNUSED_PAD src0_sel:WORD_1 src1_sel:DWORD
	s_mov_b32 s13, 0
	s_mov_b32 s41, exec_lo
	v_cmpx_lt_i16_e32 0x7f, v11
	s_xor_b32 s41, exec_lo, s41
	s_cbranch_execz .LBB2_2556
; %bb.2183:                             ;   in Loop: Header=BB2_1978 Depth=2
	s_mov_b32 s13, -1
	s_mov_b32 s42, exec_lo
	v_cmpx_eq_u16_e32 0x80, v11
; %bb.2184:                             ;   in Loop: Header=BB2_1978 Depth=2
	s_xor_b32 s13, exec_lo, -1
; %bb.2185:                             ;   in Loop: Header=BB2_1978 Depth=2
	s_or_b32 exec_lo, exec_lo, s42
	s_and_b32 s13, s13, exec_lo
                                        ; implicit-def: $vgpr11
	s_or_saveexec_b32 s41, s41
	v_mov_b32_e32 v10, 0x7f800001
	s_xor_b32 exec_lo, exec_lo, s41
	s_cbranch_execnz .LBB2_2557
.LBB2_2186:                             ;   in Loop: Header=BB2_1978 Depth=2
	s_or_b32 exec_lo, exec_lo, s41
	s_and_saveexec_b32 s41, s13
	s_cbranch_execz .LBB2_2188
.LBB2_2187:                             ;   in Loop: Header=BB2_1978 Depth=2
	v_bfe_u32 v10, v13, 16, 3
	v_bfe_u32 v98, v13, 19, 4
	v_lshlrev_b32_e32 v101, 8, v13
	v_ffbh_u32_e32 v11, v10
	v_cmp_eq_u32_e32 vcc_lo, 0, v98
	v_min_u32_e32 v11, 32, v11
	v_subrev_nc_u32_e32 v12, 28, v11
	v_sub_nc_u32_e32 v11, 29, v11
	v_lshlrev_b32_sdwa v12, v12, v13 dst_sel:DWORD dst_unused:UNUSED_PAD src0_sel:DWORD src1_sel:WORD_1
	v_cndmask_b32_e32 v11, v98, v11, vcc_lo
	v_and_b32_e32 v12, 7, v12
	v_lshl_add_u32 v11, v11, 23, 0x3b800000
	v_cndmask_b32_e32 v10, v10, v12, vcc_lo
	v_and_b32_e32 v12, 0x80000000, v101
	v_lshlrev_b32_e32 v10, 20, v10
	v_or3_b32 v10, v12, v11, v10
.LBB2_2188:                             ;   in Loop: Header=BB2_1978 Depth=2
	s_or_b32 exec_lo, exec_lo, s41
	v_mul_f32_e32 v10, s40, v10
	v_mov_b32_e32 v98, 0x80
	s_mov_b32 s41, exec_lo
	v_and_b32_e32 v11, 0x7f800000, v10
	v_cmpx_ne_u32_e32 0x7f800000, v11
	s_cbranch_execz .LBB2_2196
; %bb.2189:                             ;   in Loop: Header=BB2_1978 Depth=2
	v_mov_b32_e32 v98, 0
	s_mov_b32 s42, exec_lo
	v_cmpx_ne_u32_e32 0, v10
	s_cbranch_execz .LBB2_2195
; %bb.2190:                             ;   in Loop: Header=BB2_1978 Depth=2
	v_bfe_u32 v11, v10, 23, 8
	v_and_b32_e32 v12, 0x7fffff, v10
	v_sub_nc_u32_e32 v98, 0x78, v11
	v_cmp_gt_u32_e32 vcc_lo, 0x79, v11
	v_or_b32_e32 v101, 0x800000, v12
	v_cndmask_b32_e32 v98, 0, v98, vcc_lo
	v_cmp_eq_u32_e32 vcc_lo, 0, v11
	v_add_nc_u32_e32 v11, 0xffffff89, v11
	v_cndmask_b32_e64 v98, v98, 0x77, vcc_lo
	v_cndmask_b32_e32 v12, v101, v12, vcc_lo
	v_cndmask_b32_e64 v11, v11, 0xffffff8a, vcc_lo
	v_lshl_add_u32 v101, 0x100000, v98, -1
	v_lshrrev_b32_e32 v41, v98, v12
	v_lshlrev_b32_e64 v43, v98, 0x80000
	v_add_nc_u32_e32 v98, v98, v11
	v_and_b32_e32 v12, v101, v12
	v_bfe_u32 v42, v41, 20, 1
	v_cmp_eq_u32_e64 s13, v12, v43
	v_add_nc_u32_e32 v101, -1, v42
	v_cndmask_b32_e64 v12, 0, v101, s13
	v_lshrrev_b32_e32 v101, 23, v41
	s_mov_b32 s13, exec_lo
	v_add_nc_u32_e32 v12, v12, v41
	v_xor_b32_e32 v101, 1, v101
	v_and_b32_e32 v11, 0xfffff, v12
	v_add_nc_u32_e32 v12, v11, v41
                                        ; implicit-def: $vgpr11
	v_cmpx_ne_u32_e64 v98, v101
	s_xor_b32 s13, exec_lo, s13
; %bb.2191:                             ;   in Loop: Header=BB2_1978 Depth=2
	v_cmp_lt_u32_e32 vcc_lo, 0xffffff, v12
	v_sub_nc_u32_e32 v11, v98, v101
	v_cndmask_b32_e64 v98, 0, 1, vcc_lo
	v_add_co_ci_u32_e64 v11, null, 0, v11, vcc_lo
	v_lshrrev_b32_e32 v12, v98, v12
; %bb.2192:                             ;   in Loop: Header=BB2_1978 Depth=2
	s_andn2_saveexec_b32 s13, s13
; %bb.2193:                             ;   in Loop: Header=BB2_1978 Depth=2
	v_bfe_u32 v11, v12, 23, 1
; %bb.2194:                             ;   in Loop: Header=BB2_1978 Depth=2
	s_or_b32 exec_lo, exec_lo, s13
	v_lshrrev_b32_e32 v12, 20, v12
	v_min_i32_e32 v98, 15, v11
	v_cmp_gt_i32_e32 vcc_lo, 16, v11
	v_and_b32_sdwa v10, v10, v80 dst_sel:DWORD dst_unused:UNUSED_PAD src0_sel:BYTE_3 src1_sel:DWORD
	v_lshlrev_b32_e32 v98, 3, v98
	v_cndmask_b32_e32 v12, 7, v12, vcc_lo
	v_and_b32_e32 v98, 0xf8, v98
	v_and_b32_e32 v101, 7, v12
	v_or_b32_e32 v11, v11, v12
	v_or3_b32 v10, v98, v10, v101
	v_cmp_ne_u32_e32 vcc_lo, 0, v11
	v_cndmask_b32_e32 v98, 0, v10, vcc_lo
.LBB2_2195:                             ;   in Loop: Header=BB2_1978 Depth=2
	s_or_b32 exec_lo, exec_lo, s42
.LBB2_2196:                             ;   in Loop: Header=BB2_1978 Depth=2
	s_or_b32 exec_lo, exec_lo, s41
	v_cmp_gt_i16_sdwa s41, v13, v71 src0_sel:BYTE_3 src1_sel:DWORD
	s_mov_b32 s13, 0
	s_and_saveexec_b32 s42, s41
	s_xor_b32 s41, exec_lo, s42
	s_cbranch_execz .LBB2_2558
; %bb.2197:                             ;   in Loop: Header=BB2_1978 Depth=2
	v_cmp_eq_u16_sdwa s43, v13, v80 src0_sel:BYTE_3 src1_sel:DWORD
	s_mov_b32 s13, -1
	s_and_saveexec_b32 s42, s43
; %bb.2198:                             ;   in Loop: Header=BB2_1978 Depth=2
	s_xor_b32 s13, exec_lo, -1
; %bb.2199:                             ;   in Loop: Header=BB2_1978 Depth=2
	s_or_b32 exec_lo, exec_lo, s42
	s_and_b32 s13, s13, exec_lo
	s_or_saveexec_b32 s41, s41
	v_mov_b32_e32 v10, 0x7f800001
	s_xor_b32 exec_lo, exec_lo, s41
	s_cbranch_execnz .LBB2_2559
.LBB2_2200:                             ;   in Loop: Header=BB2_1978 Depth=2
	s_or_b32 exec_lo, exec_lo, s41
	s_and_saveexec_b32 s41, s13
	s_cbranch_execz .LBB2_2202
.LBB2_2201:                             ;   in Loop: Header=BB2_1978 Depth=2
	v_bfe_u32 v10, v13, 24, 3
	v_bfe_u32 v101, v13, 27, 4
	v_ffbh_u32_e32 v11, v10
	v_cmp_eq_u32_e32 vcc_lo, 0, v101
	v_min_u32_e32 v11, 32, v11
	v_subrev_nc_u32_e32 v12, 28, v11
	v_sub_nc_u32_e32 v11, 29, v11
	v_lshlrev_b32_sdwa v12, v12, v13 dst_sel:DWORD dst_unused:UNUSED_PAD src0_sel:DWORD src1_sel:BYTE_3
	v_cndmask_b32_e32 v11, v101, v11, vcc_lo
	v_and_b32_e32 v12, 7, v12
	v_lshl_add_u32 v11, v11, 23, 0x3b800000
	v_cndmask_b32_e32 v10, v10, v12, vcc_lo
	v_and_b32_e32 v12, 0x80000000, v13
	v_lshlrev_b32_e32 v10, 20, v10
	v_or3_b32 v10, v12, v11, v10
.LBB2_2202:                             ;   in Loop: Header=BB2_1978 Depth=2
	s_or_b32 exec_lo, exec_lo, s41
	v_mul_f32_e32 v10, s40, v10
	v_mov_b32_e32 v101, 0x8000
	s_mov_b32 s40, exec_lo
	v_and_b32_e32 v11, 0x7f800000, v10
	v_cmpx_ne_u32_e32 0x7f800000, v11
	s_cbranch_execz .LBB2_2210
; %bb.2203:                             ;   in Loop: Header=BB2_1978 Depth=2
	v_mov_b32_e32 v101, 0
	s_mov_b32 s41, exec_lo
	v_cmpx_ne_u32_e32 0, v10
	s_cbranch_execz .LBB2_2209
; %bb.2204:                             ;   in Loop: Header=BB2_1978 Depth=2
	v_bfe_u32 v11, v10, 23, 8
	v_and_b32_e32 v12, 0x7fffff, v10
	v_sub_nc_u32_e32 v13, 0x78, v11
	v_cmp_gt_u32_e32 vcc_lo, 0x79, v11
	v_or_b32_e32 v101, 0x800000, v12
	v_cndmask_b32_e32 v13, 0, v13, vcc_lo
	v_cmp_eq_u32_e32 vcc_lo, 0, v11
	v_add_nc_u32_e32 v11, 0xffffff89, v11
	v_cndmask_b32_e64 v13, v13, 0x77, vcc_lo
	v_cndmask_b32_e32 v12, v101, v12, vcc_lo
	v_cndmask_b32_e64 v11, v11, 0xffffff8a, vcc_lo
	v_lshl_add_u32 v101, 0x100000, v13, -1
	v_lshrrev_b32_e32 v41, v13, v12
	v_lshlrev_b32_e64 v43, v13, 0x80000
	v_add_nc_u32_e32 v13, v13, v11
	v_and_b32_e32 v12, v101, v12
	v_bfe_u32 v42, v41, 20, 1
	v_cmp_eq_u32_e64 s13, v12, v43
	v_add_nc_u32_e32 v101, -1, v42
	v_cndmask_b32_e64 v12, 0, v101, s13
	v_lshrrev_b32_e32 v101, 23, v41
	s_mov_b32 s13, exec_lo
	v_add_nc_u32_e32 v12, v12, v41
	v_xor_b32_e32 v101, 1, v101
	v_and_b32_e32 v11, 0xfffff, v12
	v_add_nc_u32_e32 v12, v11, v41
                                        ; implicit-def: $vgpr11
	v_cmpx_ne_u32_e64 v13, v101
	s_xor_b32 s13, exec_lo, s13
; %bb.2205:                             ;   in Loop: Header=BB2_1978 Depth=2
	v_cmp_lt_u32_e32 vcc_lo, 0xffffff, v12
	v_sub_nc_u32_e32 v11, v13, v101
	v_cndmask_b32_e64 v13, 0, 1, vcc_lo
	v_add_co_ci_u32_e64 v11, null, 0, v11, vcc_lo
	v_lshrrev_b32_e32 v12, v13, v12
; %bb.2206:                             ;   in Loop: Header=BB2_1978 Depth=2
	s_andn2_saveexec_b32 s13, s13
; %bb.2207:                             ;   in Loop: Header=BB2_1978 Depth=2
	v_bfe_u32 v11, v12, 23, 1
; %bb.2208:                             ;   in Loop: Header=BB2_1978 Depth=2
	s_or_b32 exec_lo, exec_lo, s13
	v_lshrrev_b32_e32 v12, 20, v12
	v_min_i32_e32 v13, 15, v11
	v_cmp_gt_i32_e32 vcc_lo, 16, v11
	v_and_b32_sdwa v10, v10, v80 dst_sel:DWORD dst_unused:UNUSED_PAD src0_sel:BYTE_3 src1_sel:DWORD
	v_lshlrev_b32_e32 v13, 3, v13
	v_cndmask_b32_e32 v12, 7, v12, vcc_lo
	v_and_b32_e32 v13, 0xf8, v13
	v_and_b32_e32 v101, 7, v12
	v_or_b32_e32 v11, v11, v12
	v_or3_b32 v10, v10, v13, v101
	v_cmp_ne_u32_e32 vcc_lo, 0, v11
	v_lshlrev_b32_e32 v10, 8, v10
	v_cndmask_b32_e32 v101, 0, v10, vcc_lo
.LBB2_2209:                             ;   in Loop: Header=BB2_1978 Depth=2
	s_or_b32 exec_lo, exec_lo, s41
.LBB2_2210:                             ;   in Loop: Header=BB2_1978 Depth=2
	s_or_b32 exec_lo, exec_lo, s40
	global_load_dwordx4 v[10:13], v[52:53], off slc
	v_or_b32_e32 v41, v100, v97
	s_mov_b32 s13, 0
	v_cmp_gt_i16_sdwa s40, v41, v71 src0_sel:BYTE_0 src1_sel:DWORD
	s_and_saveexec_b32 s41, s40
	s_xor_b32 s40, exec_lo, s41
	s_cbranch_execz .LBB2_2560
; %bb.2211:                             ;   in Loop: Header=BB2_1978 Depth=2
	v_cmp_eq_u16_sdwa s42, v41, v80 src0_sel:BYTE_0 src1_sel:DWORD
	s_mov_b32 s13, -1
	s_and_saveexec_b32 s41, s42
; %bb.2212:                             ;   in Loop: Header=BB2_1978 Depth=2
	s_xor_b32 s13, exec_lo, -1
; %bb.2213:                             ;   in Loop: Header=BB2_1978 Depth=2
	s_or_b32 exec_lo, exec_lo, s41
	s_and_b32 s13, s13, exec_lo
	s_or_saveexec_b32 s40, s40
	v_mov_b32_e32 v97, 0x7f800001
	s_xor_b32 exec_lo, exec_lo, s40
	s_cbranch_execnz .LBB2_2561
.LBB2_2214:                             ;   in Loop: Header=BB2_1978 Depth=2
	s_or_b32 exec_lo, exec_lo, s40
	s_and_saveexec_b32 s40, s13
	s_cbranch_execz .LBB2_2216
.LBB2_2215:                             ;   in Loop: Header=BB2_1978 Depth=2
	v_and_b32_e32 v97, 7, v41
	v_bfe_u32 v43, v41, 3, 4
	v_lshlrev_b32_e32 v44, 24, v41
	v_ffbh_u32_e32 v100, v97
	v_cmp_eq_u32_e32 vcc_lo, 0, v43
	v_min_u32_e32 v100, 32, v100
	v_subrev_nc_u32_e32 v42, 28, v100
	v_sub_nc_u32_e32 v100, 29, v100
	v_lshlrev_b32_e32 v42, v42, v41
	v_cndmask_b32_e32 v100, v43, v100, vcc_lo
	v_and_b32_e32 v42, 7, v42
	v_lshl_add_u32 v100, v100, 23, 0x3b800000
	v_cndmask_b32_e32 v97, v97, v42, vcc_lo
	v_and_b32_e32 v42, 0x80000000, v44
	v_lshlrev_b32_e32 v97, 20, v97
	v_or3_b32 v97, v42, v100, v97
.LBB2_2216:                             ;   in Loop: Header=BB2_1978 Depth=2
	s_or_b32 exec_lo, exec_lo, s40
	s_waitcnt vmcnt(0)
	v_cmp_gt_i16_sdwa s40, v10, v71 src0_sel:BYTE_0 src1_sel:DWORD
	s_mov_b32 s13, 0
	s_and_saveexec_b32 s41, s40
	s_xor_b32 s40, exec_lo, s41
	s_cbranch_execz .LBB2_2562
; %bb.2217:                             ;   in Loop: Header=BB2_1978 Depth=2
	v_cmp_eq_u16_sdwa s42, v10, v80 src0_sel:BYTE_0 src1_sel:DWORD
	s_mov_b32 s13, -1
	s_and_saveexec_b32 s41, s42
; %bb.2218:                             ;   in Loop: Header=BB2_1978 Depth=2
	s_xor_b32 s13, exec_lo, -1
; %bb.2219:                             ;   in Loop: Header=BB2_1978 Depth=2
	s_or_b32 exec_lo, exec_lo, s41
	s_and_b32 s13, s13, exec_lo
	s_or_saveexec_b32 s40, s40
	v_mov_b32_e32 v100, 0x7f800001
	s_xor_b32 exec_lo, exec_lo, s40
	s_cbranch_execnz .LBB2_2563
.LBB2_2220:                             ;   in Loop: Header=BB2_1978 Depth=2
	s_or_b32 exec_lo, exec_lo, s40
	s_and_saveexec_b32 s40, s13
	s_cbranch_execz .LBB2_2222
.LBB2_2221:                             ;   in Loop: Header=BB2_1978 Depth=2
	v_and_b32_e32 v100, 7, v10
	v_bfe_u32 v44, v10, 3, 4
	v_lshlrev_b32_e32 v45, 24, v10
	v_ffbh_u32_e32 v42, v100
	v_cmp_eq_u32_e32 vcc_lo, 0, v44
	v_min_u32_e32 v42, 32, v42
	v_subrev_nc_u32_e32 v43, 28, v42
	v_sub_nc_u32_e32 v42, 29, v42
	v_lshlrev_b32_e32 v43, v43, v10
	v_cndmask_b32_e32 v42, v44, v42, vcc_lo
	v_and_b32_e32 v43, 7, v43
	v_lshl_add_u32 v42, v42, 23, 0x3b800000
	v_cndmask_b32_e32 v100, v100, v43, vcc_lo
	v_and_b32_e32 v43, 0x80000000, v45
	v_lshlrev_b32_e32 v100, 20, v100
	v_or3_b32 v100, v43, v42, v100
.LBB2_2222:                             ;   in Loop: Header=BB2_1978 Depth=2
	s_or_b32 exec_lo, exec_lo, s40
	v_add_f32_e32 v100, v97, v100
	v_and_b32_e32 v97, 0x7f800000, v100
	v_cmp_ne_u32_e32 vcc_lo, 0x7f800000, v97
	v_mov_b32_e32 v97, 0x80
	s_and_saveexec_b32 s40, vcc_lo
	s_cbranch_execz .LBB2_2230
; %bb.2223:                             ;   in Loop: Header=BB2_1978 Depth=2
	v_mov_b32_e32 v97, 0
	s_mov_b32 s41, exec_lo
	v_cmpx_ne_u32_e32 0, v100
	s_cbranch_execz .LBB2_2229
; %bb.2224:                             ;   in Loop: Header=BB2_1978 Depth=2
	v_bfe_u32 v97, v100, 23, 8
	v_and_b32_e32 v42, 0x7fffff, v100
	v_sub_nc_u32_e32 v43, 0x78, v97
	v_cmp_gt_u32_e32 vcc_lo, 0x79, v97
	v_or_b32_e32 v44, 0x800000, v42
	v_cndmask_b32_e32 v43, 0, v43, vcc_lo
	v_cmp_eq_u32_e32 vcc_lo, 0, v97
	v_add_nc_u32_e32 v97, 0xffffff89, v97
	v_cndmask_b32_e64 v43, v43, 0x77, vcc_lo
	v_cndmask_b32_e32 v42, v44, v42, vcc_lo
	v_cndmask_b32_e64 v97, v97, 0xffffff8a, vcc_lo
	v_lshl_add_u32 v44, 0x100000, v43, -1
	v_lshrrev_b32_e32 v45, v43, v42
	v_lshlrev_b32_e64 v47, v43, 0x80000
	v_add_nc_u32_e32 v43, v43, v97
	v_and_b32_e32 v42, v44, v42
	v_bfe_u32 v46, v45, 20, 1
	v_cmp_eq_u32_e64 s13, v42, v47
	v_add_nc_u32_e32 v44, -1, v46
	v_cndmask_b32_e64 v42, 0, v44, s13
	v_lshrrev_b32_e32 v44, 23, v45
	s_mov_b32 s13, exec_lo
	v_add_nc_u32_e32 v42, v42, v45
	v_xor_b32_e32 v44, 1, v44
	v_and_b32_e32 v97, 0xfffff, v42
	v_add_nc_u32_e32 v42, v97, v45
                                        ; implicit-def: $vgpr97
	v_cmpx_ne_u32_e64 v43, v44
	s_xor_b32 s13, exec_lo, s13
; %bb.2225:                             ;   in Loop: Header=BB2_1978 Depth=2
	v_cmp_lt_u32_e32 vcc_lo, 0xffffff, v42
	v_sub_nc_u32_e32 v97, v43, v44
	v_cndmask_b32_e64 v43, 0, 1, vcc_lo
	v_add_co_ci_u32_e64 v97, null, 0, v97, vcc_lo
	v_lshrrev_b32_e32 v42, v43, v42
; %bb.2226:                             ;   in Loop: Header=BB2_1978 Depth=2
	s_andn2_saveexec_b32 s13, s13
; %bb.2227:                             ;   in Loop: Header=BB2_1978 Depth=2
	v_bfe_u32 v97, v42, 23, 1
; %bb.2228:                             ;   in Loop: Header=BB2_1978 Depth=2
	s_or_b32 exec_lo, exec_lo, s13
	v_lshrrev_b32_e32 v42, 20, v42
	v_min_i32_e32 v43, 15, v97
	v_cmp_gt_i32_e32 vcc_lo, 16, v97
	v_and_b32_sdwa v100, v100, v80 dst_sel:DWORD dst_unused:UNUSED_PAD src0_sel:BYTE_3 src1_sel:DWORD
	v_lshlrev_b32_e32 v43, 3, v43
	v_cndmask_b32_e32 v42, 7, v42, vcc_lo
	v_and_b32_e32 v43, 0xf8, v43
	v_and_b32_e32 v44, 7, v42
	v_or_b32_e32 v97, v97, v42
	v_or3_b32 v100, v43, v100, v44
	v_cmp_ne_u32_e32 vcc_lo, 0, v97
	v_cndmask_b32_e32 v97, 0, v100, vcc_lo
.LBB2_2229:                             ;   in Loop: Header=BB2_1978 Depth=2
	s_or_b32 exec_lo, exec_lo, s41
.LBB2_2230:                             ;   in Loop: Header=BB2_1978 Depth=2
	s_or_b32 exec_lo, exec_lo, s40
	v_cmp_gt_i16_sdwa s40, v41, v71 src0_sel:BYTE_1 src1_sel:DWORD
	s_mov_b32 s13, 0
	s_and_saveexec_b32 s41, s40
	s_xor_b32 s40, exec_lo, s41
	s_cbranch_execz .LBB2_2564
; %bb.2231:                             ;   in Loop: Header=BB2_1978 Depth=2
	v_cmp_eq_u16_sdwa s42, v41, v80 src0_sel:BYTE_1 src1_sel:DWORD
	s_mov_b32 s13, -1
	s_and_saveexec_b32 s41, s42
; %bb.2232:                             ;   in Loop: Header=BB2_1978 Depth=2
	s_xor_b32 s13, exec_lo, -1
; %bb.2233:                             ;   in Loop: Header=BB2_1978 Depth=2
	s_or_b32 exec_lo, exec_lo, s41
	s_and_b32 s13, s13, exec_lo
	s_or_saveexec_b32 s40, s40
	v_mov_b32_e32 v100, 0x7f800001
	s_xor_b32 exec_lo, exec_lo, s40
	s_cbranch_execnz .LBB2_2565
.LBB2_2234:                             ;   in Loop: Header=BB2_1978 Depth=2
	s_or_b32 exec_lo, exec_lo, s40
	s_and_saveexec_b32 s40, s13
	s_cbranch_execz .LBB2_2236
.LBB2_2235:                             ;   in Loop: Header=BB2_1978 Depth=2
	v_and_b32_sdwa v100, v81, v41 dst_sel:DWORD dst_unused:UNUSED_PAD src0_sel:DWORD src1_sel:BYTE_1
	v_and_b32_e32 v42, 7, v100
	v_bfe_u32 v45, v100, 3, 4
	v_ffbh_u32_e32 v43, v42
	v_cmp_eq_u32_e32 vcc_lo, 0, v45
	v_min_u32_e32 v43, 32, v43
	v_subrev_nc_u32_e32 v44, 28, v43
	v_sub_nc_u32_e32 v43, 29, v43
	v_lshlrev_b32_e32 v100, v44, v100
	v_lshlrev_b32_sdwa v44, v82, v41 dst_sel:DWORD dst_unused:UNUSED_PAD src0_sel:DWORD src1_sel:BYTE_1
	v_cndmask_b32_e32 v43, v45, v43, vcc_lo
	v_and_b32_e32 v100, 7, v100
	v_lshl_add_u32 v43, v43, 23, 0x3b800000
	v_cndmask_b32_e32 v100, v42, v100, vcc_lo
	v_and_b32_e32 v42, 0x80000000, v44
	v_lshlrev_b32_e32 v100, 20, v100
	v_or3_b32 v100, v42, v43, v100
.LBB2_2236:                             ;   in Loop: Header=BB2_1978 Depth=2
	s_or_b32 exec_lo, exec_lo, s40
	v_cmp_gt_i16_sdwa s40, v10, v71 src0_sel:BYTE_1 src1_sel:DWORD
	s_mov_b32 s13, 0
	s_and_saveexec_b32 s41, s40
	s_xor_b32 s40, exec_lo, s41
	s_cbranch_execz .LBB2_2566
; %bb.2237:                             ;   in Loop: Header=BB2_1978 Depth=2
	v_cmp_eq_u16_sdwa s42, v10, v80 src0_sel:BYTE_1 src1_sel:DWORD
	s_mov_b32 s13, -1
	s_and_saveexec_b32 s41, s42
; %bb.2238:                             ;   in Loop: Header=BB2_1978 Depth=2
	s_xor_b32 s13, exec_lo, -1
; %bb.2239:                             ;   in Loop: Header=BB2_1978 Depth=2
	s_or_b32 exec_lo, exec_lo, s41
	s_and_b32 s13, s13, exec_lo
	s_or_saveexec_b32 s40, s40
	v_mov_b32_e32 v42, 0x7f800001
	s_xor_b32 exec_lo, exec_lo, s40
	s_cbranch_execnz .LBB2_2567
.LBB2_2240:                             ;   in Loop: Header=BB2_1978 Depth=2
	s_or_b32 exec_lo, exec_lo, s40
	s_and_saveexec_b32 s40, s13
	s_cbranch_execz .LBB2_2242
.LBB2_2241:                             ;   in Loop: Header=BB2_1978 Depth=2
	v_and_b32_sdwa v42, v81, v10 dst_sel:DWORD dst_unused:UNUSED_PAD src0_sel:DWORD src1_sel:BYTE_1
	v_and_b32_e32 v43, 7, v42
	v_bfe_u32 v46, v42, 3, 4
	v_ffbh_u32_e32 v44, v43
	v_cmp_eq_u32_e32 vcc_lo, 0, v46
	v_min_u32_e32 v44, 32, v44
	v_subrev_nc_u32_e32 v45, 28, v44
	v_sub_nc_u32_e32 v44, 29, v44
	v_lshlrev_b32_e32 v42, v45, v42
	v_lshlrev_b32_sdwa v45, v82, v10 dst_sel:DWORD dst_unused:UNUSED_PAD src0_sel:DWORD src1_sel:BYTE_1
	v_cndmask_b32_e32 v44, v46, v44, vcc_lo
	v_and_b32_e32 v42, 7, v42
	v_lshl_add_u32 v44, v44, 23, 0x3b800000
	v_cndmask_b32_e32 v42, v43, v42, vcc_lo
	v_and_b32_e32 v43, 0x80000000, v45
	v_lshlrev_b32_e32 v42, 20, v42
	v_or3_b32 v42, v43, v44, v42
.LBB2_2242:                             ;   in Loop: Header=BB2_1978 Depth=2
	s_or_b32 exec_lo, exec_lo, s40
	v_add_f32_e32 v42, v100, v42
	v_and_b32_e32 v100, 0x7f800000, v42
	v_cmp_ne_u32_e32 vcc_lo, 0x7f800000, v100
	v_mov_b32_e32 v100, 0x8000
	s_and_saveexec_b32 s40, vcc_lo
	s_cbranch_execz .LBB2_2250
; %bb.2243:                             ;   in Loop: Header=BB2_1978 Depth=2
	v_mov_b32_e32 v100, 0
	s_mov_b32 s41, exec_lo
	v_cmpx_ne_u32_e32 0, v42
	s_cbranch_execz .LBB2_2249
; %bb.2244:                             ;   in Loop: Header=BB2_1978 Depth=2
	v_bfe_u32 v100, v42, 23, 8
	v_and_b32_e32 v43, 0x7fffff, v42
	v_sub_nc_u32_e32 v44, 0x78, v100
	v_cmp_gt_u32_e32 vcc_lo, 0x79, v100
	v_or_b32_e32 v45, 0x800000, v43
	v_cndmask_b32_e32 v44, 0, v44, vcc_lo
	v_cmp_eq_u32_e32 vcc_lo, 0, v100
	v_add_nc_u32_e32 v100, 0xffffff89, v100
	v_cndmask_b32_e64 v44, v44, 0x77, vcc_lo
	v_cndmask_b32_e32 v43, v45, v43, vcc_lo
	v_cndmask_b32_e64 v100, v100, 0xffffff8a, vcc_lo
	v_lshl_add_u32 v45, 0x100000, v44, -1
	v_lshrrev_b32_e32 v46, v44, v43
	v_lshlrev_b32_e64 v56, v44, 0x80000
	v_add_nc_u32_e32 v44, v44, v100
	v_and_b32_e32 v43, v45, v43
	v_bfe_u32 v47, v46, 20, 1
	v_cmp_eq_u32_e64 s13, v43, v56
	v_add_nc_u32_e32 v45, -1, v47
	v_cndmask_b32_e64 v43, 0, v45, s13
	v_lshrrev_b32_e32 v45, 23, v46
	s_mov_b32 s13, exec_lo
	v_add_nc_u32_e32 v43, v43, v46
	v_xor_b32_e32 v45, 1, v45
	v_and_b32_e32 v100, 0xfffff, v43
	v_add_nc_u32_e32 v43, v100, v46
                                        ; implicit-def: $vgpr100
	v_cmpx_ne_u32_e64 v44, v45
	s_xor_b32 s13, exec_lo, s13
; %bb.2245:                             ;   in Loop: Header=BB2_1978 Depth=2
	v_cmp_lt_u32_e32 vcc_lo, 0xffffff, v43
	v_sub_nc_u32_e32 v100, v44, v45
	v_cndmask_b32_e64 v44, 0, 1, vcc_lo
	v_add_co_ci_u32_e64 v100, null, 0, v100, vcc_lo
	v_lshrrev_b32_e32 v43, v44, v43
; %bb.2246:                             ;   in Loop: Header=BB2_1978 Depth=2
	s_andn2_saveexec_b32 s13, s13
; %bb.2247:                             ;   in Loop: Header=BB2_1978 Depth=2
	v_bfe_u32 v100, v43, 23, 1
; %bb.2248:                             ;   in Loop: Header=BB2_1978 Depth=2
	s_or_b32 exec_lo, exec_lo, s13
	v_lshrrev_b32_e32 v43, 20, v43
	v_min_i32_e32 v44, 15, v100
	v_cmp_gt_i32_e32 vcc_lo, 16, v100
	v_and_b32_sdwa v42, v42, v80 dst_sel:DWORD dst_unused:UNUSED_PAD src0_sel:BYTE_3 src1_sel:DWORD
	v_lshlrev_b32_e32 v44, 3, v44
	v_cndmask_b32_e32 v43, 7, v43, vcc_lo
	v_and_b32_e32 v44, 0xf8, v44
	v_and_b32_e32 v45, 7, v43
	v_or_b32_e32 v100, v100, v43
	v_or3_b32 v42, v42, v44, v45
	v_cmp_ne_u32_e32 vcc_lo, 0, v100
	v_lshlrev_b32_e32 v42, 8, v42
	v_cndmask_b32_e32 v100, 0, v42, vcc_lo
.LBB2_2249:                             ;   in Loop: Header=BB2_1978 Depth=2
	s_or_b32 exec_lo, exec_lo, s41
.LBB2_2250:                             ;   in Loop: Header=BB2_1978 Depth=2
	s_or_b32 exec_lo, exec_lo, s40
	v_or_b32_e32 v40, v40, v113
	s_mov_b32 s13, 0
	v_cmp_gt_i16_sdwa s40, v40, v71 src0_sel:BYTE_0 src1_sel:DWORD
	s_and_saveexec_b32 s41, s40
	s_xor_b32 s40, exec_lo, s41
	s_cbranch_execz .LBB2_2568
; %bb.2251:                             ;   in Loop: Header=BB2_1978 Depth=2
	v_cmp_eq_u16_sdwa s42, v40, v80 src0_sel:BYTE_0 src1_sel:DWORD
	s_mov_b32 s13, -1
	s_and_saveexec_b32 s41, s42
; %bb.2252:                             ;   in Loop: Header=BB2_1978 Depth=2
	s_xor_b32 s13, exec_lo, -1
; %bb.2253:                             ;   in Loop: Header=BB2_1978 Depth=2
	s_or_b32 exec_lo, exec_lo, s41
	s_and_b32 s13, s13, exec_lo
	s_or_saveexec_b32 s40, s40
	v_mov_b32_e32 v113, 0x7f800001
	s_xor_b32 exec_lo, exec_lo, s40
	s_cbranch_execnz .LBB2_2569
.LBB2_2254:                             ;   in Loop: Header=BB2_1978 Depth=2
	s_or_b32 exec_lo, exec_lo, s40
	v_lshl_or_b32 v40, v40, 16, v41
	s_and_saveexec_b32 s40, s13
	s_cbranch_execz .LBB2_2256
.LBB2_2255:                             ;   in Loop: Header=BB2_1978 Depth=2
	v_bfe_u32 v113, v40, 16, 3
	v_bfe_u32 v43, v40, 19, 4
	v_lshlrev_b32_e32 v44, 8, v40
	v_ffbh_u32_e32 v41, v113
	v_cmp_eq_u32_e32 vcc_lo, 0, v43
	v_min_u32_e32 v41, 32, v41
	v_subrev_nc_u32_e32 v42, 28, v41
	v_sub_nc_u32_e32 v41, 29, v41
	v_lshlrev_b32_sdwa v42, v42, v40 dst_sel:DWORD dst_unused:UNUSED_PAD src0_sel:DWORD src1_sel:WORD_1
	v_cndmask_b32_e32 v41, v43, v41, vcc_lo
	v_and_b32_e32 v42, 7, v42
	v_lshl_add_u32 v41, v41, 23, 0x3b800000
	v_cndmask_b32_e32 v113, v113, v42, vcc_lo
	v_and_b32_e32 v42, 0x80000000, v44
	v_lshlrev_b32_e32 v113, 20, v113
	v_or3_b32 v113, v42, v41, v113
.LBB2_2256:                             ;   in Loop: Header=BB2_1978 Depth=2
	s_or_b32 exec_lo, exec_lo, s40
	v_and_b32_sdwa v42, v10, v83 dst_sel:DWORD dst_unused:UNUSED_PAD src0_sel:WORD_1 src1_sel:DWORD
	s_mov_b32 s13, 0
	s_mov_b32 s40, exec_lo
	v_cmpx_lt_i16_e32 0x7f, v42
	s_xor_b32 s40, exec_lo, s40
	s_cbranch_execz .LBB2_2570
; %bb.2257:                             ;   in Loop: Header=BB2_1978 Depth=2
	s_mov_b32 s13, -1
	s_mov_b32 s41, exec_lo
	v_cmpx_eq_u16_e32 0x80, v42
; %bb.2258:                             ;   in Loop: Header=BB2_1978 Depth=2
	s_xor_b32 s13, exec_lo, -1
; %bb.2259:                             ;   in Loop: Header=BB2_1978 Depth=2
	s_or_b32 exec_lo, exec_lo, s41
	s_and_b32 s13, s13, exec_lo
                                        ; implicit-def: $vgpr42
	s_or_saveexec_b32 s40, s40
	v_mov_b32_e32 v41, 0x7f800001
	s_xor_b32 exec_lo, exec_lo, s40
	s_cbranch_execnz .LBB2_2571
.LBB2_2260:                             ;   in Loop: Header=BB2_1978 Depth=2
	s_or_b32 exec_lo, exec_lo, s40
	s_and_saveexec_b32 s40, s13
	s_cbranch_execz .LBB2_2262
.LBB2_2261:                             ;   in Loop: Header=BB2_1978 Depth=2
	v_and_b32_sdwa v41, v10, v84 dst_sel:DWORD dst_unused:UNUSED_PAD src0_sel:WORD_1 src1_sel:DWORD
	v_bfe_u32 v44, v10, 19, 4
	v_lshlrev_b32_sdwa v45, v82, v10 dst_sel:DWORD dst_unused:UNUSED_PAD src0_sel:DWORD src1_sel:WORD_1
	v_ffbh_u32_e32 v42, v41
	v_cmp_eq_u32_e32 vcc_lo, 0, v44
	v_min_u32_e32 v42, 32, v42
	v_subrev_nc_u32_e32 v43, 28, v42
	v_sub_nc_u32_e32 v42, 29, v42
	v_lshlrev_b32_sdwa v43, v43, v10 dst_sel:DWORD dst_unused:UNUSED_PAD src0_sel:DWORD src1_sel:WORD_1
	v_cndmask_b32_e32 v42, v44, v42, vcc_lo
	v_and_b32_e32 v43, 7, v43
	v_lshl_add_u32 v42, v42, 23, 0x3b800000
	v_cndmask_b32_e32 v41, v41, v43, vcc_lo
	v_and_b32_e32 v43, 0x80000000, v45
	v_lshlrev_b32_e32 v41, 20, v41
	v_or3_b32 v41, v43, v42, v41
.LBB2_2262:                             ;   in Loop: Header=BB2_1978 Depth=2
	s_or_b32 exec_lo, exec_lo, s40
	v_add_f32_e32 v41, v113, v41
	v_and_b32_e32 v113, 0x7f800000, v41
	v_cmp_ne_u32_e32 vcc_lo, 0x7f800000, v113
	v_mov_b32_e32 v113, 0x80
	s_and_saveexec_b32 s40, vcc_lo
	s_cbranch_execz .LBB2_2270
; %bb.2263:                             ;   in Loop: Header=BB2_1978 Depth=2
	v_mov_b32_e32 v113, 0
	s_mov_b32 s41, exec_lo
	v_cmpx_ne_u32_e32 0, v41
	s_cbranch_execz .LBB2_2269
; %bb.2264:                             ;   in Loop: Header=BB2_1978 Depth=2
	v_bfe_u32 v113, v41, 23, 8
	v_and_b32_e32 v42, 0x7fffff, v41
	v_sub_nc_u32_e32 v43, 0x78, v113
	v_cmp_gt_u32_e32 vcc_lo, 0x79, v113
	v_or_b32_e32 v44, 0x800000, v42
	v_cndmask_b32_e32 v43, 0, v43, vcc_lo
	v_cmp_eq_u32_e32 vcc_lo, 0, v113
	v_add_nc_u32_e32 v113, 0xffffff89, v113
	v_cndmask_b32_e64 v43, v43, 0x77, vcc_lo
	v_cndmask_b32_e32 v42, v44, v42, vcc_lo
	v_cndmask_b32_e64 v113, v113, 0xffffff8a, vcc_lo
	v_lshl_add_u32 v44, 0x100000, v43, -1
	v_lshrrev_b32_e32 v45, v43, v42
	v_lshlrev_b32_e64 v47, v43, 0x80000
	v_add_nc_u32_e32 v43, v43, v113
	v_and_b32_e32 v42, v44, v42
	v_bfe_u32 v46, v45, 20, 1
	v_cmp_eq_u32_e64 s13, v42, v47
	v_add_nc_u32_e32 v44, -1, v46
	v_cndmask_b32_e64 v42, 0, v44, s13
	v_lshrrev_b32_e32 v44, 23, v45
	s_mov_b32 s13, exec_lo
	v_add_nc_u32_e32 v42, v42, v45
	v_xor_b32_e32 v44, 1, v44
	v_and_b32_e32 v113, 0xfffff, v42
	v_add_nc_u32_e32 v42, v113, v45
                                        ; implicit-def: $vgpr113
	v_cmpx_ne_u32_e64 v43, v44
	s_xor_b32 s13, exec_lo, s13
; %bb.2265:                             ;   in Loop: Header=BB2_1978 Depth=2
	v_cmp_lt_u32_e32 vcc_lo, 0xffffff, v42
	v_sub_nc_u32_e32 v113, v43, v44
	v_cndmask_b32_e64 v43, 0, 1, vcc_lo
	v_add_co_ci_u32_e64 v113, null, 0, v113, vcc_lo
	v_lshrrev_b32_e32 v42, v43, v42
; %bb.2266:                             ;   in Loop: Header=BB2_1978 Depth=2
	s_andn2_saveexec_b32 s13, s13
; %bb.2267:                             ;   in Loop: Header=BB2_1978 Depth=2
	v_bfe_u32 v113, v42, 23, 1
; %bb.2268:                             ;   in Loop: Header=BB2_1978 Depth=2
	s_or_b32 exec_lo, exec_lo, s13
	v_lshrrev_b32_e32 v42, 20, v42
	v_min_i32_e32 v43, 15, v113
	v_cmp_gt_i32_e32 vcc_lo, 16, v113
	v_and_b32_sdwa v41, v41, v80 dst_sel:DWORD dst_unused:UNUSED_PAD src0_sel:BYTE_3 src1_sel:DWORD
	v_lshlrev_b32_e32 v43, 3, v43
	v_cndmask_b32_e32 v42, 7, v42, vcc_lo
	v_and_b32_e32 v43, 0xf8, v43
	v_and_b32_e32 v44, 7, v42
	v_or_b32_e32 v113, v113, v42
	v_or3_b32 v41, v43, v41, v44
	v_cmp_ne_u32_e32 vcc_lo, 0, v113
	v_cndmask_b32_e32 v113, 0, v41, vcc_lo
.LBB2_2269:                             ;   in Loop: Header=BB2_1978 Depth=2
	s_or_b32 exec_lo, exec_lo, s41
.LBB2_2270:                             ;   in Loop: Header=BB2_1978 Depth=2
	s_or_b32 exec_lo, exec_lo, s40
	v_cmp_gt_i16_sdwa s40, v40, v71 src0_sel:BYTE_3 src1_sel:DWORD
	s_mov_b32 s13, 0
	s_and_saveexec_b32 s41, s40
	s_xor_b32 s40, exec_lo, s41
	s_cbranch_execz .LBB2_2572
; %bb.2271:                             ;   in Loop: Header=BB2_1978 Depth=2
	v_cmp_eq_u16_sdwa s42, v40, v80 src0_sel:BYTE_3 src1_sel:DWORD
	s_mov_b32 s13, -1
	s_and_saveexec_b32 s41, s42
; %bb.2272:                             ;   in Loop: Header=BB2_1978 Depth=2
	s_xor_b32 s13, exec_lo, -1
; %bb.2273:                             ;   in Loop: Header=BB2_1978 Depth=2
	s_or_b32 exec_lo, exec_lo, s41
	s_and_b32 s13, s13, exec_lo
	s_or_saveexec_b32 s40, s40
	v_mov_b32_e32 v41, 0x7f800001
	s_xor_b32 exec_lo, exec_lo, s40
	s_cbranch_execnz .LBB2_2573
.LBB2_2274:                             ;   in Loop: Header=BB2_1978 Depth=2
	s_or_b32 exec_lo, exec_lo, s40
	s_and_saveexec_b32 s40, s13
	s_cbranch_execz .LBB2_2276
.LBB2_2275:                             ;   in Loop: Header=BB2_1978 Depth=2
	v_bfe_u32 v41, v40, 24, 3
	v_bfe_u32 v44, v40, 27, 4
	v_ffbh_u32_e32 v42, v41
	v_cmp_eq_u32_e32 vcc_lo, 0, v44
	v_min_u32_e32 v42, 32, v42
	v_subrev_nc_u32_e32 v43, 28, v42
	v_sub_nc_u32_e32 v42, 29, v42
	v_lshlrev_b32_sdwa v43, v43, v40 dst_sel:DWORD dst_unused:UNUSED_PAD src0_sel:DWORD src1_sel:BYTE_3
	v_cndmask_b32_e32 v42, v44, v42, vcc_lo
	v_and_b32_e32 v40, 0x80000000, v40
	v_and_b32_e32 v43, 7, v43
	v_lshl_add_u32 v42, v42, 23, 0x3b800000
	v_cndmask_b32_e32 v41, v41, v43, vcc_lo
	v_lshlrev_b32_e32 v41, 20, v41
	v_or3_b32 v41, v40, v42, v41
.LBB2_2276:                             ;   in Loop: Header=BB2_1978 Depth=2
	s_or_b32 exec_lo, exec_lo, s40
	v_cmp_gt_i16_sdwa s40, v10, v71 src0_sel:BYTE_3 src1_sel:DWORD
	s_mov_b32 s13, 0
	s_and_saveexec_b32 s41, s40
	s_xor_b32 s40, exec_lo, s41
	s_cbranch_execz .LBB2_2574
; %bb.2277:                             ;   in Loop: Header=BB2_1978 Depth=2
	v_cmp_eq_u16_sdwa s42, v10, v80 src0_sel:BYTE_3 src1_sel:DWORD
	s_mov_b32 s13, -1
	s_and_saveexec_b32 s41, s42
; %bb.2278:                             ;   in Loop: Header=BB2_1978 Depth=2
	s_xor_b32 s13, exec_lo, -1
; %bb.2279:                             ;   in Loop: Header=BB2_1978 Depth=2
	s_or_b32 exec_lo, exec_lo, s41
	s_and_b32 s13, s13, exec_lo
	s_or_saveexec_b32 s40, s40
	v_mov_b32_e32 v40, 0x7f800001
	s_xor_b32 exec_lo, exec_lo, s40
	s_cbranch_execnz .LBB2_2575
.LBB2_2280:                             ;   in Loop: Header=BB2_1978 Depth=2
	s_or_b32 exec_lo, exec_lo, s40
	s_and_saveexec_b32 s40, s13
	s_cbranch_execz .LBB2_2282
.LBB2_2281:                             ;   in Loop: Header=BB2_1978 Depth=2
	v_and_b32_sdwa v40, v10, v84 dst_sel:DWORD dst_unused:UNUSED_PAD src0_sel:BYTE_3 src1_sel:DWORD
	v_bfe_u32 v44, v10, 27, 4
	v_ffbh_u32_e32 v42, v40
	v_cmp_eq_u32_e32 vcc_lo, 0, v44
	v_min_u32_e32 v42, 32, v42
	v_subrev_nc_u32_e32 v43, 28, v42
	v_sub_nc_u32_e32 v42, 29, v42
	v_lshlrev_b32_sdwa v43, v43, v10 dst_sel:DWORD dst_unused:UNUSED_PAD src0_sel:DWORD src1_sel:BYTE_3
	v_cndmask_b32_e32 v42, v44, v42, vcc_lo
	v_and_b32_e32 v10, 0x80000000, v10
	v_and_b32_e32 v43, 7, v43
	v_lshl_add_u32 v42, v42, 23, 0x3b800000
	v_cndmask_b32_e32 v40, v40, v43, vcc_lo
	v_lshlrev_b32_e32 v40, 20, v40
	v_or3_b32 v40, v10, v42, v40
.LBB2_2282:                             ;   in Loop: Header=BB2_1978 Depth=2
	s_or_b32 exec_lo, exec_lo, s40
	v_add_f32_e32 v40, v41, v40
	v_and_b32_e32 v10, 0x7f800000, v40
	v_cmp_ne_u32_e32 vcc_lo, 0x7f800000, v10
	v_mov_b32_e32 v10, 0x8000
	s_and_saveexec_b32 s40, vcc_lo
	s_cbranch_execz .LBB2_2290
; %bb.2283:                             ;   in Loop: Header=BB2_1978 Depth=2
	v_mov_b32_e32 v10, 0
	s_mov_b32 s41, exec_lo
	v_cmpx_ne_u32_e32 0, v40
	s_cbranch_execz .LBB2_2289
; %bb.2284:                             ;   in Loop: Header=BB2_1978 Depth=2
	v_bfe_u32 v10, v40, 23, 8
	v_and_b32_e32 v41, 0x7fffff, v40
	v_sub_nc_u32_e32 v42, 0x78, v10
	v_cmp_gt_u32_e32 vcc_lo, 0x79, v10
	v_or_b32_e32 v43, 0x800000, v41
	v_cndmask_b32_e32 v42, 0, v42, vcc_lo
	v_cmp_eq_u32_e32 vcc_lo, 0, v10
	v_add_nc_u32_e32 v10, 0xffffff89, v10
	v_cndmask_b32_e64 v42, v42, 0x77, vcc_lo
	v_cndmask_b32_e32 v41, v43, v41, vcc_lo
	v_cndmask_b32_e64 v10, v10, 0xffffff8a, vcc_lo
	v_lshl_add_u32 v43, 0x100000, v42, -1
	v_lshrrev_b32_e32 v44, v42, v41
	v_lshlrev_b32_e64 v46, v42, 0x80000
	v_add_nc_u32_e32 v42, v42, v10
	v_and_b32_e32 v41, v43, v41
	v_bfe_u32 v45, v44, 20, 1
	v_cmp_eq_u32_e64 s13, v41, v46
	v_add_nc_u32_e32 v43, -1, v45
	v_cndmask_b32_e64 v41, 0, v43, s13
	v_lshrrev_b32_e32 v43, 23, v44
	s_mov_b32 s13, exec_lo
	v_add_nc_u32_e32 v41, v41, v44
	v_xor_b32_e32 v43, 1, v43
	v_and_b32_e32 v10, 0xfffff, v41
	v_add_nc_u32_e32 v41, v10, v44
                                        ; implicit-def: $vgpr10
	v_cmpx_ne_u32_e64 v42, v43
	s_xor_b32 s13, exec_lo, s13
; %bb.2285:                             ;   in Loop: Header=BB2_1978 Depth=2
	v_cmp_lt_u32_e32 vcc_lo, 0xffffff, v41
	v_sub_nc_u32_e32 v10, v42, v43
	v_cndmask_b32_e64 v42, 0, 1, vcc_lo
	v_add_co_ci_u32_e64 v10, null, 0, v10, vcc_lo
	v_lshrrev_b32_e32 v41, v42, v41
; %bb.2286:                             ;   in Loop: Header=BB2_1978 Depth=2
	s_andn2_saveexec_b32 s13, s13
; %bb.2287:                             ;   in Loop: Header=BB2_1978 Depth=2
	v_bfe_u32 v10, v41, 23, 1
; %bb.2288:                             ;   in Loop: Header=BB2_1978 Depth=2
	s_or_b32 exec_lo, exec_lo, s13
	v_lshrrev_b32_e32 v41, 20, v41
	v_min_i32_e32 v42, 15, v10
	v_cmp_gt_i32_e32 vcc_lo, 16, v10
	v_and_b32_sdwa v40, v40, v80 dst_sel:DWORD dst_unused:UNUSED_PAD src0_sel:BYTE_3 src1_sel:DWORD
	v_lshlrev_b32_e32 v42, 3, v42
	v_cndmask_b32_e32 v41, 7, v41, vcc_lo
	v_and_b32_e32 v42, 0xf8, v42
	v_and_b32_e32 v43, 7, v41
	v_or_b32_e32 v10, v10, v41
	v_or3_b32 v40, v40, v42, v43
	v_cmp_ne_u32_e32 vcc_lo, 0, v10
	v_lshlrev_b32_e32 v40, 8, v40
	v_cndmask_b32_e32 v10, 0, v40, vcc_lo
.LBB2_2289:                             ;   in Loop: Header=BB2_1978 Depth=2
	s_or_b32 exec_lo, exec_lo, s41
.LBB2_2290:                             ;   in Loop: Header=BB2_1978 Depth=2
	s_or_b32 exec_lo, exec_lo, s40
	v_or_b32_e32 v40, v119, v117
	s_mov_b32 s13, 0
	v_cmp_gt_i16_sdwa s40, v40, v71 src0_sel:BYTE_0 src1_sel:DWORD
	s_and_saveexec_b32 s41, s40
	s_xor_b32 s40, exec_lo, s41
	s_cbranch_execz .LBB2_2576
; %bb.2291:                             ;   in Loop: Header=BB2_1978 Depth=2
	v_cmp_eq_u16_sdwa s42, v40, v80 src0_sel:BYTE_0 src1_sel:DWORD
	s_mov_b32 s13, -1
	s_and_saveexec_b32 s41, s42
; %bb.2292:                             ;   in Loop: Header=BB2_1978 Depth=2
	s_xor_b32 s13, exec_lo, -1
; %bb.2293:                             ;   in Loop: Header=BB2_1978 Depth=2
	s_or_b32 exec_lo, exec_lo, s41
	s_and_b32 s13, s13, exec_lo
	s_or_saveexec_b32 s40, s40
	v_mov_b32_e32 v117, 0x7f800001
	s_xor_b32 exec_lo, exec_lo, s40
	s_cbranch_execnz .LBB2_2577
.LBB2_2294:                             ;   in Loop: Header=BB2_1978 Depth=2
	s_or_b32 exec_lo, exec_lo, s40
	s_and_saveexec_b32 s40, s13
	s_cbranch_execz .LBB2_2296
.LBB2_2295:                             ;   in Loop: Header=BB2_1978 Depth=2
	v_and_b32_e32 v117, 7, v40
	v_bfe_u32 v42, v40, 3, 4
	v_lshlrev_b32_e32 v43, 24, v40
	v_ffbh_u32_e32 v119, v117
	v_cmp_eq_u32_e32 vcc_lo, 0, v42
	v_min_u32_e32 v119, 32, v119
	v_subrev_nc_u32_e32 v41, 28, v119
	v_sub_nc_u32_e32 v119, 29, v119
	v_lshlrev_b32_e32 v41, v41, v40
	v_cndmask_b32_e32 v119, v42, v119, vcc_lo
	v_and_b32_e32 v41, 7, v41
	v_lshl_add_u32 v119, v119, 23, 0x3b800000
	v_cndmask_b32_e32 v117, v117, v41, vcc_lo
	v_and_b32_e32 v41, 0x80000000, v43
	v_lshlrev_b32_e32 v117, 20, v117
	v_or3_b32 v117, v41, v119, v117
.LBB2_2296:                             ;   in Loop: Header=BB2_1978 Depth=2
	s_or_b32 exec_lo, exec_lo, s40
	v_cmp_gt_i16_sdwa s40, v11, v71 src0_sel:BYTE_0 src1_sel:DWORD
	s_mov_b32 s13, 0
	s_and_saveexec_b32 s41, s40
	s_xor_b32 s40, exec_lo, s41
	s_cbranch_execz .LBB2_2578
; %bb.2297:                             ;   in Loop: Header=BB2_1978 Depth=2
	v_cmp_eq_u16_sdwa s42, v11, v80 src0_sel:BYTE_0 src1_sel:DWORD
	s_mov_b32 s13, -1
	s_and_saveexec_b32 s41, s42
; %bb.2298:                             ;   in Loop: Header=BB2_1978 Depth=2
	s_xor_b32 s13, exec_lo, -1
; %bb.2299:                             ;   in Loop: Header=BB2_1978 Depth=2
	s_or_b32 exec_lo, exec_lo, s41
	s_and_b32 s13, s13, exec_lo
	s_or_saveexec_b32 s40, s40
	v_mov_b32_e32 v119, 0x7f800001
	s_xor_b32 exec_lo, exec_lo, s40
	s_cbranch_execnz .LBB2_2579
.LBB2_2300:                             ;   in Loop: Header=BB2_1978 Depth=2
	s_or_b32 exec_lo, exec_lo, s40
	s_and_saveexec_b32 s40, s13
	s_cbranch_execz .LBB2_2302
.LBB2_2301:                             ;   in Loop: Header=BB2_1978 Depth=2
	v_and_b32_e32 v119, 7, v11
	v_bfe_u32 v43, v11, 3, 4
	v_lshlrev_b32_e32 v44, 24, v11
	v_ffbh_u32_e32 v41, v119
	v_cmp_eq_u32_e32 vcc_lo, 0, v43
	v_min_u32_e32 v41, 32, v41
	v_subrev_nc_u32_e32 v42, 28, v41
	v_sub_nc_u32_e32 v41, 29, v41
	v_lshlrev_b32_e32 v42, v42, v11
	v_cndmask_b32_e32 v41, v43, v41, vcc_lo
	v_and_b32_e32 v42, 7, v42
	v_lshl_add_u32 v41, v41, 23, 0x3b800000
	v_cndmask_b32_e32 v119, v119, v42, vcc_lo
	v_and_b32_e32 v42, 0x80000000, v44
	v_lshlrev_b32_e32 v119, 20, v119
	v_or3_b32 v119, v42, v41, v119
.LBB2_2302:                             ;   in Loop: Header=BB2_1978 Depth=2
	s_or_b32 exec_lo, exec_lo, s40
	v_add_f32_e32 v119, v117, v119
	v_and_b32_e32 v117, 0x7f800000, v119
	v_cmp_ne_u32_e32 vcc_lo, 0x7f800000, v117
	v_mov_b32_e32 v117, 0x80
	s_and_saveexec_b32 s40, vcc_lo
	s_cbranch_execz .LBB2_2310
; %bb.2303:                             ;   in Loop: Header=BB2_1978 Depth=2
	v_mov_b32_e32 v117, 0
	s_mov_b32 s41, exec_lo
	v_cmpx_ne_u32_e32 0, v119
	s_cbranch_execz .LBB2_2309
; %bb.2304:                             ;   in Loop: Header=BB2_1978 Depth=2
	v_bfe_u32 v117, v119, 23, 8
	v_and_b32_e32 v41, 0x7fffff, v119
	v_sub_nc_u32_e32 v42, 0x78, v117
	v_cmp_gt_u32_e32 vcc_lo, 0x79, v117
	v_or_b32_e32 v43, 0x800000, v41
	v_cndmask_b32_e32 v42, 0, v42, vcc_lo
	v_cmp_eq_u32_e32 vcc_lo, 0, v117
	v_add_nc_u32_e32 v117, 0xffffff89, v117
	v_cndmask_b32_e64 v42, v42, 0x77, vcc_lo
	v_cndmask_b32_e32 v41, v43, v41, vcc_lo
	v_cndmask_b32_e64 v117, v117, 0xffffff8a, vcc_lo
	v_lshl_add_u32 v43, 0x100000, v42, -1
	v_lshrrev_b32_e32 v44, v42, v41
	v_lshlrev_b32_e64 v46, v42, 0x80000
	v_add_nc_u32_e32 v42, v42, v117
	v_and_b32_e32 v41, v43, v41
	v_bfe_u32 v45, v44, 20, 1
	v_cmp_eq_u32_e64 s13, v41, v46
	v_add_nc_u32_e32 v43, -1, v45
	v_cndmask_b32_e64 v41, 0, v43, s13
	v_lshrrev_b32_e32 v43, 23, v44
	s_mov_b32 s13, exec_lo
	v_add_nc_u32_e32 v41, v41, v44
	v_xor_b32_e32 v43, 1, v43
	v_and_b32_e32 v117, 0xfffff, v41
	v_add_nc_u32_e32 v41, v117, v44
                                        ; implicit-def: $vgpr117
	v_cmpx_ne_u32_e64 v42, v43
	s_xor_b32 s13, exec_lo, s13
; %bb.2305:                             ;   in Loop: Header=BB2_1978 Depth=2
	v_cmp_lt_u32_e32 vcc_lo, 0xffffff, v41
	v_sub_nc_u32_e32 v117, v42, v43
	v_cndmask_b32_e64 v42, 0, 1, vcc_lo
	v_add_co_ci_u32_e64 v117, null, 0, v117, vcc_lo
	v_lshrrev_b32_e32 v41, v42, v41
; %bb.2306:                             ;   in Loop: Header=BB2_1978 Depth=2
	s_andn2_saveexec_b32 s13, s13
; %bb.2307:                             ;   in Loop: Header=BB2_1978 Depth=2
	v_bfe_u32 v117, v41, 23, 1
; %bb.2308:                             ;   in Loop: Header=BB2_1978 Depth=2
	s_or_b32 exec_lo, exec_lo, s13
	v_lshrrev_b32_e32 v41, 20, v41
	v_min_i32_e32 v42, 15, v117
	v_cmp_gt_i32_e32 vcc_lo, 16, v117
	v_and_b32_sdwa v119, v119, v80 dst_sel:DWORD dst_unused:UNUSED_PAD src0_sel:BYTE_3 src1_sel:DWORD
	v_lshlrev_b32_e32 v42, 3, v42
	v_cndmask_b32_e32 v41, 7, v41, vcc_lo
	v_and_b32_e32 v42, 0xf8, v42
	v_and_b32_e32 v43, 7, v41
	v_or_b32_e32 v117, v117, v41
	v_or3_b32 v119, v42, v119, v43
	v_cmp_ne_u32_e32 vcc_lo, 0, v117
	v_cndmask_b32_e32 v117, 0, v119, vcc_lo
.LBB2_2309:                             ;   in Loop: Header=BB2_1978 Depth=2
	s_or_b32 exec_lo, exec_lo, s41
.LBB2_2310:                             ;   in Loop: Header=BB2_1978 Depth=2
	s_or_b32 exec_lo, exec_lo, s40
	v_cmp_gt_i16_sdwa s40, v40, v71 src0_sel:BYTE_1 src1_sel:DWORD
	s_mov_b32 s13, 0
	s_and_saveexec_b32 s41, s40
	s_xor_b32 s40, exec_lo, s41
	s_cbranch_execz .LBB2_2580
; %bb.2311:                             ;   in Loop: Header=BB2_1978 Depth=2
	v_cmp_eq_u16_sdwa s42, v40, v80 src0_sel:BYTE_1 src1_sel:DWORD
	s_mov_b32 s13, -1
	s_and_saveexec_b32 s41, s42
; %bb.2312:                             ;   in Loop: Header=BB2_1978 Depth=2
	s_xor_b32 s13, exec_lo, -1
; %bb.2313:                             ;   in Loop: Header=BB2_1978 Depth=2
	s_or_b32 exec_lo, exec_lo, s41
	s_and_b32 s13, s13, exec_lo
	s_or_saveexec_b32 s40, s40
	v_mov_b32_e32 v119, 0x7f800001
	s_xor_b32 exec_lo, exec_lo, s40
	s_cbranch_execnz .LBB2_2581
.LBB2_2314:                             ;   in Loop: Header=BB2_1978 Depth=2
	s_or_b32 exec_lo, exec_lo, s40
	s_and_saveexec_b32 s40, s13
	s_cbranch_execz .LBB2_2316
.LBB2_2315:                             ;   in Loop: Header=BB2_1978 Depth=2
	v_and_b32_sdwa v119, v81, v40 dst_sel:DWORD dst_unused:UNUSED_PAD src0_sel:DWORD src1_sel:BYTE_1
	v_and_b32_e32 v41, 7, v119
	v_bfe_u32 v44, v119, 3, 4
	v_ffbh_u32_e32 v42, v41
	v_cmp_eq_u32_e32 vcc_lo, 0, v44
	v_min_u32_e32 v42, 32, v42
	v_subrev_nc_u32_e32 v43, 28, v42
	v_sub_nc_u32_e32 v42, 29, v42
	v_lshlrev_b32_e32 v119, v43, v119
	v_lshlrev_b32_sdwa v43, v82, v40 dst_sel:DWORD dst_unused:UNUSED_PAD src0_sel:DWORD src1_sel:BYTE_1
	v_cndmask_b32_e32 v42, v44, v42, vcc_lo
	v_and_b32_e32 v119, 7, v119
	v_lshl_add_u32 v42, v42, 23, 0x3b800000
	v_cndmask_b32_e32 v119, v41, v119, vcc_lo
	v_and_b32_e32 v41, 0x80000000, v43
	v_lshlrev_b32_e32 v119, 20, v119
	v_or3_b32 v119, v41, v42, v119
.LBB2_2316:                             ;   in Loop: Header=BB2_1978 Depth=2
	s_or_b32 exec_lo, exec_lo, s40
	v_cmp_gt_i16_sdwa s40, v11, v71 src0_sel:BYTE_1 src1_sel:DWORD
	s_mov_b32 s13, 0
	s_and_saveexec_b32 s41, s40
	s_xor_b32 s40, exec_lo, s41
	s_cbranch_execz .LBB2_2582
; %bb.2317:                             ;   in Loop: Header=BB2_1978 Depth=2
	v_cmp_eq_u16_sdwa s42, v11, v80 src0_sel:BYTE_1 src1_sel:DWORD
	s_mov_b32 s13, -1
	s_and_saveexec_b32 s41, s42
; %bb.2318:                             ;   in Loop: Header=BB2_1978 Depth=2
	s_xor_b32 s13, exec_lo, -1
; %bb.2319:                             ;   in Loop: Header=BB2_1978 Depth=2
	s_or_b32 exec_lo, exec_lo, s41
	s_and_b32 s13, s13, exec_lo
	s_or_saveexec_b32 s40, s40
	v_mov_b32_e32 v41, 0x7f800001
	s_xor_b32 exec_lo, exec_lo, s40
	s_cbranch_execnz .LBB2_2583
.LBB2_2320:                             ;   in Loop: Header=BB2_1978 Depth=2
	s_or_b32 exec_lo, exec_lo, s40
	s_and_saveexec_b32 s40, s13
	s_cbranch_execz .LBB2_2322
.LBB2_2321:                             ;   in Loop: Header=BB2_1978 Depth=2
	v_and_b32_sdwa v41, v81, v11 dst_sel:DWORD dst_unused:UNUSED_PAD src0_sel:DWORD src1_sel:BYTE_1
	v_and_b32_e32 v42, 7, v41
	v_bfe_u32 v45, v41, 3, 4
	v_ffbh_u32_e32 v43, v42
	v_cmp_eq_u32_e32 vcc_lo, 0, v45
	v_min_u32_e32 v43, 32, v43
	v_subrev_nc_u32_e32 v44, 28, v43
	v_sub_nc_u32_e32 v43, 29, v43
	v_lshlrev_b32_e32 v41, v44, v41
	v_lshlrev_b32_sdwa v44, v82, v11 dst_sel:DWORD dst_unused:UNUSED_PAD src0_sel:DWORD src1_sel:BYTE_1
	v_cndmask_b32_e32 v43, v45, v43, vcc_lo
	v_and_b32_e32 v41, 7, v41
	v_lshl_add_u32 v43, v43, 23, 0x3b800000
	v_cndmask_b32_e32 v41, v42, v41, vcc_lo
	v_and_b32_e32 v42, 0x80000000, v44
	v_lshlrev_b32_e32 v41, 20, v41
	v_or3_b32 v41, v42, v43, v41
.LBB2_2322:                             ;   in Loop: Header=BB2_1978 Depth=2
	s_or_b32 exec_lo, exec_lo, s40
	v_add_f32_e32 v41, v119, v41
	v_and_b32_e32 v119, 0x7f800000, v41
	v_cmp_ne_u32_e32 vcc_lo, 0x7f800000, v119
	v_mov_b32_e32 v119, 0x8000
	s_and_saveexec_b32 s40, vcc_lo
	s_cbranch_execz .LBB2_2330
; %bb.2323:                             ;   in Loop: Header=BB2_1978 Depth=2
	v_mov_b32_e32 v119, 0
	s_mov_b32 s41, exec_lo
	v_cmpx_ne_u32_e32 0, v41
	s_cbranch_execz .LBB2_2329
; %bb.2324:                             ;   in Loop: Header=BB2_1978 Depth=2
	v_bfe_u32 v119, v41, 23, 8
	v_and_b32_e32 v42, 0x7fffff, v41
	v_sub_nc_u32_e32 v43, 0x78, v119
	v_cmp_gt_u32_e32 vcc_lo, 0x79, v119
	v_or_b32_e32 v44, 0x800000, v42
	v_cndmask_b32_e32 v43, 0, v43, vcc_lo
	v_cmp_eq_u32_e32 vcc_lo, 0, v119
	v_add_nc_u32_e32 v119, 0xffffff89, v119
	v_cndmask_b32_e64 v43, v43, 0x77, vcc_lo
	v_cndmask_b32_e32 v42, v44, v42, vcc_lo
	v_cndmask_b32_e64 v119, v119, 0xffffff8a, vcc_lo
	v_lshl_add_u32 v44, 0x100000, v43, -1
	v_lshrrev_b32_e32 v45, v43, v42
	v_lshlrev_b32_e64 v47, v43, 0x80000
	v_add_nc_u32_e32 v43, v43, v119
	v_and_b32_e32 v42, v44, v42
	v_bfe_u32 v46, v45, 20, 1
	v_cmp_eq_u32_e64 s13, v42, v47
	v_add_nc_u32_e32 v44, -1, v46
	v_cndmask_b32_e64 v42, 0, v44, s13
	v_lshrrev_b32_e32 v44, 23, v45
	s_mov_b32 s13, exec_lo
	v_add_nc_u32_e32 v42, v42, v45
	v_xor_b32_e32 v44, 1, v44
	v_and_b32_e32 v119, 0xfffff, v42
	v_add_nc_u32_e32 v42, v119, v45
                                        ; implicit-def: $vgpr119
	v_cmpx_ne_u32_e64 v43, v44
	s_xor_b32 s13, exec_lo, s13
; %bb.2325:                             ;   in Loop: Header=BB2_1978 Depth=2
	v_cmp_lt_u32_e32 vcc_lo, 0xffffff, v42
	v_sub_nc_u32_e32 v119, v43, v44
	v_cndmask_b32_e64 v43, 0, 1, vcc_lo
	v_add_co_ci_u32_e64 v119, null, 0, v119, vcc_lo
	v_lshrrev_b32_e32 v42, v43, v42
; %bb.2326:                             ;   in Loop: Header=BB2_1978 Depth=2
	s_andn2_saveexec_b32 s13, s13
; %bb.2327:                             ;   in Loop: Header=BB2_1978 Depth=2
	v_bfe_u32 v119, v42, 23, 1
; %bb.2328:                             ;   in Loop: Header=BB2_1978 Depth=2
	s_or_b32 exec_lo, exec_lo, s13
	v_lshrrev_b32_e32 v42, 20, v42
	v_min_i32_e32 v43, 15, v119
	v_cmp_gt_i32_e32 vcc_lo, 16, v119
	v_and_b32_sdwa v41, v41, v80 dst_sel:DWORD dst_unused:UNUSED_PAD src0_sel:BYTE_3 src1_sel:DWORD
	v_lshlrev_b32_e32 v43, 3, v43
	v_cndmask_b32_e32 v42, 7, v42, vcc_lo
	v_and_b32_e32 v43, 0xf8, v43
	v_and_b32_e32 v44, 7, v42
	v_or_b32_e32 v119, v119, v42
	v_or3_b32 v41, v41, v43, v44
	v_cmp_ne_u32_e32 vcc_lo, 0, v119
	v_lshlrev_b32_e32 v41, 8, v41
	v_cndmask_b32_e32 v119, 0, v41, vcc_lo
.LBB2_2329:                             ;   in Loop: Header=BB2_1978 Depth=2
	s_or_b32 exec_lo, exec_lo, s41
.LBB2_2330:                             ;   in Loop: Header=BB2_1978 Depth=2
	s_or_b32 exec_lo, exec_lo, s40
	v_or_b32_e32 v118, v118, v115
	s_mov_b32 s13, 0
	v_cmp_gt_i16_sdwa s40, v118, v71 src0_sel:BYTE_0 src1_sel:DWORD
	s_and_saveexec_b32 s41, s40
	s_xor_b32 s40, exec_lo, s41
	s_cbranch_execz .LBB2_2584
; %bb.2331:                             ;   in Loop: Header=BB2_1978 Depth=2
	v_cmp_eq_u16_sdwa s42, v118, v80 src0_sel:BYTE_0 src1_sel:DWORD
	s_mov_b32 s13, -1
	s_and_saveexec_b32 s41, s42
; %bb.2332:                             ;   in Loop: Header=BB2_1978 Depth=2
	s_xor_b32 s13, exec_lo, -1
; %bb.2333:                             ;   in Loop: Header=BB2_1978 Depth=2
	s_or_b32 exec_lo, exec_lo, s41
	s_and_b32 s13, s13, exec_lo
	s_or_saveexec_b32 s40, s40
	v_mov_b32_e32 v115, 0x7f800001
	s_xor_b32 exec_lo, exec_lo, s40
	s_cbranch_execnz .LBB2_2585
.LBB2_2334:                             ;   in Loop: Header=BB2_1978 Depth=2
	s_or_b32 exec_lo, exec_lo, s40
	v_lshl_or_b32 v118, v118, 16, v40
	s_and_saveexec_b32 s40, s13
	s_cbranch_execz .LBB2_2336
.LBB2_2335:                             ;   in Loop: Header=BB2_1978 Depth=2
	v_bfe_u32 v115, v118, 16, 3
	v_bfe_u32 v42, v118, 19, 4
	v_lshlrev_b32_e32 v43, 8, v118
	v_ffbh_u32_e32 v40, v115
	v_cmp_eq_u32_e32 vcc_lo, 0, v42
	v_min_u32_e32 v40, 32, v40
	v_subrev_nc_u32_e32 v41, 28, v40
	v_sub_nc_u32_e32 v40, 29, v40
	v_lshlrev_b32_sdwa v41, v41, v118 dst_sel:DWORD dst_unused:UNUSED_PAD src0_sel:DWORD src1_sel:WORD_1
	v_cndmask_b32_e32 v40, v42, v40, vcc_lo
	v_and_b32_e32 v41, 7, v41
	v_lshl_add_u32 v40, v40, 23, 0x3b800000
	v_cndmask_b32_e32 v115, v115, v41, vcc_lo
	v_and_b32_e32 v41, 0x80000000, v43
	v_lshlrev_b32_e32 v115, 20, v115
	v_or3_b32 v115, v41, v40, v115
.LBB2_2336:                             ;   in Loop: Header=BB2_1978 Depth=2
	s_or_b32 exec_lo, exec_lo, s40
	v_and_b32_sdwa v41, v11, v83 dst_sel:DWORD dst_unused:UNUSED_PAD src0_sel:WORD_1 src1_sel:DWORD
	s_mov_b32 s13, 0
	s_mov_b32 s40, exec_lo
	v_cmpx_lt_i16_e32 0x7f, v41
	s_xor_b32 s40, exec_lo, s40
	s_cbranch_execz .LBB2_2586
; %bb.2337:                             ;   in Loop: Header=BB2_1978 Depth=2
	s_mov_b32 s13, -1
	s_mov_b32 s41, exec_lo
	v_cmpx_eq_u16_e32 0x80, v41
; %bb.2338:                             ;   in Loop: Header=BB2_1978 Depth=2
	s_xor_b32 s13, exec_lo, -1
; %bb.2339:                             ;   in Loop: Header=BB2_1978 Depth=2
	s_or_b32 exec_lo, exec_lo, s41
	s_and_b32 s13, s13, exec_lo
                                        ; implicit-def: $vgpr41
	s_or_saveexec_b32 s40, s40
	v_mov_b32_e32 v40, 0x7f800001
	s_xor_b32 exec_lo, exec_lo, s40
	s_cbranch_execnz .LBB2_2587
.LBB2_2340:                             ;   in Loop: Header=BB2_1978 Depth=2
	s_or_b32 exec_lo, exec_lo, s40
	s_and_saveexec_b32 s40, s13
	s_cbranch_execz .LBB2_2342
.LBB2_2341:                             ;   in Loop: Header=BB2_1978 Depth=2
	v_and_b32_sdwa v40, v11, v84 dst_sel:DWORD dst_unused:UNUSED_PAD src0_sel:WORD_1 src1_sel:DWORD
	v_bfe_u32 v43, v11, 19, 4
	v_lshlrev_b32_sdwa v44, v82, v11 dst_sel:DWORD dst_unused:UNUSED_PAD src0_sel:DWORD src1_sel:WORD_1
	v_ffbh_u32_e32 v41, v40
	v_cmp_eq_u32_e32 vcc_lo, 0, v43
	v_min_u32_e32 v41, 32, v41
	v_subrev_nc_u32_e32 v42, 28, v41
	v_sub_nc_u32_e32 v41, 29, v41
	v_lshlrev_b32_sdwa v42, v42, v11 dst_sel:DWORD dst_unused:UNUSED_PAD src0_sel:DWORD src1_sel:WORD_1
	v_cndmask_b32_e32 v41, v43, v41, vcc_lo
	v_and_b32_e32 v42, 7, v42
	v_lshl_add_u32 v41, v41, 23, 0x3b800000
	v_cndmask_b32_e32 v40, v40, v42, vcc_lo
	v_and_b32_e32 v42, 0x80000000, v44
	v_lshlrev_b32_e32 v40, 20, v40
	v_or3_b32 v40, v42, v41, v40
.LBB2_2342:                             ;   in Loop: Header=BB2_1978 Depth=2
	s_or_b32 exec_lo, exec_lo, s40
	v_add_f32_e32 v40, v115, v40
	v_and_b32_e32 v115, 0x7f800000, v40
	v_cmp_ne_u32_e32 vcc_lo, 0x7f800000, v115
	v_mov_b32_e32 v115, 0x80
	s_and_saveexec_b32 s40, vcc_lo
	s_cbranch_execz .LBB2_2350
; %bb.2343:                             ;   in Loop: Header=BB2_1978 Depth=2
	v_mov_b32_e32 v115, 0
	s_mov_b32 s41, exec_lo
	v_cmpx_ne_u32_e32 0, v40
	s_cbranch_execz .LBB2_2349
; %bb.2344:                             ;   in Loop: Header=BB2_1978 Depth=2
	v_bfe_u32 v115, v40, 23, 8
	v_and_b32_e32 v41, 0x7fffff, v40
	v_sub_nc_u32_e32 v42, 0x78, v115
	v_cmp_gt_u32_e32 vcc_lo, 0x79, v115
	v_or_b32_e32 v43, 0x800000, v41
	v_cndmask_b32_e32 v42, 0, v42, vcc_lo
	v_cmp_eq_u32_e32 vcc_lo, 0, v115
	v_add_nc_u32_e32 v115, 0xffffff89, v115
	v_cndmask_b32_e64 v42, v42, 0x77, vcc_lo
	v_cndmask_b32_e32 v41, v43, v41, vcc_lo
	v_cndmask_b32_e64 v115, v115, 0xffffff8a, vcc_lo
	v_lshl_add_u32 v43, 0x100000, v42, -1
	v_lshrrev_b32_e32 v44, v42, v41
	v_lshlrev_b32_e64 v46, v42, 0x80000
	v_add_nc_u32_e32 v42, v42, v115
	v_and_b32_e32 v41, v43, v41
	v_bfe_u32 v45, v44, 20, 1
	v_cmp_eq_u32_e64 s13, v41, v46
	v_add_nc_u32_e32 v43, -1, v45
	v_cndmask_b32_e64 v41, 0, v43, s13
	v_lshrrev_b32_e32 v43, 23, v44
	s_mov_b32 s13, exec_lo
	v_add_nc_u32_e32 v41, v41, v44
	v_xor_b32_e32 v43, 1, v43
	v_and_b32_e32 v115, 0xfffff, v41
	v_add_nc_u32_e32 v41, v115, v44
                                        ; implicit-def: $vgpr115
	v_cmpx_ne_u32_e64 v42, v43
	s_xor_b32 s13, exec_lo, s13
; %bb.2345:                             ;   in Loop: Header=BB2_1978 Depth=2
	v_cmp_lt_u32_e32 vcc_lo, 0xffffff, v41
	v_sub_nc_u32_e32 v115, v42, v43
	v_cndmask_b32_e64 v42, 0, 1, vcc_lo
	v_add_co_ci_u32_e64 v115, null, 0, v115, vcc_lo
	v_lshrrev_b32_e32 v41, v42, v41
; %bb.2346:                             ;   in Loop: Header=BB2_1978 Depth=2
	s_andn2_saveexec_b32 s13, s13
; %bb.2347:                             ;   in Loop: Header=BB2_1978 Depth=2
	v_bfe_u32 v115, v41, 23, 1
; %bb.2348:                             ;   in Loop: Header=BB2_1978 Depth=2
	s_or_b32 exec_lo, exec_lo, s13
	v_lshrrev_b32_e32 v41, 20, v41
	v_min_i32_e32 v42, 15, v115
	v_cmp_gt_i32_e32 vcc_lo, 16, v115
	v_and_b32_sdwa v40, v40, v80 dst_sel:DWORD dst_unused:UNUSED_PAD src0_sel:BYTE_3 src1_sel:DWORD
	v_lshlrev_b32_e32 v42, 3, v42
	v_cndmask_b32_e32 v41, 7, v41, vcc_lo
	v_and_b32_e32 v42, 0xf8, v42
	v_and_b32_e32 v43, 7, v41
	v_or_b32_e32 v115, v115, v41
	v_or3_b32 v40, v42, v40, v43
	v_cmp_ne_u32_e32 vcc_lo, 0, v115
	v_cndmask_b32_e32 v115, 0, v40, vcc_lo
.LBB2_2349:                             ;   in Loop: Header=BB2_1978 Depth=2
	s_or_b32 exec_lo, exec_lo, s41
.LBB2_2350:                             ;   in Loop: Header=BB2_1978 Depth=2
	s_or_b32 exec_lo, exec_lo, s40
	v_cmp_gt_i16_sdwa s40, v118, v71 src0_sel:BYTE_3 src1_sel:DWORD
	s_mov_b32 s13, 0
	s_and_saveexec_b32 s41, s40
	s_xor_b32 s40, exec_lo, s41
	s_cbranch_execz .LBB2_2588
; %bb.2351:                             ;   in Loop: Header=BB2_1978 Depth=2
	v_cmp_eq_u16_sdwa s42, v118, v80 src0_sel:BYTE_3 src1_sel:DWORD
	s_mov_b32 s13, -1
	s_and_saveexec_b32 s41, s42
; %bb.2352:                             ;   in Loop: Header=BB2_1978 Depth=2
	s_xor_b32 s13, exec_lo, -1
; %bb.2353:                             ;   in Loop: Header=BB2_1978 Depth=2
	s_or_b32 exec_lo, exec_lo, s41
	s_and_b32 s13, s13, exec_lo
	s_or_saveexec_b32 s40, s40
	v_mov_b32_e32 v40, 0x7f800001
	s_xor_b32 exec_lo, exec_lo, s40
	s_cbranch_execnz .LBB2_2589
.LBB2_2354:                             ;   in Loop: Header=BB2_1978 Depth=2
	s_or_b32 exec_lo, exec_lo, s40
	s_and_saveexec_b32 s40, s13
	s_cbranch_execz .LBB2_2356
.LBB2_2355:                             ;   in Loop: Header=BB2_1978 Depth=2
	v_bfe_u32 v40, v118, 24, 3
	v_bfe_u32 v43, v118, 27, 4
	v_ffbh_u32_e32 v41, v40
	v_cmp_eq_u32_e32 vcc_lo, 0, v43
	v_min_u32_e32 v41, 32, v41
	v_subrev_nc_u32_e32 v42, 28, v41
	v_sub_nc_u32_e32 v41, 29, v41
	v_lshlrev_b32_sdwa v42, v42, v118 dst_sel:DWORD dst_unused:UNUSED_PAD src0_sel:DWORD src1_sel:BYTE_3
	v_cndmask_b32_e32 v41, v43, v41, vcc_lo
	v_and_b32_e32 v118, 0x80000000, v118
	v_and_b32_e32 v42, 7, v42
	v_lshl_add_u32 v41, v41, 23, 0x3b800000
	v_cndmask_b32_e32 v40, v40, v42, vcc_lo
	v_lshlrev_b32_e32 v40, 20, v40
	v_or3_b32 v40, v118, v41, v40
.LBB2_2356:                             ;   in Loop: Header=BB2_1978 Depth=2
	s_or_b32 exec_lo, exec_lo, s40
	v_cmp_gt_i16_sdwa s40, v11, v71 src0_sel:BYTE_3 src1_sel:DWORD
	s_mov_b32 s13, 0
	s_and_saveexec_b32 s41, s40
	s_xor_b32 s40, exec_lo, s41
	s_cbranch_execz .LBB2_2590
; %bb.2357:                             ;   in Loop: Header=BB2_1978 Depth=2
	v_cmp_eq_u16_sdwa s42, v11, v80 src0_sel:BYTE_3 src1_sel:DWORD
	s_mov_b32 s13, -1
	s_and_saveexec_b32 s41, s42
; %bb.2358:                             ;   in Loop: Header=BB2_1978 Depth=2
	s_xor_b32 s13, exec_lo, -1
; %bb.2359:                             ;   in Loop: Header=BB2_1978 Depth=2
	s_or_b32 exec_lo, exec_lo, s41
	s_and_b32 s13, s13, exec_lo
	s_or_saveexec_b32 s40, s40
	v_mov_b32_e32 v118, 0x7f800001
	s_xor_b32 exec_lo, exec_lo, s40
	s_cbranch_execnz .LBB2_2591
.LBB2_2360:                             ;   in Loop: Header=BB2_1978 Depth=2
	s_or_b32 exec_lo, exec_lo, s40
	s_and_saveexec_b32 s40, s13
	s_cbranch_execz .LBB2_2362
.LBB2_2361:                             ;   in Loop: Header=BB2_1978 Depth=2
	v_and_b32_sdwa v118, v11, v84 dst_sel:DWORD dst_unused:UNUSED_PAD src0_sel:BYTE_3 src1_sel:DWORD
	v_bfe_u32 v43, v11, 27, 4
	v_ffbh_u32_e32 v41, v118
	v_cmp_eq_u32_e32 vcc_lo, 0, v43
	v_min_u32_e32 v41, 32, v41
	v_subrev_nc_u32_e32 v42, 28, v41
	v_sub_nc_u32_e32 v41, 29, v41
	v_lshlrev_b32_sdwa v42, v42, v11 dst_sel:DWORD dst_unused:UNUSED_PAD src0_sel:DWORD src1_sel:BYTE_3
	v_cndmask_b32_e32 v41, v43, v41, vcc_lo
	v_and_b32_e32 v11, 0x80000000, v11
	v_and_b32_e32 v42, 7, v42
	v_lshl_add_u32 v41, v41, 23, 0x3b800000
	v_cndmask_b32_e32 v118, v118, v42, vcc_lo
	v_lshlrev_b32_e32 v118, 20, v118
	v_or3_b32 v118, v11, v41, v118
.LBB2_2362:                             ;   in Loop: Header=BB2_1978 Depth=2
	s_or_b32 exec_lo, exec_lo, s40
	v_add_f32_e32 v118, v40, v118
	v_and_b32_e32 v11, 0x7f800000, v118
	v_cmp_ne_u32_e32 vcc_lo, 0x7f800000, v11
	v_mov_b32_e32 v11, 0x8000
	s_and_saveexec_b32 s40, vcc_lo
	s_cbranch_execz .LBB2_2370
; %bb.2363:                             ;   in Loop: Header=BB2_1978 Depth=2
	v_mov_b32_e32 v11, 0
	s_mov_b32 s41, exec_lo
	v_cmpx_ne_u32_e32 0, v118
	s_cbranch_execz .LBB2_2369
; %bb.2364:                             ;   in Loop: Header=BB2_1978 Depth=2
	v_bfe_u32 v11, v118, 23, 8
	v_and_b32_e32 v40, 0x7fffff, v118
	v_sub_nc_u32_e32 v41, 0x78, v11
	v_cmp_gt_u32_e32 vcc_lo, 0x79, v11
	v_or_b32_e32 v42, 0x800000, v40
	v_cndmask_b32_e32 v41, 0, v41, vcc_lo
	v_cmp_eq_u32_e32 vcc_lo, 0, v11
	v_add_nc_u32_e32 v11, 0xffffff89, v11
	v_cndmask_b32_e64 v41, v41, 0x77, vcc_lo
	v_cndmask_b32_e32 v40, v42, v40, vcc_lo
	v_cndmask_b32_e64 v11, v11, 0xffffff8a, vcc_lo
	v_lshl_add_u32 v42, 0x100000, v41, -1
	v_lshrrev_b32_e32 v43, v41, v40
	v_lshlrev_b32_e64 v45, v41, 0x80000
	v_add_nc_u32_e32 v41, v41, v11
	v_and_b32_e32 v40, v42, v40
	v_bfe_u32 v44, v43, 20, 1
	v_cmp_eq_u32_e64 s13, v40, v45
	v_add_nc_u32_e32 v42, -1, v44
	v_cndmask_b32_e64 v40, 0, v42, s13
	v_lshrrev_b32_e32 v42, 23, v43
	s_mov_b32 s13, exec_lo
	v_add_nc_u32_e32 v40, v40, v43
	v_xor_b32_e32 v42, 1, v42
	v_and_b32_e32 v11, 0xfffff, v40
	v_add_nc_u32_e32 v40, v11, v43
                                        ; implicit-def: $vgpr11
	v_cmpx_ne_u32_e64 v41, v42
	s_xor_b32 s13, exec_lo, s13
; %bb.2365:                             ;   in Loop: Header=BB2_1978 Depth=2
	v_cmp_lt_u32_e32 vcc_lo, 0xffffff, v40
	v_sub_nc_u32_e32 v11, v41, v42
	v_cndmask_b32_e64 v41, 0, 1, vcc_lo
	v_add_co_ci_u32_e64 v11, null, 0, v11, vcc_lo
	v_lshrrev_b32_e32 v40, v41, v40
; %bb.2366:                             ;   in Loop: Header=BB2_1978 Depth=2
	s_andn2_saveexec_b32 s13, s13
; %bb.2367:                             ;   in Loop: Header=BB2_1978 Depth=2
	v_bfe_u32 v11, v40, 23, 1
; %bb.2368:                             ;   in Loop: Header=BB2_1978 Depth=2
	s_or_b32 exec_lo, exec_lo, s13
	v_lshrrev_b32_e32 v40, 20, v40
	v_min_i32_e32 v41, 15, v11
	v_cmp_gt_i32_e32 vcc_lo, 16, v11
	v_and_b32_sdwa v118, v118, v80 dst_sel:DWORD dst_unused:UNUSED_PAD src0_sel:BYTE_3 src1_sel:DWORD
	v_lshlrev_b32_e32 v41, 3, v41
	v_cndmask_b32_e32 v40, 7, v40, vcc_lo
	v_and_b32_e32 v41, 0xf8, v41
	v_and_b32_e32 v42, 7, v40
	v_or_b32_e32 v11, v11, v40
	v_or3_b32 v118, v118, v41, v42
	v_cmp_ne_u32_e32 vcc_lo, 0, v11
	v_lshlrev_b32_e32 v118, 8, v118
	v_cndmask_b32_e32 v11, 0, v118, vcc_lo
.LBB2_2369:                             ;   in Loop: Header=BB2_1978 Depth=2
	s_or_b32 exec_lo, exec_lo, s41
.LBB2_2370:                             ;   in Loop: Header=BB2_1978 Depth=2
	s_or_b32 exec_lo, exec_lo, s40
	v_or_b32_e32 v118, v116, v112
	s_mov_b32 s13, 0
	v_cmp_gt_i16_sdwa s40, v118, v71 src0_sel:BYTE_0 src1_sel:DWORD
	s_and_saveexec_b32 s41, s40
	s_xor_b32 s40, exec_lo, s41
	s_cbranch_execz .LBB2_2592
; %bb.2371:                             ;   in Loop: Header=BB2_1978 Depth=2
	v_cmp_eq_u16_sdwa s42, v118, v80 src0_sel:BYTE_0 src1_sel:DWORD
	s_mov_b32 s13, -1
	s_and_saveexec_b32 s41, s42
; %bb.2372:                             ;   in Loop: Header=BB2_1978 Depth=2
	s_xor_b32 s13, exec_lo, -1
; %bb.2373:                             ;   in Loop: Header=BB2_1978 Depth=2
	s_or_b32 exec_lo, exec_lo, s41
	s_and_b32 s13, s13, exec_lo
	s_or_saveexec_b32 s40, s40
	v_mov_b32_e32 v112, 0x7f800001
	s_xor_b32 exec_lo, exec_lo, s40
	s_cbranch_execnz .LBB2_2593
.LBB2_2374:                             ;   in Loop: Header=BB2_1978 Depth=2
	s_or_b32 exec_lo, exec_lo, s40
	s_and_saveexec_b32 s40, s13
	s_cbranch_execz .LBB2_2376
.LBB2_2375:                             ;   in Loop: Header=BB2_1978 Depth=2
	v_and_b32_e32 v112, 7, v118
	v_bfe_u32 v41, v118, 3, 4
	v_lshlrev_b32_e32 v42, 24, v118
	v_ffbh_u32_e32 v116, v112
	v_cmp_eq_u32_e32 vcc_lo, 0, v41
	v_min_u32_e32 v116, 32, v116
	v_subrev_nc_u32_e32 v40, 28, v116
	v_sub_nc_u32_e32 v116, 29, v116
	v_lshlrev_b32_e32 v40, v40, v118
	v_cndmask_b32_e32 v116, v41, v116, vcc_lo
	v_and_b32_e32 v40, 7, v40
	v_lshl_add_u32 v116, v116, 23, 0x3b800000
	v_cndmask_b32_e32 v112, v112, v40, vcc_lo
	v_and_b32_e32 v40, 0x80000000, v42
	v_lshlrev_b32_e32 v112, 20, v112
	v_or3_b32 v112, v40, v116, v112
.LBB2_2376:                             ;   in Loop: Header=BB2_1978 Depth=2
	s_or_b32 exec_lo, exec_lo, s40
	v_cmp_gt_i16_sdwa s40, v12, v71 src0_sel:BYTE_0 src1_sel:DWORD
	s_mov_b32 s13, 0
	s_and_saveexec_b32 s41, s40
	s_xor_b32 s40, exec_lo, s41
	s_cbranch_execz .LBB2_2594
; %bb.2377:                             ;   in Loop: Header=BB2_1978 Depth=2
	v_cmp_eq_u16_sdwa s42, v12, v80 src0_sel:BYTE_0 src1_sel:DWORD
	s_mov_b32 s13, -1
	s_and_saveexec_b32 s41, s42
; %bb.2378:                             ;   in Loop: Header=BB2_1978 Depth=2
	s_xor_b32 s13, exec_lo, -1
; %bb.2379:                             ;   in Loop: Header=BB2_1978 Depth=2
	s_or_b32 exec_lo, exec_lo, s41
	s_and_b32 s13, s13, exec_lo
	s_or_saveexec_b32 s40, s40
	v_mov_b32_e32 v116, 0x7f800001
	s_xor_b32 exec_lo, exec_lo, s40
	s_cbranch_execnz .LBB2_2595
.LBB2_2380:                             ;   in Loop: Header=BB2_1978 Depth=2
	s_or_b32 exec_lo, exec_lo, s40
	s_and_saveexec_b32 s40, s13
	s_cbranch_execz .LBB2_2382
.LBB2_2381:                             ;   in Loop: Header=BB2_1978 Depth=2
	v_and_b32_e32 v116, 7, v12
	v_bfe_u32 v42, v12, 3, 4
	v_lshlrev_b32_e32 v43, 24, v12
	v_ffbh_u32_e32 v40, v116
	v_cmp_eq_u32_e32 vcc_lo, 0, v42
	v_min_u32_e32 v40, 32, v40
	v_subrev_nc_u32_e32 v41, 28, v40
	v_sub_nc_u32_e32 v40, 29, v40
	v_lshlrev_b32_e32 v41, v41, v12
	v_cndmask_b32_e32 v40, v42, v40, vcc_lo
	v_and_b32_e32 v41, 7, v41
	v_lshl_add_u32 v40, v40, 23, 0x3b800000
	v_cndmask_b32_e32 v116, v116, v41, vcc_lo
	v_and_b32_e32 v41, 0x80000000, v43
	v_lshlrev_b32_e32 v116, 20, v116
	v_or3_b32 v116, v41, v40, v116
.LBB2_2382:                             ;   in Loop: Header=BB2_1978 Depth=2
	s_or_b32 exec_lo, exec_lo, s40
	v_add_f32_e32 v116, v112, v116
	v_and_b32_e32 v112, 0x7f800000, v116
	v_cmp_ne_u32_e32 vcc_lo, 0x7f800000, v112
	v_mov_b32_e32 v112, 0x80
	s_and_saveexec_b32 s40, vcc_lo
	s_cbranch_execz .LBB2_2390
; %bb.2383:                             ;   in Loop: Header=BB2_1978 Depth=2
	v_mov_b32_e32 v112, 0
	s_mov_b32 s41, exec_lo
	v_cmpx_ne_u32_e32 0, v116
	s_cbranch_execz .LBB2_2389
; %bb.2384:                             ;   in Loop: Header=BB2_1978 Depth=2
	v_bfe_u32 v112, v116, 23, 8
	v_and_b32_e32 v40, 0x7fffff, v116
	v_sub_nc_u32_e32 v41, 0x78, v112
	v_cmp_gt_u32_e32 vcc_lo, 0x79, v112
	v_or_b32_e32 v42, 0x800000, v40
	v_cndmask_b32_e32 v41, 0, v41, vcc_lo
	v_cmp_eq_u32_e32 vcc_lo, 0, v112
	v_add_nc_u32_e32 v112, 0xffffff89, v112
	v_cndmask_b32_e64 v41, v41, 0x77, vcc_lo
	v_cndmask_b32_e32 v40, v42, v40, vcc_lo
	v_cndmask_b32_e64 v112, v112, 0xffffff8a, vcc_lo
	v_lshl_add_u32 v42, 0x100000, v41, -1
	v_lshrrev_b32_e32 v43, v41, v40
	v_lshlrev_b32_e64 v45, v41, 0x80000
	v_add_nc_u32_e32 v41, v41, v112
	v_and_b32_e32 v40, v42, v40
	v_bfe_u32 v44, v43, 20, 1
	v_cmp_eq_u32_e64 s13, v40, v45
	v_add_nc_u32_e32 v42, -1, v44
	v_cndmask_b32_e64 v40, 0, v42, s13
	v_lshrrev_b32_e32 v42, 23, v43
	s_mov_b32 s13, exec_lo
	v_add_nc_u32_e32 v40, v40, v43
	v_xor_b32_e32 v42, 1, v42
	v_and_b32_e32 v112, 0xfffff, v40
	v_add_nc_u32_e32 v40, v112, v43
                                        ; implicit-def: $vgpr112
	v_cmpx_ne_u32_e64 v41, v42
	s_xor_b32 s13, exec_lo, s13
; %bb.2385:                             ;   in Loop: Header=BB2_1978 Depth=2
	v_cmp_lt_u32_e32 vcc_lo, 0xffffff, v40
	v_sub_nc_u32_e32 v112, v41, v42
	v_cndmask_b32_e64 v41, 0, 1, vcc_lo
	v_add_co_ci_u32_e64 v112, null, 0, v112, vcc_lo
	v_lshrrev_b32_e32 v40, v41, v40
; %bb.2386:                             ;   in Loop: Header=BB2_1978 Depth=2
	s_andn2_saveexec_b32 s13, s13
; %bb.2387:                             ;   in Loop: Header=BB2_1978 Depth=2
	v_bfe_u32 v112, v40, 23, 1
; %bb.2388:                             ;   in Loop: Header=BB2_1978 Depth=2
	s_or_b32 exec_lo, exec_lo, s13
	v_lshrrev_b32_e32 v40, 20, v40
	v_min_i32_e32 v41, 15, v112
	v_cmp_gt_i32_e32 vcc_lo, 16, v112
	v_and_b32_sdwa v116, v116, v80 dst_sel:DWORD dst_unused:UNUSED_PAD src0_sel:BYTE_3 src1_sel:DWORD
	v_lshlrev_b32_e32 v41, 3, v41
	v_cndmask_b32_e32 v40, 7, v40, vcc_lo
	v_and_b32_e32 v41, 0xf8, v41
	v_and_b32_e32 v42, 7, v40
	v_or_b32_e32 v112, v112, v40
	v_or3_b32 v116, v41, v116, v42
	v_cmp_ne_u32_e32 vcc_lo, 0, v112
	v_cndmask_b32_e32 v112, 0, v116, vcc_lo
.LBB2_2389:                             ;   in Loop: Header=BB2_1978 Depth=2
	s_or_b32 exec_lo, exec_lo, s41
.LBB2_2390:                             ;   in Loop: Header=BB2_1978 Depth=2
	s_or_b32 exec_lo, exec_lo, s40
	v_cmp_gt_i16_sdwa s40, v118, v71 src0_sel:BYTE_1 src1_sel:DWORD
	s_mov_b32 s13, 0
	s_and_saveexec_b32 s41, s40
	s_xor_b32 s40, exec_lo, s41
	s_cbranch_execz .LBB2_2596
; %bb.2391:                             ;   in Loop: Header=BB2_1978 Depth=2
	v_cmp_eq_u16_sdwa s42, v118, v80 src0_sel:BYTE_1 src1_sel:DWORD
	s_mov_b32 s13, -1
	s_and_saveexec_b32 s41, s42
; %bb.2392:                             ;   in Loop: Header=BB2_1978 Depth=2
	s_xor_b32 s13, exec_lo, -1
; %bb.2393:                             ;   in Loop: Header=BB2_1978 Depth=2
	s_or_b32 exec_lo, exec_lo, s41
	s_and_b32 s13, s13, exec_lo
	s_or_saveexec_b32 s40, s40
	v_mov_b32_e32 v116, 0x7f800001
	s_xor_b32 exec_lo, exec_lo, s40
	s_cbranch_execnz .LBB2_2597
.LBB2_2394:                             ;   in Loop: Header=BB2_1978 Depth=2
	s_or_b32 exec_lo, exec_lo, s40
	s_and_saveexec_b32 s40, s13
	s_cbranch_execz .LBB2_2396
.LBB2_2395:                             ;   in Loop: Header=BB2_1978 Depth=2
	v_and_b32_sdwa v116, v81, v118 dst_sel:DWORD dst_unused:UNUSED_PAD src0_sel:DWORD src1_sel:BYTE_1
	v_and_b32_e32 v40, 7, v116
	v_bfe_u32 v43, v116, 3, 4
	v_ffbh_u32_e32 v41, v40
	v_cmp_eq_u32_e32 vcc_lo, 0, v43
	v_min_u32_e32 v41, 32, v41
	v_subrev_nc_u32_e32 v42, 28, v41
	v_sub_nc_u32_e32 v41, 29, v41
	v_lshlrev_b32_e32 v116, v42, v116
	v_lshlrev_b32_sdwa v42, v82, v118 dst_sel:DWORD dst_unused:UNUSED_PAD src0_sel:DWORD src1_sel:BYTE_1
	v_cndmask_b32_e32 v41, v43, v41, vcc_lo
	v_and_b32_e32 v116, 7, v116
	v_lshl_add_u32 v41, v41, 23, 0x3b800000
	v_cndmask_b32_e32 v116, v40, v116, vcc_lo
	v_and_b32_e32 v40, 0x80000000, v42
	v_lshlrev_b32_e32 v116, 20, v116
	v_or3_b32 v116, v40, v41, v116
.LBB2_2396:                             ;   in Loop: Header=BB2_1978 Depth=2
	s_or_b32 exec_lo, exec_lo, s40
	v_cmp_gt_i16_sdwa s40, v12, v71 src0_sel:BYTE_1 src1_sel:DWORD
	s_mov_b32 s13, 0
	s_and_saveexec_b32 s41, s40
	s_xor_b32 s40, exec_lo, s41
	s_cbranch_execz .LBB2_2598
; %bb.2397:                             ;   in Loop: Header=BB2_1978 Depth=2
	v_cmp_eq_u16_sdwa s42, v12, v80 src0_sel:BYTE_1 src1_sel:DWORD
	s_mov_b32 s13, -1
	s_and_saveexec_b32 s41, s42
; %bb.2398:                             ;   in Loop: Header=BB2_1978 Depth=2
	s_xor_b32 s13, exec_lo, -1
; %bb.2399:                             ;   in Loop: Header=BB2_1978 Depth=2
	s_or_b32 exec_lo, exec_lo, s41
	s_and_b32 s13, s13, exec_lo
	s_or_saveexec_b32 s40, s40
	v_mov_b32_e32 v40, 0x7f800001
	s_xor_b32 exec_lo, exec_lo, s40
	s_cbranch_execnz .LBB2_2599
.LBB2_2400:                             ;   in Loop: Header=BB2_1978 Depth=2
	s_or_b32 exec_lo, exec_lo, s40
	s_and_saveexec_b32 s40, s13
	s_cbranch_execz .LBB2_2402
.LBB2_2401:                             ;   in Loop: Header=BB2_1978 Depth=2
	v_and_b32_sdwa v40, v81, v12 dst_sel:DWORD dst_unused:UNUSED_PAD src0_sel:DWORD src1_sel:BYTE_1
	v_and_b32_e32 v41, 7, v40
	v_bfe_u32 v44, v40, 3, 4
	v_ffbh_u32_e32 v42, v41
	v_cmp_eq_u32_e32 vcc_lo, 0, v44
	v_min_u32_e32 v42, 32, v42
	v_subrev_nc_u32_e32 v43, 28, v42
	v_sub_nc_u32_e32 v42, 29, v42
	v_lshlrev_b32_e32 v40, v43, v40
	v_lshlrev_b32_sdwa v43, v82, v12 dst_sel:DWORD dst_unused:UNUSED_PAD src0_sel:DWORD src1_sel:BYTE_1
	v_cndmask_b32_e32 v42, v44, v42, vcc_lo
	v_and_b32_e32 v40, 7, v40
	v_lshl_add_u32 v42, v42, 23, 0x3b800000
	v_cndmask_b32_e32 v40, v41, v40, vcc_lo
	v_and_b32_e32 v41, 0x80000000, v43
	v_lshlrev_b32_e32 v40, 20, v40
	v_or3_b32 v40, v41, v42, v40
.LBB2_2402:                             ;   in Loop: Header=BB2_1978 Depth=2
	s_or_b32 exec_lo, exec_lo, s40
	v_add_f32_e32 v40, v116, v40
	v_and_b32_e32 v116, 0x7f800000, v40
	v_cmp_ne_u32_e32 vcc_lo, 0x7f800000, v116
	v_mov_b32_e32 v116, 0x8000
	s_and_saveexec_b32 s40, vcc_lo
	s_cbranch_execz .LBB2_2410
; %bb.2403:                             ;   in Loop: Header=BB2_1978 Depth=2
	v_mov_b32_e32 v116, 0
	s_mov_b32 s41, exec_lo
	v_cmpx_ne_u32_e32 0, v40
	s_cbranch_execz .LBB2_2409
; %bb.2404:                             ;   in Loop: Header=BB2_1978 Depth=2
	v_bfe_u32 v116, v40, 23, 8
	v_and_b32_e32 v41, 0x7fffff, v40
	v_sub_nc_u32_e32 v42, 0x78, v116
	v_cmp_gt_u32_e32 vcc_lo, 0x79, v116
	v_or_b32_e32 v43, 0x800000, v41
	v_cndmask_b32_e32 v42, 0, v42, vcc_lo
	v_cmp_eq_u32_e32 vcc_lo, 0, v116
	v_add_nc_u32_e32 v116, 0xffffff89, v116
	v_cndmask_b32_e64 v42, v42, 0x77, vcc_lo
	v_cndmask_b32_e32 v41, v43, v41, vcc_lo
	v_cndmask_b32_e64 v116, v116, 0xffffff8a, vcc_lo
	v_lshl_add_u32 v43, 0x100000, v42, -1
	v_lshrrev_b32_e32 v44, v42, v41
	v_lshlrev_b32_e64 v46, v42, 0x80000
	v_add_nc_u32_e32 v42, v42, v116
	v_and_b32_e32 v41, v43, v41
	v_bfe_u32 v45, v44, 20, 1
	v_cmp_eq_u32_e64 s13, v41, v46
	v_add_nc_u32_e32 v43, -1, v45
	v_cndmask_b32_e64 v41, 0, v43, s13
	v_lshrrev_b32_e32 v43, 23, v44
	s_mov_b32 s13, exec_lo
	v_add_nc_u32_e32 v41, v41, v44
	v_xor_b32_e32 v43, 1, v43
	v_and_b32_e32 v116, 0xfffff, v41
	v_add_nc_u32_e32 v41, v116, v44
                                        ; implicit-def: $vgpr116
	v_cmpx_ne_u32_e64 v42, v43
	s_xor_b32 s13, exec_lo, s13
; %bb.2405:                             ;   in Loop: Header=BB2_1978 Depth=2
	v_cmp_lt_u32_e32 vcc_lo, 0xffffff, v41
	v_sub_nc_u32_e32 v116, v42, v43
	v_cndmask_b32_e64 v42, 0, 1, vcc_lo
	v_add_co_ci_u32_e64 v116, null, 0, v116, vcc_lo
	v_lshrrev_b32_e32 v41, v42, v41
; %bb.2406:                             ;   in Loop: Header=BB2_1978 Depth=2
	s_andn2_saveexec_b32 s13, s13
; %bb.2407:                             ;   in Loop: Header=BB2_1978 Depth=2
	v_bfe_u32 v116, v41, 23, 1
; %bb.2408:                             ;   in Loop: Header=BB2_1978 Depth=2
	s_or_b32 exec_lo, exec_lo, s13
	v_lshrrev_b32_e32 v41, 20, v41
	v_min_i32_e32 v42, 15, v116
	v_cmp_gt_i32_e32 vcc_lo, 16, v116
	v_and_b32_sdwa v40, v40, v80 dst_sel:DWORD dst_unused:UNUSED_PAD src0_sel:BYTE_3 src1_sel:DWORD
	v_lshlrev_b32_e32 v42, 3, v42
	v_cndmask_b32_e32 v41, 7, v41, vcc_lo
	v_and_b32_e32 v42, 0xf8, v42
	v_and_b32_e32 v43, 7, v41
	v_or_b32_e32 v116, v116, v41
	v_or3_b32 v40, v40, v42, v43
	v_cmp_ne_u32_e32 vcc_lo, 0, v116
	v_lshlrev_b32_e32 v40, 8, v40
	v_cndmask_b32_e32 v116, 0, v40, vcc_lo
.LBB2_2409:                             ;   in Loop: Header=BB2_1978 Depth=2
	s_or_b32 exec_lo, exec_lo, s41
.LBB2_2410:                             ;   in Loop: Header=BB2_1978 Depth=2
	s_or_b32 exec_lo, exec_lo, s40
	v_or_b32_e32 v114, v114, v102
	s_mov_b32 s13, 0
	v_cmp_gt_i16_sdwa s40, v114, v71 src0_sel:BYTE_0 src1_sel:DWORD
	s_and_saveexec_b32 s41, s40
	s_xor_b32 s40, exec_lo, s41
	s_cbranch_execz .LBB2_2600
; %bb.2411:                             ;   in Loop: Header=BB2_1978 Depth=2
	v_cmp_eq_u16_sdwa s42, v114, v80 src0_sel:BYTE_0 src1_sel:DWORD
	s_mov_b32 s13, -1
	s_and_saveexec_b32 s41, s42
; %bb.2412:                             ;   in Loop: Header=BB2_1978 Depth=2
	s_xor_b32 s13, exec_lo, -1
; %bb.2413:                             ;   in Loop: Header=BB2_1978 Depth=2
	s_or_b32 exec_lo, exec_lo, s41
	s_and_b32 s13, s13, exec_lo
	s_or_saveexec_b32 s40, s40
	v_mov_b32_e32 v102, 0x7f800001
	s_xor_b32 exec_lo, exec_lo, s40
	s_cbranch_execnz .LBB2_2601
.LBB2_2414:                             ;   in Loop: Header=BB2_1978 Depth=2
	s_or_b32 exec_lo, exec_lo, s40
	v_lshl_or_b32 v114, v114, 16, v118
	s_and_saveexec_b32 s40, s13
	s_cbranch_execz .LBB2_2416
.LBB2_2415:                             ;   in Loop: Header=BB2_1978 Depth=2
	v_bfe_u32 v102, v114, 16, 3
	v_bfe_u32 v41, v114, 19, 4
	v_lshlrev_b32_e32 v42, 8, v114
	v_ffbh_u32_e32 v118, v102
	v_cmp_eq_u32_e32 vcc_lo, 0, v41
	v_min_u32_e32 v118, 32, v118
	v_subrev_nc_u32_e32 v40, 28, v118
	v_sub_nc_u32_e32 v118, 29, v118
	v_lshlrev_b32_sdwa v40, v40, v114 dst_sel:DWORD dst_unused:UNUSED_PAD src0_sel:DWORD src1_sel:WORD_1
	v_cndmask_b32_e32 v118, v41, v118, vcc_lo
	v_and_b32_e32 v40, 7, v40
	v_lshl_add_u32 v118, v118, 23, 0x3b800000
	v_cndmask_b32_e32 v102, v102, v40, vcc_lo
	v_and_b32_e32 v40, 0x80000000, v42
	v_lshlrev_b32_e32 v102, 20, v102
	v_or3_b32 v102, v40, v118, v102
.LBB2_2416:                             ;   in Loop: Header=BB2_1978 Depth=2
	s_or_b32 exec_lo, exec_lo, s40
	v_and_b32_sdwa v40, v12, v83 dst_sel:DWORD dst_unused:UNUSED_PAD src0_sel:WORD_1 src1_sel:DWORD
	s_mov_b32 s13, 0
	s_mov_b32 s40, exec_lo
	v_cmpx_lt_i16_e32 0x7f, v40
	s_xor_b32 s40, exec_lo, s40
	s_cbranch_execz .LBB2_2602
; %bb.2417:                             ;   in Loop: Header=BB2_1978 Depth=2
	s_mov_b32 s13, -1
	s_mov_b32 s41, exec_lo
	v_cmpx_eq_u16_e32 0x80, v40
; %bb.2418:                             ;   in Loop: Header=BB2_1978 Depth=2
	s_xor_b32 s13, exec_lo, -1
; %bb.2419:                             ;   in Loop: Header=BB2_1978 Depth=2
	s_or_b32 exec_lo, exec_lo, s41
	s_and_b32 s13, s13, exec_lo
                                        ; implicit-def: $vgpr40
	s_or_saveexec_b32 s40, s40
	v_mov_b32_e32 v118, 0x7f800001
	s_xor_b32 exec_lo, exec_lo, s40
	s_cbranch_execnz .LBB2_2603
.LBB2_2420:                             ;   in Loop: Header=BB2_1978 Depth=2
	s_or_b32 exec_lo, exec_lo, s40
	s_and_saveexec_b32 s40, s13
	s_cbranch_execz .LBB2_2422
.LBB2_2421:                             ;   in Loop: Header=BB2_1978 Depth=2
	v_and_b32_sdwa v118, v12, v84 dst_sel:DWORD dst_unused:UNUSED_PAD src0_sel:WORD_1 src1_sel:DWORD
	v_bfe_u32 v42, v12, 19, 4
	v_lshlrev_b32_sdwa v43, v82, v12 dst_sel:DWORD dst_unused:UNUSED_PAD src0_sel:DWORD src1_sel:WORD_1
	v_ffbh_u32_e32 v40, v118
	v_cmp_eq_u32_e32 vcc_lo, 0, v42
	v_min_u32_e32 v40, 32, v40
	v_subrev_nc_u32_e32 v41, 28, v40
	v_sub_nc_u32_e32 v40, 29, v40
	v_lshlrev_b32_sdwa v41, v41, v12 dst_sel:DWORD dst_unused:UNUSED_PAD src0_sel:DWORD src1_sel:WORD_1
	v_cndmask_b32_e32 v40, v42, v40, vcc_lo
	v_and_b32_e32 v41, 7, v41
	v_lshl_add_u32 v40, v40, 23, 0x3b800000
	v_cndmask_b32_e32 v118, v118, v41, vcc_lo
	v_and_b32_e32 v41, 0x80000000, v43
	v_lshlrev_b32_e32 v118, 20, v118
	v_or3_b32 v118, v41, v40, v118
.LBB2_2422:                             ;   in Loop: Header=BB2_1978 Depth=2
	s_or_b32 exec_lo, exec_lo, s40
	v_add_f32_e32 v118, v102, v118
	v_and_b32_e32 v102, 0x7f800000, v118
	v_cmp_ne_u32_e32 vcc_lo, 0x7f800000, v102
	v_mov_b32_e32 v102, 0x80
	s_and_saveexec_b32 s40, vcc_lo
	s_cbranch_execz .LBB2_2430
; %bb.2423:                             ;   in Loop: Header=BB2_1978 Depth=2
	v_mov_b32_e32 v102, 0
	s_mov_b32 s41, exec_lo
	v_cmpx_ne_u32_e32 0, v118
	s_cbranch_execz .LBB2_2429
; %bb.2424:                             ;   in Loop: Header=BB2_1978 Depth=2
	v_bfe_u32 v102, v118, 23, 8
	v_and_b32_e32 v40, 0x7fffff, v118
	v_sub_nc_u32_e32 v41, 0x78, v102
	v_cmp_gt_u32_e32 vcc_lo, 0x79, v102
	v_or_b32_e32 v42, 0x800000, v40
	v_cndmask_b32_e32 v41, 0, v41, vcc_lo
	v_cmp_eq_u32_e32 vcc_lo, 0, v102
	v_add_nc_u32_e32 v102, 0xffffff89, v102
	v_cndmask_b32_e64 v41, v41, 0x77, vcc_lo
	v_cndmask_b32_e32 v40, v42, v40, vcc_lo
	v_cndmask_b32_e64 v102, v102, 0xffffff8a, vcc_lo
	v_lshl_add_u32 v42, 0x100000, v41, -1
	v_lshrrev_b32_e32 v43, v41, v40
	v_lshlrev_b32_e64 v45, v41, 0x80000
	v_add_nc_u32_e32 v41, v41, v102
	v_and_b32_e32 v40, v42, v40
	v_bfe_u32 v44, v43, 20, 1
	v_cmp_eq_u32_e64 s13, v40, v45
	v_add_nc_u32_e32 v42, -1, v44
	v_cndmask_b32_e64 v40, 0, v42, s13
	v_lshrrev_b32_e32 v42, 23, v43
	s_mov_b32 s13, exec_lo
	v_add_nc_u32_e32 v40, v40, v43
	v_xor_b32_e32 v42, 1, v42
	v_and_b32_e32 v102, 0xfffff, v40
	v_add_nc_u32_e32 v40, v102, v43
                                        ; implicit-def: $vgpr102
	v_cmpx_ne_u32_e64 v41, v42
	s_xor_b32 s13, exec_lo, s13
; %bb.2425:                             ;   in Loop: Header=BB2_1978 Depth=2
	v_cmp_lt_u32_e32 vcc_lo, 0xffffff, v40
	v_sub_nc_u32_e32 v102, v41, v42
	v_cndmask_b32_e64 v41, 0, 1, vcc_lo
	v_add_co_ci_u32_e64 v102, null, 0, v102, vcc_lo
	v_lshrrev_b32_e32 v40, v41, v40
; %bb.2426:                             ;   in Loop: Header=BB2_1978 Depth=2
	s_andn2_saveexec_b32 s13, s13
; %bb.2427:                             ;   in Loop: Header=BB2_1978 Depth=2
	v_bfe_u32 v102, v40, 23, 1
; %bb.2428:                             ;   in Loop: Header=BB2_1978 Depth=2
	s_or_b32 exec_lo, exec_lo, s13
	v_lshrrev_b32_e32 v40, 20, v40
	v_min_i32_e32 v41, 15, v102
	v_cmp_gt_i32_e32 vcc_lo, 16, v102
	v_and_b32_sdwa v118, v118, v80 dst_sel:DWORD dst_unused:UNUSED_PAD src0_sel:BYTE_3 src1_sel:DWORD
	v_lshlrev_b32_e32 v41, 3, v41
	v_cndmask_b32_e32 v40, 7, v40, vcc_lo
	v_and_b32_e32 v41, 0xf8, v41
	v_and_b32_e32 v42, 7, v40
	v_or_b32_e32 v102, v102, v40
	v_or3_b32 v118, v41, v118, v42
	v_cmp_ne_u32_e32 vcc_lo, 0, v102
	v_cndmask_b32_e32 v102, 0, v118, vcc_lo
.LBB2_2429:                             ;   in Loop: Header=BB2_1978 Depth=2
	s_or_b32 exec_lo, exec_lo, s41
.LBB2_2430:                             ;   in Loop: Header=BB2_1978 Depth=2
	s_or_b32 exec_lo, exec_lo, s40
	v_cmp_gt_i16_sdwa s40, v114, v71 src0_sel:BYTE_3 src1_sel:DWORD
	s_mov_b32 s13, 0
	s_and_saveexec_b32 s41, s40
	s_xor_b32 s40, exec_lo, s41
	s_cbranch_execz .LBB2_2604
; %bb.2431:                             ;   in Loop: Header=BB2_1978 Depth=2
	v_cmp_eq_u16_sdwa s42, v114, v80 src0_sel:BYTE_3 src1_sel:DWORD
	s_mov_b32 s13, -1
	s_and_saveexec_b32 s41, s42
; %bb.2432:                             ;   in Loop: Header=BB2_1978 Depth=2
	s_xor_b32 s13, exec_lo, -1
; %bb.2433:                             ;   in Loop: Header=BB2_1978 Depth=2
	s_or_b32 exec_lo, exec_lo, s41
	s_and_b32 s13, s13, exec_lo
	s_or_saveexec_b32 s40, s40
	v_mov_b32_e32 v118, 0x7f800001
	s_xor_b32 exec_lo, exec_lo, s40
	s_cbranch_execnz .LBB2_2605
.LBB2_2434:                             ;   in Loop: Header=BB2_1978 Depth=2
	s_or_b32 exec_lo, exec_lo, s40
	s_and_saveexec_b32 s40, s13
	s_cbranch_execz .LBB2_2436
.LBB2_2435:                             ;   in Loop: Header=BB2_1978 Depth=2
	v_bfe_u32 v118, v114, 24, 3
	v_bfe_u32 v42, v114, 27, 4
	v_ffbh_u32_e32 v40, v118
	v_cmp_eq_u32_e32 vcc_lo, 0, v42
	v_min_u32_e32 v40, 32, v40
	v_subrev_nc_u32_e32 v41, 28, v40
	v_sub_nc_u32_e32 v40, 29, v40
	v_lshlrev_b32_sdwa v41, v41, v114 dst_sel:DWORD dst_unused:UNUSED_PAD src0_sel:DWORD src1_sel:BYTE_3
	v_cndmask_b32_e32 v40, v42, v40, vcc_lo
	v_and_b32_e32 v114, 0x80000000, v114
	v_and_b32_e32 v41, 7, v41
	v_lshl_add_u32 v40, v40, 23, 0x3b800000
	v_cndmask_b32_e32 v118, v118, v41, vcc_lo
	v_lshlrev_b32_e32 v118, 20, v118
	v_or3_b32 v118, v114, v40, v118
.LBB2_2436:                             ;   in Loop: Header=BB2_1978 Depth=2
	s_or_b32 exec_lo, exec_lo, s40
	v_cmp_gt_i16_sdwa s40, v12, v71 src0_sel:BYTE_3 src1_sel:DWORD
	s_mov_b32 s13, 0
	s_and_saveexec_b32 s41, s40
	s_xor_b32 s40, exec_lo, s41
	s_cbranch_execz .LBB2_2606
; %bb.2437:                             ;   in Loop: Header=BB2_1978 Depth=2
	v_cmp_eq_u16_sdwa s42, v12, v80 src0_sel:BYTE_3 src1_sel:DWORD
	s_mov_b32 s13, -1
	s_and_saveexec_b32 s41, s42
; %bb.2438:                             ;   in Loop: Header=BB2_1978 Depth=2
	s_xor_b32 s13, exec_lo, -1
; %bb.2439:                             ;   in Loop: Header=BB2_1978 Depth=2
	s_or_b32 exec_lo, exec_lo, s41
	s_and_b32 s13, s13, exec_lo
	s_or_saveexec_b32 s40, s40
	v_mov_b32_e32 v114, 0x7f800001
	s_xor_b32 exec_lo, exec_lo, s40
	s_cbranch_execnz .LBB2_2607
.LBB2_2440:                             ;   in Loop: Header=BB2_1978 Depth=2
	s_or_b32 exec_lo, exec_lo, s40
	s_and_saveexec_b32 s40, s13
	s_cbranch_execz .LBB2_2442
.LBB2_2441:                             ;   in Loop: Header=BB2_1978 Depth=2
	v_and_b32_sdwa v114, v12, v84 dst_sel:DWORD dst_unused:UNUSED_PAD src0_sel:BYTE_3 src1_sel:DWORD
	v_bfe_u32 v42, v12, 27, 4
	v_ffbh_u32_e32 v40, v114
	v_cmp_eq_u32_e32 vcc_lo, 0, v42
	v_min_u32_e32 v40, 32, v40
	v_subrev_nc_u32_e32 v41, 28, v40
	v_sub_nc_u32_e32 v40, 29, v40
	v_lshlrev_b32_sdwa v41, v41, v12 dst_sel:DWORD dst_unused:UNUSED_PAD src0_sel:DWORD src1_sel:BYTE_3
	v_cndmask_b32_e32 v40, v42, v40, vcc_lo
	v_and_b32_e32 v12, 0x80000000, v12
	v_and_b32_e32 v41, 7, v41
	v_lshl_add_u32 v40, v40, 23, 0x3b800000
	v_cndmask_b32_e32 v114, v114, v41, vcc_lo
	v_lshlrev_b32_e32 v114, 20, v114
	v_or3_b32 v114, v12, v40, v114
.LBB2_2442:                             ;   in Loop: Header=BB2_1978 Depth=2
	s_or_b32 exec_lo, exec_lo, s40
	v_add_f32_e32 v114, v118, v114
	v_and_b32_e32 v12, 0x7f800000, v114
	v_cmp_ne_u32_e32 vcc_lo, 0x7f800000, v12
	v_mov_b32_e32 v12, 0x8000
	s_and_saveexec_b32 s40, vcc_lo
	s_cbranch_execz .LBB2_2450
; %bb.2443:                             ;   in Loop: Header=BB2_1978 Depth=2
	v_mov_b32_e32 v12, 0
	s_mov_b32 s41, exec_lo
	v_cmpx_ne_u32_e32 0, v114
	s_cbranch_execz .LBB2_2449
; %bb.2444:                             ;   in Loop: Header=BB2_1978 Depth=2
	v_bfe_u32 v12, v114, 23, 8
	v_and_b32_e32 v118, 0x7fffff, v114
	v_sub_nc_u32_e32 v40, 0x78, v12
	v_cmp_gt_u32_e32 vcc_lo, 0x79, v12
	v_or_b32_e32 v41, 0x800000, v118
	v_cndmask_b32_e32 v40, 0, v40, vcc_lo
	v_cmp_eq_u32_e32 vcc_lo, 0, v12
	v_add_nc_u32_e32 v12, 0xffffff89, v12
	v_cndmask_b32_e64 v40, v40, 0x77, vcc_lo
	v_cndmask_b32_e32 v118, v41, v118, vcc_lo
	v_cndmask_b32_e64 v12, v12, 0xffffff8a, vcc_lo
	v_lshl_add_u32 v41, 0x100000, v40, -1
	v_lshrrev_b32_e32 v42, v40, v118
	v_lshlrev_b32_e64 v44, v40, 0x80000
	v_add_nc_u32_e32 v40, v40, v12
	v_and_b32_e32 v118, v41, v118
	v_bfe_u32 v43, v42, 20, 1
	v_cmp_eq_u32_e64 s13, v118, v44
	v_add_nc_u32_e32 v41, -1, v43
	v_cndmask_b32_e64 v118, 0, v41, s13
	v_lshrrev_b32_e32 v41, 23, v42
	s_mov_b32 s13, exec_lo
	v_add_nc_u32_e32 v118, v118, v42
	v_xor_b32_e32 v41, 1, v41
	v_and_b32_e32 v12, 0xfffff, v118
	v_add_nc_u32_e32 v118, v12, v42
                                        ; implicit-def: $vgpr12
	v_cmpx_ne_u32_e64 v40, v41
	s_xor_b32 s13, exec_lo, s13
; %bb.2445:                             ;   in Loop: Header=BB2_1978 Depth=2
	v_cmp_lt_u32_e32 vcc_lo, 0xffffff, v118
	v_sub_nc_u32_e32 v12, v40, v41
	v_cndmask_b32_e64 v40, 0, 1, vcc_lo
	v_add_co_ci_u32_e64 v12, null, 0, v12, vcc_lo
	v_lshrrev_b32_e32 v118, v40, v118
; %bb.2446:                             ;   in Loop: Header=BB2_1978 Depth=2
	s_andn2_saveexec_b32 s13, s13
; %bb.2447:                             ;   in Loop: Header=BB2_1978 Depth=2
	v_bfe_u32 v12, v118, 23, 1
; %bb.2448:                             ;   in Loop: Header=BB2_1978 Depth=2
	s_or_b32 exec_lo, exec_lo, s13
	v_lshrrev_b32_e32 v118, 20, v118
	v_min_i32_e32 v40, 15, v12
	v_cmp_gt_i32_e32 vcc_lo, 16, v12
	v_and_b32_sdwa v114, v114, v80 dst_sel:DWORD dst_unused:UNUSED_PAD src0_sel:BYTE_3 src1_sel:DWORD
	v_lshlrev_b32_e32 v40, 3, v40
	v_cndmask_b32_e32 v118, 7, v118, vcc_lo
	v_and_b32_e32 v40, 0xf8, v40
	v_and_b32_e32 v41, 7, v118
	v_or_b32_e32 v12, v12, v118
	v_or3_b32 v114, v114, v40, v41
	v_cmp_ne_u32_e32 vcc_lo, 0, v12
	v_lshlrev_b32_e32 v114, 8, v114
	v_cndmask_b32_e32 v12, 0, v114, vcc_lo
.LBB2_2449:                             ;   in Loop: Header=BB2_1978 Depth=2
	s_or_b32 exec_lo, exec_lo, s41
.LBB2_2450:                             ;   in Loop: Header=BB2_1978 Depth=2
	s_or_b32 exec_lo, exec_lo, s40
	v_or_b32_e32 v103, v103, v99
	s_mov_b32 s13, 0
	v_cmp_gt_i16_sdwa s40, v103, v71 src0_sel:BYTE_0 src1_sel:DWORD
	s_and_saveexec_b32 s41, s40
	s_xor_b32 s40, exec_lo, s41
	s_cbranch_execz .LBB2_2608
; %bb.2451:                             ;   in Loop: Header=BB2_1978 Depth=2
	v_cmp_eq_u16_sdwa s42, v103, v80 src0_sel:BYTE_0 src1_sel:DWORD
	s_mov_b32 s13, -1
	s_and_saveexec_b32 s41, s42
; %bb.2452:                             ;   in Loop: Header=BB2_1978 Depth=2
	s_xor_b32 s13, exec_lo, -1
; %bb.2453:                             ;   in Loop: Header=BB2_1978 Depth=2
	s_or_b32 exec_lo, exec_lo, s41
	s_and_b32 s13, s13, exec_lo
	s_or_saveexec_b32 s40, s40
	v_mov_b32_e32 v99, 0x7f800001
	s_xor_b32 exec_lo, exec_lo, s40
	s_cbranch_execnz .LBB2_2609
.LBB2_2454:                             ;   in Loop: Header=BB2_1978 Depth=2
	s_or_b32 exec_lo, exec_lo, s40
	s_and_saveexec_b32 s40, s13
	s_cbranch_execz .LBB2_2456
.LBB2_2455:                             ;   in Loop: Header=BB2_1978 Depth=2
	v_and_b32_e32 v99, 7, v103
	v_bfe_u32 v40, v103, 3, 4
	v_lshlrev_b32_e32 v41, 24, v103
	v_ffbh_u32_e32 v114, v99
	v_cmp_eq_u32_e32 vcc_lo, 0, v40
	v_min_u32_e32 v114, 32, v114
	v_subrev_nc_u32_e32 v118, 28, v114
	v_sub_nc_u32_e32 v114, 29, v114
	v_lshlrev_b32_e32 v118, v118, v103
	v_cndmask_b32_e32 v114, v40, v114, vcc_lo
	v_and_b32_e32 v118, 7, v118
	v_lshl_add_u32 v114, v114, 23, 0x3b800000
	v_cndmask_b32_e32 v99, v99, v118, vcc_lo
	v_and_b32_e32 v118, 0x80000000, v41
	v_lshlrev_b32_e32 v99, 20, v99
	v_or3_b32 v99, v118, v114, v99
.LBB2_2456:                             ;   in Loop: Header=BB2_1978 Depth=2
	s_or_b32 exec_lo, exec_lo, s40
	v_cmp_gt_i16_sdwa s40, v13, v71 src0_sel:BYTE_0 src1_sel:DWORD
	s_mov_b32 s13, 0
	s_and_saveexec_b32 s41, s40
	s_xor_b32 s40, exec_lo, s41
	s_cbranch_execz .LBB2_2610
; %bb.2457:                             ;   in Loop: Header=BB2_1978 Depth=2
	v_cmp_eq_u16_sdwa s42, v13, v80 src0_sel:BYTE_0 src1_sel:DWORD
	s_mov_b32 s13, -1
	s_and_saveexec_b32 s41, s42
; %bb.2458:                             ;   in Loop: Header=BB2_1978 Depth=2
	s_xor_b32 s13, exec_lo, -1
; %bb.2459:                             ;   in Loop: Header=BB2_1978 Depth=2
	s_or_b32 exec_lo, exec_lo, s41
	s_and_b32 s13, s13, exec_lo
	s_or_saveexec_b32 s40, s40
	v_mov_b32_e32 v114, 0x7f800001
	s_xor_b32 exec_lo, exec_lo, s40
	s_cbranch_execnz .LBB2_2611
.LBB2_2460:                             ;   in Loop: Header=BB2_1978 Depth=2
	s_or_b32 exec_lo, exec_lo, s40
	s_and_saveexec_b32 s40, s13
	s_cbranch_execz .LBB2_2462
.LBB2_2461:                             ;   in Loop: Header=BB2_1978 Depth=2
	v_and_b32_e32 v114, 7, v13
	v_bfe_u32 v41, v13, 3, 4
	v_lshlrev_b32_e32 v42, 24, v13
	v_ffbh_u32_e32 v118, v114
	v_cmp_eq_u32_e32 vcc_lo, 0, v41
	v_min_u32_e32 v118, 32, v118
	v_subrev_nc_u32_e32 v40, 28, v118
	v_sub_nc_u32_e32 v118, 29, v118
	v_lshlrev_b32_e32 v40, v40, v13
	v_cndmask_b32_e32 v118, v41, v118, vcc_lo
	v_and_b32_e32 v40, 7, v40
	v_lshl_add_u32 v118, v118, 23, 0x3b800000
	v_cndmask_b32_e32 v114, v114, v40, vcc_lo
	v_and_b32_e32 v40, 0x80000000, v42
	v_lshlrev_b32_e32 v114, 20, v114
	v_or3_b32 v114, v40, v118, v114
.LBB2_2462:                             ;   in Loop: Header=BB2_1978 Depth=2
	s_or_b32 exec_lo, exec_lo, s40
	v_add_f32_e32 v114, v99, v114
	v_and_b32_e32 v99, 0x7f800000, v114
	v_cmp_ne_u32_e32 vcc_lo, 0x7f800000, v99
	v_mov_b32_e32 v99, 0x80
	s_and_saveexec_b32 s40, vcc_lo
	s_cbranch_execz .LBB2_2470
; %bb.2463:                             ;   in Loop: Header=BB2_1978 Depth=2
	v_mov_b32_e32 v99, 0
	s_mov_b32 s41, exec_lo
	v_cmpx_ne_u32_e32 0, v114
	s_cbranch_execz .LBB2_2469
; %bb.2464:                             ;   in Loop: Header=BB2_1978 Depth=2
	v_bfe_u32 v99, v114, 23, 8
	v_and_b32_e32 v118, 0x7fffff, v114
	v_sub_nc_u32_e32 v40, 0x78, v99
	v_cmp_gt_u32_e32 vcc_lo, 0x79, v99
	v_or_b32_e32 v41, 0x800000, v118
	v_cndmask_b32_e32 v40, 0, v40, vcc_lo
	v_cmp_eq_u32_e32 vcc_lo, 0, v99
	v_add_nc_u32_e32 v99, 0xffffff89, v99
	v_cndmask_b32_e64 v40, v40, 0x77, vcc_lo
	v_cndmask_b32_e32 v118, v41, v118, vcc_lo
	v_cndmask_b32_e64 v99, v99, 0xffffff8a, vcc_lo
	v_lshl_add_u32 v41, 0x100000, v40, -1
	v_lshrrev_b32_e32 v42, v40, v118
	v_lshlrev_b32_e64 v44, v40, 0x80000
	v_add_nc_u32_e32 v40, v40, v99
	v_and_b32_e32 v118, v41, v118
	v_bfe_u32 v43, v42, 20, 1
	v_cmp_eq_u32_e64 s13, v118, v44
	v_add_nc_u32_e32 v41, -1, v43
	v_cndmask_b32_e64 v118, 0, v41, s13
	v_lshrrev_b32_e32 v41, 23, v42
	s_mov_b32 s13, exec_lo
	v_add_nc_u32_e32 v118, v118, v42
	v_xor_b32_e32 v41, 1, v41
	v_and_b32_e32 v99, 0xfffff, v118
	v_add_nc_u32_e32 v118, v99, v42
                                        ; implicit-def: $vgpr99
	v_cmpx_ne_u32_e64 v40, v41
	s_xor_b32 s13, exec_lo, s13
; %bb.2465:                             ;   in Loop: Header=BB2_1978 Depth=2
	v_cmp_lt_u32_e32 vcc_lo, 0xffffff, v118
	v_sub_nc_u32_e32 v99, v40, v41
	v_cndmask_b32_e64 v40, 0, 1, vcc_lo
	v_add_co_ci_u32_e64 v99, null, 0, v99, vcc_lo
	v_lshrrev_b32_e32 v118, v40, v118
; %bb.2466:                             ;   in Loop: Header=BB2_1978 Depth=2
	s_andn2_saveexec_b32 s13, s13
; %bb.2467:                             ;   in Loop: Header=BB2_1978 Depth=2
	v_bfe_u32 v99, v118, 23, 1
; %bb.2468:                             ;   in Loop: Header=BB2_1978 Depth=2
	s_or_b32 exec_lo, exec_lo, s13
	v_lshrrev_b32_e32 v118, 20, v118
	v_min_i32_e32 v40, 15, v99
	v_cmp_gt_i32_e32 vcc_lo, 16, v99
	v_and_b32_sdwa v114, v114, v80 dst_sel:DWORD dst_unused:UNUSED_PAD src0_sel:BYTE_3 src1_sel:DWORD
	v_lshlrev_b32_e32 v40, 3, v40
	v_cndmask_b32_e32 v118, 7, v118, vcc_lo
	v_and_b32_e32 v40, 0xf8, v40
	v_and_b32_e32 v41, 7, v118
	v_or_b32_e32 v99, v99, v118
	v_or3_b32 v114, v40, v114, v41
	v_cmp_ne_u32_e32 vcc_lo, 0, v99
	v_cndmask_b32_e32 v99, 0, v114, vcc_lo
.LBB2_2469:                             ;   in Loop: Header=BB2_1978 Depth=2
	s_or_b32 exec_lo, exec_lo, s41
.LBB2_2470:                             ;   in Loop: Header=BB2_1978 Depth=2
	s_or_b32 exec_lo, exec_lo, s40
	v_cmp_gt_i16_sdwa s40, v103, v71 src0_sel:BYTE_1 src1_sel:DWORD
	s_mov_b32 s13, 0
	s_and_saveexec_b32 s41, s40
	s_xor_b32 s40, exec_lo, s41
	s_cbranch_execz .LBB2_2612
; %bb.2471:                             ;   in Loop: Header=BB2_1978 Depth=2
	v_cmp_eq_u16_sdwa s42, v103, v80 src0_sel:BYTE_1 src1_sel:DWORD
	s_mov_b32 s13, -1
	s_and_saveexec_b32 s41, s42
; %bb.2472:                             ;   in Loop: Header=BB2_1978 Depth=2
	s_xor_b32 s13, exec_lo, -1
; %bb.2473:                             ;   in Loop: Header=BB2_1978 Depth=2
	s_or_b32 exec_lo, exec_lo, s41
	s_and_b32 s13, s13, exec_lo
	s_or_saveexec_b32 s40, s40
	v_mov_b32_e32 v114, 0x7f800001
	s_xor_b32 exec_lo, exec_lo, s40
	s_cbranch_execnz .LBB2_2613
.LBB2_2474:                             ;   in Loop: Header=BB2_1978 Depth=2
	s_or_b32 exec_lo, exec_lo, s40
	s_and_saveexec_b32 s40, s13
	s_cbranch_execz .LBB2_2476
.LBB2_2475:                             ;   in Loop: Header=BB2_1978 Depth=2
	v_and_b32_sdwa v114, v81, v103 dst_sel:DWORD dst_unused:UNUSED_PAD src0_sel:DWORD src1_sel:BYTE_1
	v_and_b32_e32 v118, 7, v114
	v_bfe_u32 v42, v114, 3, 4
	v_ffbh_u32_e32 v40, v118
	v_cmp_eq_u32_e32 vcc_lo, 0, v42
	v_min_u32_e32 v40, 32, v40
	v_subrev_nc_u32_e32 v41, 28, v40
	v_sub_nc_u32_e32 v40, 29, v40
	v_lshlrev_b32_e32 v114, v41, v114
	v_lshlrev_b32_sdwa v41, v82, v103 dst_sel:DWORD dst_unused:UNUSED_PAD src0_sel:DWORD src1_sel:BYTE_1
	v_cndmask_b32_e32 v40, v42, v40, vcc_lo
	v_and_b32_e32 v114, 7, v114
	v_lshl_add_u32 v40, v40, 23, 0x3b800000
	v_cndmask_b32_e32 v114, v118, v114, vcc_lo
	v_and_b32_e32 v118, 0x80000000, v41
	v_lshlrev_b32_e32 v114, 20, v114
	v_or3_b32 v114, v118, v40, v114
.LBB2_2476:                             ;   in Loop: Header=BB2_1978 Depth=2
	s_or_b32 exec_lo, exec_lo, s40
	v_cmp_gt_i16_sdwa s40, v13, v71 src0_sel:BYTE_1 src1_sel:DWORD
	s_mov_b32 s13, 0
	s_and_saveexec_b32 s41, s40
	s_xor_b32 s40, exec_lo, s41
	s_cbranch_execz .LBB2_2614
; %bb.2477:                             ;   in Loop: Header=BB2_1978 Depth=2
	v_cmp_eq_u16_sdwa s42, v13, v80 src0_sel:BYTE_1 src1_sel:DWORD
	s_mov_b32 s13, -1
	s_and_saveexec_b32 s41, s42
; %bb.2478:                             ;   in Loop: Header=BB2_1978 Depth=2
	s_xor_b32 s13, exec_lo, -1
; %bb.2479:                             ;   in Loop: Header=BB2_1978 Depth=2
	s_or_b32 exec_lo, exec_lo, s41
	s_and_b32 s13, s13, exec_lo
	s_or_saveexec_b32 s40, s40
	v_mov_b32_e32 v118, 0x7f800001
	s_xor_b32 exec_lo, exec_lo, s40
	s_cbranch_execnz .LBB2_2615
.LBB2_2480:                             ;   in Loop: Header=BB2_1978 Depth=2
	s_or_b32 exec_lo, exec_lo, s40
	s_and_saveexec_b32 s40, s13
	s_cbranch_execz .LBB2_2482
.LBB2_2481:                             ;   in Loop: Header=BB2_1978 Depth=2
	v_and_b32_sdwa v118, v81, v13 dst_sel:DWORD dst_unused:UNUSED_PAD src0_sel:DWORD src1_sel:BYTE_1
	v_and_b32_e32 v40, 7, v118
	v_bfe_u32 v43, v118, 3, 4
	v_ffbh_u32_e32 v41, v40
	v_cmp_eq_u32_e32 vcc_lo, 0, v43
	v_min_u32_e32 v41, 32, v41
	v_subrev_nc_u32_e32 v42, 28, v41
	v_sub_nc_u32_e32 v41, 29, v41
	v_lshlrev_b32_e32 v118, v42, v118
	v_lshlrev_b32_sdwa v42, v82, v13 dst_sel:DWORD dst_unused:UNUSED_PAD src0_sel:DWORD src1_sel:BYTE_1
	v_cndmask_b32_e32 v41, v43, v41, vcc_lo
	v_and_b32_e32 v118, 7, v118
	v_lshl_add_u32 v41, v41, 23, 0x3b800000
	v_cndmask_b32_e32 v118, v40, v118, vcc_lo
	v_and_b32_e32 v40, 0x80000000, v42
	v_lshlrev_b32_e32 v118, 20, v118
	v_or3_b32 v118, v40, v41, v118
.LBB2_2482:                             ;   in Loop: Header=BB2_1978 Depth=2
	s_or_b32 exec_lo, exec_lo, s40
	v_add_f32_e32 v118, v114, v118
	v_and_b32_e32 v114, 0x7f800000, v118
	v_cmp_ne_u32_e32 vcc_lo, 0x7f800000, v114
	v_mov_b32_e32 v114, 0x8000
	s_and_saveexec_b32 s40, vcc_lo
	s_cbranch_execz .LBB2_2490
; %bb.2483:                             ;   in Loop: Header=BB2_1978 Depth=2
	v_mov_b32_e32 v114, 0
	s_mov_b32 s41, exec_lo
	v_cmpx_ne_u32_e32 0, v118
	s_cbranch_execz .LBB2_2489
; %bb.2484:                             ;   in Loop: Header=BB2_1978 Depth=2
	v_bfe_u32 v114, v118, 23, 8
	v_and_b32_e32 v40, 0x7fffff, v118
	v_sub_nc_u32_e32 v41, 0x78, v114
	v_cmp_gt_u32_e32 vcc_lo, 0x79, v114
	v_or_b32_e32 v42, 0x800000, v40
	v_cndmask_b32_e32 v41, 0, v41, vcc_lo
	v_cmp_eq_u32_e32 vcc_lo, 0, v114
	v_add_nc_u32_e32 v114, 0xffffff89, v114
	v_cndmask_b32_e64 v41, v41, 0x77, vcc_lo
	v_cndmask_b32_e32 v40, v42, v40, vcc_lo
	v_cndmask_b32_e64 v114, v114, 0xffffff8a, vcc_lo
	v_lshl_add_u32 v42, 0x100000, v41, -1
	v_lshrrev_b32_e32 v43, v41, v40
	v_lshlrev_b32_e64 v45, v41, 0x80000
	v_add_nc_u32_e32 v41, v41, v114
	v_and_b32_e32 v40, v42, v40
	v_bfe_u32 v44, v43, 20, 1
	v_cmp_eq_u32_e64 s13, v40, v45
	v_add_nc_u32_e32 v42, -1, v44
	v_cndmask_b32_e64 v40, 0, v42, s13
	v_lshrrev_b32_e32 v42, 23, v43
	s_mov_b32 s13, exec_lo
	v_add_nc_u32_e32 v40, v40, v43
	v_xor_b32_e32 v42, 1, v42
	v_and_b32_e32 v114, 0xfffff, v40
	v_add_nc_u32_e32 v40, v114, v43
                                        ; implicit-def: $vgpr114
	v_cmpx_ne_u32_e64 v41, v42
	s_xor_b32 s13, exec_lo, s13
; %bb.2485:                             ;   in Loop: Header=BB2_1978 Depth=2
	v_cmp_lt_u32_e32 vcc_lo, 0xffffff, v40
	v_sub_nc_u32_e32 v114, v41, v42
	v_cndmask_b32_e64 v41, 0, 1, vcc_lo
	v_add_co_ci_u32_e64 v114, null, 0, v114, vcc_lo
	v_lshrrev_b32_e32 v40, v41, v40
; %bb.2486:                             ;   in Loop: Header=BB2_1978 Depth=2
	s_andn2_saveexec_b32 s13, s13
; %bb.2487:                             ;   in Loop: Header=BB2_1978 Depth=2
	v_bfe_u32 v114, v40, 23, 1
; %bb.2488:                             ;   in Loop: Header=BB2_1978 Depth=2
	s_or_b32 exec_lo, exec_lo, s13
	v_lshrrev_b32_e32 v40, 20, v40
	v_min_i32_e32 v41, 15, v114
	v_cmp_gt_i32_e32 vcc_lo, 16, v114
	v_and_b32_sdwa v118, v118, v80 dst_sel:DWORD dst_unused:UNUSED_PAD src0_sel:BYTE_3 src1_sel:DWORD
	v_lshlrev_b32_e32 v41, 3, v41
	v_cndmask_b32_e32 v40, 7, v40, vcc_lo
	v_and_b32_e32 v41, 0xf8, v41
	v_and_b32_e32 v42, 7, v40
	v_or_b32_e32 v114, v114, v40
	v_or3_b32 v118, v118, v41, v42
	v_cmp_ne_u32_e32 vcc_lo, 0, v114
	v_lshlrev_b32_e32 v118, 8, v118
	v_cndmask_b32_e32 v114, 0, v118, vcc_lo
.LBB2_2489:                             ;   in Loop: Header=BB2_1978 Depth=2
	s_or_b32 exec_lo, exec_lo, s41
.LBB2_2490:                             ;   in Loop: Header=BB2_1978 Depth=2
	s_or_b32 exec_lo, exec_lo, s40
	v_or_b32_e32 v101, v101, v98
	s_mov_b32 s13, 0
	v_cmp_gt_i16_sdwa s40, v101, v71 src0_sel:BYTE_0 src1_sel:DWORD
	s_and_saveexec_b32 s41, s40
	s_xor_b32 s40, exec_lo, s41
	s_cbranch_execz .LBB2_2616
; %bb.2491:                             ;   in Loop: Header=BB2_1978 Depth=2
	v_cmp_eq_u16_sdwa s42, v101, v80 src0_sel:BYTE_0 src1_sel:DWORD
	s_mov_b32 s13, -1
	s_and_saveexec_b32 s41, s42
; %bb.2492:                             ;   in Loop: Header=BB2_1978 Depth=2
	s_xor_b32 s13, exec_lo, -1
; %bb.2493:                             ;   in Loop: Header=BB2_1978 Depth=2
	s_or_b32 exec_lo, exec_lo, s41
	s_and_b32 s13, s13, exec_lo
	s_or_saveexec_b32 s40, s40
	v_mov_b32_e32 v98, 0x7f800001
	s_xor_b32 exec_lo, exec_lo, s40
	s_cbranch_execnz .LBB2_2617
.LBB2_2494:                             ;   in Loop: Header=BB2_1978 Depth=2
	s_or_b32 exec_lo, exec_lo, s40
	v_lshl_or_b32 v101, v101, 16, v103
	s_and_saveexec_b32 s40, s13
	s_cbranch_execz .LBB2_2496
.LBB2_2495:                             ;   in Loop: Header=BB2_1978 Depth=2
	v_bfe_u32 v98, v101, 16, 3
	v_bfe_u32 v40, v101, 19, 4
	v_lshlrev_b32_e32 v41, 8, v101
	v_ffbh_u32_e32 v103, v98
	v_cmp_eq_u32_e32 vcc_lo, 0, v40
	v_min_u32_e32 v103, 32, v103
	v_subrev_nc_u32_e32 v118, 28, v103
	v_sub_nc_u32_e32 v103, 29, v103
	v_lshlrev_b32_sdwa v118, v118, v101 dst_sel:DWORD dst_unused:UNUSED_PAD src0_sel:DWORD src1_sel:WORD_1
	v_cndmask_b32_e32 v103, v40, v103, vcc_lo
	v_and_b32_e32 v118, 7, v118
	v_lshl_add_u32 v103, v103, 23, 0x3b800000
	v_cndmask_b32_e32 v98, v98, v118, vcc_lo
	v_and_b32_e32 v118, 0x80000000, v41
	v_lshlrev_b32_e32 v98, 20, v98
	v_or3_b32 v98, v118, v103, v98
.LBB2_2496:                             ;   in Loop: Header=BB2_1978 Depth=2
	s_or_b32 exec_lo, exec_lo, s40
	v_and_b32_sdwa v118, v13, v83 dst_sel:DWORD dst_unused:UNUSED_PAD src0_sel:WORD_1 src1_sel:DWORD
	s_mov_b32 s13, 0
	s_mov_b32 s40, exec_lo
	v_cmpx_lt_i16_e32 0x7f, v118
	s_xor_b32 s40, exec_lo, s40
	s_cbranch_execz .LBB2_2618
; %bb.2497:                             ;   in Loop: Header=BB2_1978 Depth=2
	s_mov_b32 s13, -1
	s_mov_b32 s41, exec_lo
	v_cmpx_eq_u16_e32 0x80, v118
; %bb.2498:                             ;   in Loop: Header=BB2_1978 Depth=2
	s_xor_b32 s13, exec_lo, -1
; %bb.2499:                             ;   in Loop: Header=BB2_1978 Depth=2
	s_or_b32 exec_lo, exec_lo, s41
	s_and_b32 s13, s13, exec_lo
                                        ; implicit-def: $vgpr118
	s_or_saveexec_b32 s40, s40
	v_mov_b32_e32 v103, 0x7f800001
	s_xor_b32 exec_lo, exec_lo, s40
	s_cbranch_execnz .LBB2_2619
.LBB2_2500:                             ;   in Loop: Header=BB2_1978 Depth=2
	s_or_b32 exec_lo, exec_lo, s40
	s_and_saveexec_b32 s40, s13
	s_cbranch_execz .LBB2_2502
.LBB2_2501:                             ;   in Loop: Header=BB2_1978 Depth=2
	v_and_b32_sdwa v103, v13, v84 dst_sel:DWORD dst_unused:UNUSED_PAD src0_sel:WORD_1 src1_sel:DWORD
	v_bfe_u32 v41, v13, 19, 4
	v_lshlrev_b32_sdwa v42, v82, v13 dst_sel:DWORD dst_unused:UNUSED_PAD src0_sel:DWORD src1_sel:WORD_1
	v_ffbh_u32_e32 v118, v103
	v_cmp_eq_u32_e32 vcc_lo, 0, v41
	v_min_u32_e32 v118, 32, v118
	v_subrev_nc_u32_e32 v40, 28, v118
	v_sub_nc_u32_e32 v118, 29, v118
	v_lshlrev_b32_sdwa v40, v40, v13 dst_sel:DWORD dst_unused:UNUSED_PAD src0_sel:DWORD src1_sel:WORD_1
	v_cndmask_b32_e32 v118, v41, v118, vcc_lo
	v_and_b32_e32 v40, 7, v40
	v_lshl_add_u32 v118, v118, 23, 0x3b800000
	v_cndmask_b32_e32 v103, v103, v40, vcc_lo
	v_and_b32_e32 v40, 0x80000000, v42
	v_lshlrev_b32_e32 v103, 20, v103
	v_or3_b32 v103, v40, v118, v103
.LBB2_2502:                             ;   in Loop: Header=BB2_1978 Depth=2
	s_or_b32 exec_lo, exec_lo, s40
	v_add_f32_e32 v103, v98, v103
	v_and_b32_e32 v98, 0x7f800000, v103
	v_cmp_ne_u32_e32 vcc_lo, 0x7f800000, v98
	v_mov_b32_e32 v98, 0x80
	s_and_saveexec_b32 s40, vcc_lo
	s_cbranch_execz .LBB2_2510
; %bb.2503:                             ;   in Loop: Header=BB2_1978 Depth=2
	v_mov_b32_e32 v98, 0
	s_mov_b32 s41, exec_lo
	v_cmpx_ne_u32_e32 0, v103
	s_cbranch_execz .LBB2_2509
; %bb.2504:                             ;   in Loop: Header=BB2_1978 Depth=2
	v_bfe_u32 v98, v103, 23, 8
	v_and_b32_e32 v118, 0x7fffff, v103
	v_sub_nc_u32_e32 v40, 0x78, v98
	v_cmp_gt_u32_e32 vcc_lo, 0x79, v98
	v_or_b32_e32 v41, 0x800000, v118
	v_cndmask_b32_e32 v40, 0, v40, vcc_lo
	v_cmp_eq_u32_e32 vcc_lo, 0, v98
	v_add_nc_u32_e32 v98, 0xffffff89, v98
	v_cndmask_b32_e64 v40, v40, 0x77, vcc_lo
	v_cndmask_b32_e32 v118, v41, v118, vcc_lo
	v_cndmask_b32_e64 v98, v98, 0xffffff8a, vcc_lo
	v_lshl_add_u32 v41, 0x100000, v40, -1
	v_lshrrev_b32_e32 v42, v40, v118
	v_lshlrev_b32_e64 v44, v40, 0x80000
	v_add_nc_u32_e32 v40, v40, v98
	v_and_b32_e32 v118, v41, v118
	v_bfe_u32 v43, v42, 20, 1
	v_cmp_eq_u32_e64 s13, v118, v44
	v_add_nc_u32_e32 v41, -1, v43
	v_cndmask_b32_e64 v118, 0, v41, s13
	v_lshrrev_b32_e32 v41, 23, v42
	s_mov_b32 s13, exec_lo
	v_add_nc_u32_e32 v118, v118, v42
	v_xor_b32_e32 v41, 1, v41
	v_and_b32_e32 v98, 0xfffff, v118
	v_add_nc_u32_e32 v118, v98, v42
                                        ; implicit-def: $vgpr98
	v_cmpx_ne_u32_e64 v40, v41
	s_xor_b32 s13, exec_lo, s13
; %bb.2505:                             ;   in Loop: Header=BB2_1978 Depth=2
	v_cmp_lt_u32_e32 vcc_lo, 0xffffff, v118
	v_sub_nc_u32_e32 v98, v40, v41
	v_cndmask_b32_e64 v40, 0, 1, vcc_lo
	v_add_co_ci_u32_e64 v98, null, 0, v98, vcc_lo
	v_lshrrev_b32_e32 v118, v40, v118
; %bb.2506:                             ;   in Loop: Header=BB2_1978 Depth=2
	s_andn2_saveexec_b32 s13, s13
; %bb.2507:                             ;   in Loop: Header=BB2_1978 Depth=2
	v_bfe_u32 v98, v118, 23, 1
; %bb.2508:                             ;   in Loop: Header=BB2_1978 Depth=2
	s_or_b32 exec_lo, exec_lo, s13
	v_lshrrev_b32_e32 v118, 20, v118
	v_min_i32_e32 v40, 15, v98
	v_cmp_gt_i32_e32 vcc_lo, 16, v98
	v_and_b32_sdwa v103, v103, v80 dst_sel:DWORD dst_unused:UNUSED_PAD src0_sel:BYTE_3 src1_sel:DWORD
	v_lshlrev_b32_e32 v40, 3, v40
	v_cndmask_b32_e32 v118, 7, v118, vcc_lo
	v_and_b32_e32 v40, 0xf8, v40
	v_and_b32_e32 v41, 7, v118
	v_or_b32_e32 v98, v98, v118
	v_or3_b32 v103, v40, v103, v41
	v_cmp_ne_u32_e32 vcc_lo, 0, v98
	v_cndmask_b32_e32 v98, 0, v103, vcc_lo
.LBB2_2509:                             ;   in Loop: Header=BB2_1978 Depth=2
	s_or_b32 exec_lo, exec_lo, s41
.LBB2_2510:                             ;   in Loop: Header=BB2_1978 Depth=2
	s_or_b32 exec_lo, exec_lo, s40
	v_cmp_gt_i16_sdwa s40, v101, v71 src0_sel:BYTE_3 src1_sel:DWORD
	s_mov_b32 s13, 0
	s_and_saveexec_b32 s41, s40
	s_xor_b32 s40, exec_lo, s41
	s_cbranch_execz .LBB2_2620
; %bb.2511:                             ;   in Loop: Header=BB2_1978 Depth=2
	v_cmp_eq_u16_sdwa s42, v101, v80 src0_sel:BYTE_3 src1_sel:DWORD
	s_mov_b32 s13, -1
	s_and_saveexec_b32 s41, s42
; %bb.2512:                             ;   in Loop: Header=BB2_1978 Depth=2
	s_xor_b32 s13, exec_lo, -1
; %bb.2513:                             ;   in Loop: Header=BB2_1978 Depth=2
	s_or_b32 exec_lo, exec_lo, s41
	s_and_b32 s13, s13, exec_lo
	s_or_saveexec_b32 s40, s40
	v_mov_b32_e32 v103, 0x7f800001
	s_xor_b32 exec_lo, exec_lo, s40
	s_cbranch_execnz .LBB2_2621
.LBB2_2514:                             ;   in Loop: Header=BB2_1978 Depth=2
	s_or_b32 exec_lo, exec_lo, s40
	s_and_saveexec_b32 s40, s13
	s_cbranch_execz .LBB2_2516
.LBB2_2515:                             ;   in Loop: Header=BB2_1978 Depth=2
	v_bfe_u32 v103, v101, 24, 3
	v_bfe_u32 v41, v101, 27, 4
	v_ffbh_u32_e32 v118, v103
	v_cmp_eq_u32_e32 vcc_lo, 0, v41
	v_min_u32_e32 v118, 32, v118
	v_subrev_nc_u32_e32 v40, 28, v118
	v_sub_nc_u32_e32 v118, 29, v118
	v_lshlrev_b32_sdwa v40, v40, v101 dst_sel:DWORD dst_unused:UNUSED_PAD src0_sel:DWORD src1_sel:BYTE_3
	v_cndmask_b32_e32 v118, v41, v118, vcc_lo
	v_and_b32_e32 v101, 0x80000000, v101
	v_and_b32_e32 v40, 7, v40
	v_lshl_add_u32 v118, v118, 23, 0x3b800000
	v_cndmask_b32_e32 v103, v103, v40, vcc_lo
	v_lshlrev_b32_e32 v103, 20, v103
	v_or3_b32 v103, v101, v118, v103
.LBB2_2516:                             ;   in Loop: Header=BB2_1978 Depth=2
	s_or_b32 exec_lo, exec_lo, s40
	v_cmp_gt_i16_sdwa s40, v13, v71 src0_sel:BYTE_3 src1_sel:DWORD
	s_mov_b32 s13, 0
	s_and_saveexec_b32 s41, s40
	s_xor_b32 s40, exec_lo, s41
	s_cbranch_execz .LBB2_2622
; %bb.2517:                             ;   in Loop: Header=BB2_1978 Depth=2
	v_cmp_eq_u16_sdwa s42, v13, v80 src0_sel:BYTE_3 src1_sel:DWORD
	s_mov_b32 s13, -1
	s_and_saveexec_b32 s41, s42
; %bb.2518:                             ;   in Loop: Header=BB2_1978 Depth=2
	s_xor_b32 s13, exec_lo, -1
; %bb.2519:                             ;   in Loop: Header=BB2_1978 Depth=2
	s_or_b32 exec_lo, exec_lo, s41
	s_and_b32 s13, s13, exec_lo
	s_or_saveexec_b32 s40, s40
	v_mov_b32_e32 v101, 0x7f800001
	s_xor_b32 exec_lo, exec_lo, s40
	s_cbranch_execnz .LBB2_2623
.LBB2_2520:                             ;   in Loop: Header=BB2_1978 Depth=2
	s_or_b32 exec_lo, exec_lo, s40
	s_and_saveexec_b32 s40, s13
	s_cbranch_execz .LBB2_2522
.LBB2_2521:                             ;   in Loop: Header=BB2_1978 Depth=2
	v_and_b32_sdwa v101, v13, v84 dst_sel:DWORD dst_unused:UNUSED_PAD src0_sel:BYTE_3 src1_sel:DWORD
	v_bfe_u32 v41, v13, 27, 4
	v_ffbh_u32_e32 v118, v101
	v_cmp_eq_u32_e32 vcc_lo, 0, v41
	v_min_u32_e32 v118, 32, v118
	v_subrev_nc_u32_e32 v40, 28, v118
	v_sub_nc_u32_e32 v118, 29, v118
	v_lshlrev_b32_sdwa v40, v40, v13 dst_sel:DWORD dst_unused:UNUSED_PAD src0_sel:DWORD src1_sel:BYTE_3
	v_cndmask_b32_e32 v118, v41, v118, vcc_lo
	v_and_b32_e32 v13, 0x80000000, v13
	v_and_b32_e32 v40, 7, v40
	v_lshl_add_u32 v118, v118, 23, 0x3b800000
	v_cndmask_b32_e32 v101, v101, v40, vcc_lo
	v_lshlrev_b32_e32 v101, 20, v101
	v_or3_b32 v101, v13, v118, v101
.LBB2_2522:                             ;   in Loop: Header=BB2_1978 Depth=2
	s_or_b32 exec_lo, exec_lo, s40
	v_add_f32_e32 v13, v103, v101
	v_and_b32_e32 v101, 0x7f800000, v13
	v_cmp_ne_u32_e32 vcc_lo, 0x7f800000, v101
	v_mov_b32_e32 v101, 0x8000
	s_and_saveexec_b32 s40, vcc_lo
	s_cbranch_execz .LBB2_1977
; %bb.2523:                             ;   in Loop: Header=BB2_1978 Depth=2
	v_mov_b32_e32 v101, 0
	s_mov_b32 s41, exec_lo
	v_cmpx_ne_u32_e32 0, v13
	s_cbranch_execz .LBB2_1976
; %bb.2524:                             ;   in Loop: Header=BB2_1978 Depth=2
	v_bfe_u32 v101, v13, 23, 8
	v_and_b32_e32 v103, 0x7fffff, v13
	v_sub_nc_u32_e32 v118, 0x78, v101
	v_cmp_gt_u32_e32 vcc_lo, 0x79, v101
	v_or_b32_e32 v40, 0x800000, v103
	v_cndmask_b32_e32 v118, 0, v118, vcc_lo
	v_cmp_eq_u32_e32 vcc_lo, 0, v101
	v_add_nc_u32_e32 v101, 0xffffff89, v101
	v_cndmask_b32_e64 v118, v118, 0x77, vcc_lo
	v_cndmask_b32_e32 v103, v40, v103, vcc_lo
	v_cndmask_b32_e64 v101, v101, 0xffffff8a, vcc_lo
	v_lshl_add_u32 v40, 0x100000, v118, -1
	v_lshrrev_b32_e32 v41, v118, v103
	v_lshlrev_b32_e64 v43, v118, 0x80000
	v_add_nc_u32_e32 v118, v118, v101
	v_and_b32_e32 v103, v40, v103
	v_bfe_u32 v42, v41, 20, 1
	v_cmp_eq_u32_e64 s13, v103, v43
	v_add_nc_u32_e32 v40, -1, v42
	v_cndmask_b32_e64 v103, 0, v40, s13
	v_lshrrev_b32_e32 v40, 23, v41
	s_mov_b32 s13, exec_lo
	v_add_nc_u32_e32 v103, v103, v41
	v_xor_b32_e32 v40, 1, v40
	v_and_b32_e32 v101, 0xfffff, v103
	v_add_nc_u32_e32 v103, v101, v41
                                        ; implicit-def: $vgpr101
	v_cmpx_ne_u32_e64 v118, v40
	s_xor_b32 s13, exec_lo, s13
; %bb.2525:                             ;   in Loop: Header=BB2_1978 Depth=2
	v_cmp_lt_u32_e32 vcc_lo, 0xffffff, v103
	v_sub_nc_u32_e32 v101, v118, v40
	v_cndmask_b32_e64 v118, 0, 1, vcc_lo
	v_add_co_ci_u32_e64 v101, null, 0, v101, vcc_lo
	v_lshrrev_b32_e32 v103, v118, v103
; %bb.2526:                             ;   in Loop: Header=BB2_1978 Depth=2
	s_andn2_saveexec_b32 s13, s13
	s_cbranch_execz .LBB2_1975
; %bb.2527:                             ;   in Loop: Header=BB2_1978 Depth=2
	v_bfe_u32 v101, v103, 23, 1
	s_branch .LBB2_1975
.LBB2_2528:                             ;   in Loop: Header=BB2_1978 Depth=2
	s_or_saveexec_b32 s41, s41
	v_mov_b32_e32 v97, 0x7f800001
	s_xor_b32 exec_lo, exec_lo, s41
	s_cbranch_execz .LBB2_1990
.LBB2_2529:                             ;   in Loop: Header=BB2_1978 Depth=2
	v_cmp_ne_u16_sdwa s42, v10, v29 src0_sel:BYTE_0 src1_sel:DWORD
	v_mov_b32_e32 v97, 0
	s_andn2_b32 s13, s13, exec_lo
	s_and_b32 s42, s42, exec_lo
	s_or_b32 s13, s13, s42
	s_or_b32 exec_lo, exec_lo, s41
	s_and_saveexec_b32 s41, s13
	s_cbranch_execnz .LBB2_1991
	s_branch .LBB2_1992
.LBB2_2530:                             ;   in Loop: Header=BB2_1978 Depth=2
	s_or_saveexec_b32 s41, s41
	v_mov_b32_e32 v98, 0x7f800001
	s_xor_b32 exec_lo, exec_lo, s41
	s_cbranch_execz .LBB2_2004
.LBB2_2531:                             ;   in Loop: Header=BB2_1978 Depth=2
	v_cmp_ne_u16_sdwa s42, v10, v29 src0_sel:BYTE_1 src1_sel:DWORD
	v_mov_b32_e32 v98, 0
	s_andn2_b32 s13, s13, exec_lo
	s_and_b32 s42, s42, exec_lo
	s_or_b32 s13, s13, s42
	s_or_b32 exec_lo, exec_lo, s41
	s_and_saveexec_b32 s41, s13
	s_cbranch_execnz .LBB2_2005
	s_branch .LBB2_2006
.LBB2_2532:                             ;   in Loop: Header=BB2_1978 Depth=2
	s_or_saveexec_b32 s41, s41
	v_mov_b32_e32 v98, 0x7f800001
	s_xor_b32 exec_lo, exec_lo, s41
	s_cbranch_execz .LBB2_2018
.LBB2_2533:                             ;   in Loop: Header=BB2_1978 Depth=2
	v_cmp_ne_u16_e32 vcc_lo, 0, v99
	v_mov_b32_e32 v98, 0
	s_andn2_b32 s13, s13, exec_lo
	s_and_b32 s42, vcc_lo, exec_lo
	s_or_b32 s13, s13, s42
	s_or_b32 exec_lo, exec_lo, s41
	s_and_saveexec_b32 s41, s13
	s_cbranch_execnz .LBB2_2019
	s_branch .LBB2_2020
.LBB2_2534:                             ;   in Loop: Header=BB2_1978 Depth=2
	s_or_saveexec_b32 s41, s41
	v_mov_b32_e32 v98, 0x7f800001
	s_xor_b32 exec_lo, exec_lo, s41
	s_cbranch_execz .LBB2_2032
.LBB2_2535:                             ;   in Loop: Header=BB2_1978 Depth=2
	v_cmp_ne_u16_sdwa s42, v10, v29 src0_sel:BYTE_3 src1_sel:DWORD
	v_mov_b32_e32 v98, 0
	s_andn2_b32 s13, s13, exec_lo
	s_and_b32 s42, s42, exec_lo
	s_or_b32 s13, s13, s42
	s_or_b32 exec_lo, exec_lo, s41
	s_and_saveexec_b32 s41, s13
	s_cbranch_execnz .LBB2_2033
	s_branch .LBB2_2034
.LBB2_2536:                             ;   in Loop: Header=BB2_1978 Depth=2
	s_or_saveexec_b32 s41, s41
	v_mov_b32_e32 v10, 0x7f800001
	s_xor_b32 exec_lo, exec_lo, s41
	s_cbranch_execz .LBB2_2046
.LBB2_2537:                             ;   in Loop: Header=BB2_1978 Depth=2
	v_cmp_ne_u16_sdwa s42, v11, v29 src0_sel:BYTE_0 src1_sel:DWORD
	v_mov_b32_e32 v10, 0
	s_andn2_b32 s13, s13, exec_lo
	s_and_b32 s42, s42, exec_lo
	s_or_b32 s13, s13, s42
	s_or_b32 exec_lo, exec_lo, s41
	s_and_saveexec_b32 s41, s13
	s_cbranch_execnz .LBB2_2047
	s_branch .LBB2_2048
.LBB2_2538:                             ;   in Loop: Header=BB2_1978 Depth=2
	s_or_saveexec_b32 s41, s41
	v_mov_b32_e32 v10, 0x7f800001
	s_xor_b32 exec_lo, exec_lo, s41
	s_cbranch_execz .LBB2_2060
.LBB2_2539:                             ;   in Loop: Header=BB2_1978 Depth=2
	v_cmp_ne_u16_sdwa s42, v11, v29 src0_sel:BYTE_1 src1_sel:DWORD
	v_mov_b32_e32 v10, 0
	s_andn2_b32 s13, s13, exec_lo
	s_and_b32 s42, s42, exec_lo
	s_or_b32 s13, s13, s42
	s_or_b32 exec_lo, exec_lo, s41
	s_and_saveexec_b32 s41, s13
	s_cbranch_execnz .LBB2_2061
	s_branch .LBB2_2062
.LBB2_2540:                             ;   in Loop: Header=BB2_1978 Depth=2
	s_or_saveexec_b32 s41, s41
	v_mov_b32_e32 v10, 0x7f800001
	s_xor_b32 exec_lo, exec_lo, s41
	s_cbranch_execz .LBB2_2074
.LBB2_2541:                             ;   in Loop: Header=BB2_1978 Depth=2
	v_cmp_ne_u16_e32 vcc_lo, 0, v98
	v_mov_b32_e32 v10, 0
	s_andn2_b32 s13, s13, exec_lo
	s_and_b32 s42, vcc_lo, exec_lo
	s_or_b32 s13, s13, s42
	s_or_b32 exec_lo, exec_lo, s41
	s_and_saveexec_b32 s41, s13
	s_cbranch_execnz .LBB2_2075
	s_branch .LBB2_2076
.LBB2_2542:                             ;   in Loop: Header=BB2_1978 Depth=2
	s_or_saveexec_b32 s41, s41
	v_mov_b32_e32 v10, 0x7f800001
	s_xor_b32 exec_lo, exec_lo, s41
	s_cbranch_execz .LBB2_2088
.LBB2_2543:                             ;   in Loop: Header=BB2_1978 Depth=2
	v_cmp_ne_u16_sdwa s42, v11, v29 src0_sel:BYTE_3 src1_sel:DWORD
	v_mov_b32_e32 v10, 0
	s_andn2_b32 s13, s13, exec_lo
	s_and_b32 s42, s42, exec_lo
	s_or_b32 s13, s13, s42
	s_or_b32 exec_lo, exec_lo, s41
	s_and_saveexec_b32 s41, s13
	s_cbranch_execnz .LBB2_2089
	s_branch .LBB2_2090
.LBB2_2544:                             ;   in Loop: Header=BB2_1978 Depth=2
	s_or_saveexec_b32 s41, s41
	v_mov_b32_e32 v10, 0x7f800001
	s_xor_b32 exec_lo, exec_lo, s41
	s_cbranch_execz .LBB2_2102
.LBB2_2545:                             ;   in Loop: Header=BB2_1978 Depth=2
	v_cmp_ne_u16_sdwa s42, v12, v29 src0_sel:BYTE_0 src1_sel:DWORD
	v_mov_b32_e32 v10, 0
	s_andn2_b32 s13, s13, exec_lo
	s_and_b32 s42, s42, exec_lo
	s_or_b32 s13, s13, s42
	s_or_b32 exec_lo, exec_lo, s41
	s_and_saveexec_b32 s41, s13
	s_cbranch_execnz .LBB2_2103
	s_branch .LBB2_2104
.LBB2_2546:                             ;   in Loop: Header=BB2_1978 Depth=2
	s_or_saveexec_b32 s41, s41
	v_mov_b32_e32 v10, 0x7f800001
	s_xor_b32 exec_lo, exec_lo, s41
	s_cbranch_execz .LBB2_2116
.LBB2_2547:                             ;   in Loop: Header=BB2_1978 Depth=2
	v_cmp_ne_u16_sdwa s42, v12, v29 src0_sel:BYTE_1 src1_sel:DWORD
	v_mov_b32_e32 v10, 0
	s_andn2_b32 s13, s13, exec_lo
	s_and_b32 s42, s42, exec_lo
	s_or_b32 s13, s13, s42
	s_or_b32 exec_lo, exec_lo, s41
	s_and_saveexec_b32 s41, s13
	s_cbranch_execnz .LBB2_2117
	s_branch .LBB2_2118
.LBB2_2548:                             ;   in Loop: Header=BB2_1978 Depth=2
	s_or_saveexec_b32 s41, s41
	v_mov_b32_e32 v10, 0x7f800001
	s_xor_b32 exec_lo, exec_lo, s41
	s_cbranch_execz .LBB2_2130
.LBB2_2549:                             ;   in Loop: Header=BB2_1978 Depth=2
	v_cmp_ne_u16_e32 vcc_lo, 0, v11
	v_mov_b32_e32 v10, 0
	s_andn2_b32 s13, s13, exec_lo
	s_and_b32 s42, vcc_lo, exec_lo
	s_or_b32 s13, s13, s42
	s_or_b32 exec_lo, exec_lo, s41
	s_and_saveexec_b32 s41, s13
	s_cbranch_execnz .LBB2_2131
	s_branch .LBB2_2132
.LBB2_2550:                             ;   in Loop: Header=BB2_1978 Depth=2
	s_or_saveexec_b32 s41, s41
	v_mov_b32_e32 v10, 0x7f800001
	s_xor_b32 exec_lo, exec_lo, s41
	s_cbranch_execz .LBB2_2144
.LBB2_2551:                             ;   in Loop: Header=BB2_1978 Depth=2
	v_cmp_ne_u16_sdwa s42, v12, v29 src0_sel:BYTE_3 src1_sel:DWORD
	v_mov_b32_e32 v10, 0
	s_andn2_b32 s13, s13, exec_lo
	s_and_b32 s42, s42, exec_lo
	s_or_b32 s13, s13, s42
	s_or_b32 exec_lo, exec_lo, s41
	s_and_saveexec_b32 s41, s13
	s_cbranch_execnz .LBB2_2145
	s_branch .LBB2_2146
.LBB2_2552:                             ;   in Loop: Header=BB2_1978 Depth=2
	s_or_saveexec_b32 s41, s41
	v_mov_b32_e32 v10, 0x7f800001
	s_xor_b32 exec_lo, exec_lo, s41
	s_cbranch_execz .LBB2_2158
.LBB2_2553:                             ;   in Loop: Header=BB2_1978 Depth=2
	v_cmp_ne_u16_sdwa s42, v13, v29 src0_sel:BYTE_0 src1_sel:DWORD
	v_mov_b32_e32 v10, 0
	s_andn2_b32 s13, s13, exec_lo
	s_and_b32 s42, s42, exec_lo
	s_or_b32 s13, s13, s42
	s_or_b32 exec_lo, exec_lo, s41
	s_and_saveexec_b32 s41, s13
	s_cbranch_execnz .LBB2_2159
	s_branch .LBB2_2160
.LBB2_2554:                             ;   in Loop: Header=BB2_1978 Depth=2
	s_or_saveexec_b32 s41, s41
	v_mov_b32_e32 v10, 0x7f800001
	s_xor_b32 exec_lo, exec_lo, s41
	s_cbranch_execz .LBB2_2172
.LBB2_2555:                             ;   in Loop: Header=BB2_1978 Depth=2
	v_cmp_ne_u16_sdwa s42, v13, v29 src0_sel:BYTE_1 src1_sel:DWORD
	v_mov_b32_e32 v10, 0
	s_andn2_b32 s13, s13, exec_lo
	s_and_b32 s42, s42, exec_lo
	s_or_b32 s13, s13, s42
	s_or_b32 exec_lo, exec_lo, s41
	s_and_saveexec_b32 s41, s13
	s_cbranch_execnz .LBB2_2173
	s_branch .LBB2_2174
.LBB2_2556:                             ;   in Loop: Header=BB2_1978 Depth=2
	s_or_saveexec_b32 s41, s41
	v_mov_b32_e32 v10, 0x7f800001
	s_xor_b32 exec_lo, exec_lo, s41
	s_cbranch_execz .LBB2_2186
.LBB2_2557:                             ;   in Loop: Header=BB2_1978 Depth=2
	v_cmp_ne_u16_e32 vcc_lo, 0, v11
	v_mov_b32_e32 v10, 0
	s_andn2_b32 s13, s13, exec_lo
	s_and_b32 s42, vcc_lo, exec_lo
	s_or_b32 s13, s13, s42
	s_or_b32 exec_lo, exec_lo, s41
	s_and_saveexec_b32 s41, s13
	s_cbranch_execnz .LBB2_2187
	s_branch .LBB2_2188
.LBB2_2558:                             ;   in Loop: Header=BB2_1978 Depth=2
	s_or_saveexec_b32 s41, s41
	v_mov_b32_e32 v10, 0x7f800001
	s_xor_b32 exec_lo, exec_lo, s41
	s_cbranch_execz .LBB2_2200
.LBB2_2559:                             ;   in Loop: Header=BB2_1978 Depth=2
	v_cmp_ne_u16_sdwa s42, v13, v29 src0_sel:BYTE_3 src1_sel:DWORD
	v_mov_b32_e32 v10, 0
	s_andn2_b32 s13, s13, exec_lo
	s_and_b32 s42, s42, exec_lo
	s_or_b32 s13, s13, s42
	s_or_b32 exec_lo, exec_lo, s41
	s_and_saveexec_b32 s41, s13
	s_cbranch_execnz .LBB2_2201
	s_branch .LBB2_2202
.LBB2_2560:                             ;   in Loop: Header=BB2_1978 Depth=2
	s_or_saveexec_b32 s40, s40
	v_mov_b32_e32 v97, 0x7f800001
	s_xor_b32 exec_lo, exec_lo, s40
	s_cbranch_execz .LBB2_2214
.LBB2_2561:                             ;   in Loop: Header=BB2_1978 Depth=2
	v_cmp_ne_u16_sdwa s41, v41, v29 src0_sel:BYTE_0 src1_sel:DWORD
	v_mov_b32_e32 v97, 0
	s_andn2_b32 s13, s13, exec_lo
	s_and_b32 s41, s41, exec_lo
	s_or_b32 s13, s13, s41
	s_or_b32 exec_lo, exec_lo, s40
	s_and_saveexec_b32 s40, s13
	s_cbranch_execnz .LBB2_2215
	s_branch .LBB2_2216
.LBB2_2562:                             ;   in Loop: Header=BB2_1978 Depth=2
	s_or_saveexec_b32 s40, s40
	v_mov_b32_e32 v100, 0x7f800001
	s_xor_b32 exec_lo, exec_lo, s40
	s_cbranch_execz .LBB2_2220
.LBB2_2563:                             ;   in Loop: Header=BB2_1978 Depth=2
	v_cmp_ne_u16_sdwa s41, v10, v29 src0_sel:BYTE_0 src1_sel:DWORD
	v_mov_b32_e32 v100, 0
	s_andn2_b32 s13, s13, exec_lo
	s_and_b32 s41, s41, exec_lo
	s_or_b32 s13, s13, s41
	s_or_b32 exec_lo, exec_lo, s40
	s_and_saveexec_b32 s40, s13
	s_cbranch_execnz .LBB2_2221
	s_branch .LBB2_2222
.LBB2_2564:                             ;   in Loop: Header=BB2_1978 Depth=2
	s_or_saveexec_b32 s40, s40
	v_mov_b32_e32 v100, 0x7f800001
	s_xor_b32 exec_lo, exec_lo, s40
	s_cbranch_execz .LBB2_2234
.LBB2_2565:                             ;   in Loop: Header=BB2_1978 Depth=2
	v_cmp_ne_u16_sdwa s41, v41, v29 src0_sel:BYTE_1 src1_sel:DWORD
	v_mov_b32_e32 v100, 0
	s_andn2_b32 s13, s13, exec_lo
	s_and_b32 s41, s41, exec_lo
	s_or_b32 s13, s13, s41
	s_or_b32 exec_lo, exec_lo, s40
	s_and_saveexec_b32 s40, s13
	s_cbranch_execnz .LBB2_2235
	s_branch .LBB2_2236
.LBB2_2566:                             ;   in Loop: Header=BB2_1978 Depth=2
	s_or_saveexec_b32 s40, s40
	v_mov_b32_e32 v42, 0x7f800001
	s_xor_b32 exec_lo, exec_lo, s40
	s_cbranch_execz .LBB2_2240
.LBB2_2567:                             ;   in Loop: Header=BB2_1978 Depth=2
	v_cmp_ne_u16_sdwa s41, v10, v29 src0_sel:BYTE_1 src1_sel:DWORD
	v_mov_b32_e32 v42, 0
	s_andn2_b32 s13, s13, exec_lo
	s_and_b32 s41, s41, exec_lo
	s_or_b32 s13, s13, s41
	s_or_b32 exec_lo, exec_lo, s40
	s_and_saveexec_b32 s40, s13
	s_cbranch_execnz .LBB2_2241
	s_branch .LBB2_2242
.LBB2_2568:                             ;   in Loop: Header=BB2_1978 Depth=2
	s_or_saveexec_b32 s40, s40
	v_mov_b32_e32 v113, 0x7f800001
	s_xor_b32 exec_lo, exec_lo, s40
	s_cbranch_execz .LBB2_2254
.LBB2_2569:                             ;   in Loop: Header=BB2_1978 Depth=2
	v_cmp_ne_u16_sdwa s41, v40, v29 src0_sel:BYTE_0 src1_sel:DWORD
	v_mov_b32_e32 v113, 0
	s_andn2_b32 s13, s13, exec_lo
	s_and_b32 s41, s41, exec_lo
	s_or_b32 s13, s13, s41
	s_or_b32 exec_lo, exec_lo, s40
	v_lshl_or_b32 v40, v40, 16, v41
	s_and_saveexec_b32 s40, s13
	s_cbranch_execnz .LBB2_2255
	s_branch .LBB2_2256
.LBB2_2570:                             ;   in Loop: Header=BB2_1978 Depth=2
	s_or_saveexec_b32 s40, s40
	v_mov_b32_e32 v41, 0x7f800001
	s_xor_b32 exec_lo, exec_lo, s40
	s_cbranch_execz .LBB2_2260
.LBB2_2571:                             ;   in Loop: Header=BB2_1978 Depth=2
	v_cmp_ne_u16_e32 vcc_lo, 0, v42
	v_mov_b32_e32 v41, 0
	s_andn2_b32 s13, s13, exec_lo
	s_and_b32 s41, vcc_lo, exec_lo
	s_or_b32 s13, s13, s41
	s_or_b32 exec_lo, exec_lo, s40
	s_and_saveexec_b32 s40, s13
	s_cbranch_execnz .LBB2_2261
	s_branch .LBB2_2262
.LBB2_2572:                             ;   in Loop: Header=BB2_1978 Depth=2
	s_or_saveexec_b32 s40, s40
	v_mov_b32_e32 v41, 0x7f800001
	s_xor_b32 exec_lo, exec_lo, s40
	s_cbranch_execz .LBB2_2274
.LBB2_2573:                             ;   in Loop: Header=BB2_1978 Depth=2
	v_cmp_ne_u16_sdwa s41, v40, v29 src0_sel:BYTE_3 src1_sel:DWORD
	v_mov_b32_e32 v41, 0
	s_andn2_b32 s13, s13, exec_lo
	s_and_b32 s41, s41, exec_lo
	s_or_b32 s13, s13, s41
	s_or_b32 exec_lo, exec_lo, s40
	s_and_saveexec_b32 s40, s13
	s_cbranch_execnz .LBB2_2275
	s_branch .LBB2_2276
.LBB2_2574:                             ;   in Loop: Header=BB2_1978 Depth=2
	s_or_saveexec_b32 s40, s40
	v_mov_b32_e32 v40, 0x7f800001
	s_xor_b32 exec_lo, exec_lo, s40
	s_cbranch_execz .LBB2_2280
.LBB2_2575:                             ;   in Loop: Header=BB2_1978 Depth=2
	v_cmp_ne_u16_sdwa s41, v10, v29 src0_sel:BYTE_3 src1_sel:DWORD
	v_mov_b32_e32 v40, 0
	s_andn2_b32 s13, s13, exec_lo
	s_and_b32 s41, s41, exec_lo
	s_or_b32 s13, s13, s41
	s_or_b32 exec_lo, exec_lo, s40
	s_and_saveexec_b32 s40, s13
	s_cbranch_execnz .LBB2_2281
	s_branch .LBB2_2282
.LBB2_2576:                             ;   in Loop: Header=BB2_1978 Depth=2
	s_or_saveexec_b32 s40, s40
	v_mov_b32_e32 v117, 0x7f800001
	s_xor_b32 exec_lo, exec_lo, s40
	s_cbranch_execz .LBB2_2294
.LBB2_2577:                             ;   in Loop: Header=BB2_1978 Depth=2
	v_cmp_ne_u16_sdwa s41, v40, v29 src0_sel:BYTE_0 src1_sel:DWORD
	v_mov_b32_e32 v117, 0
	s_andn2_b32 s13, s13, exec_lo
	s_and_b32 s41, s41, exec_lo
	s_or_b32 s13, s13, s41
	s_or_b32 exec_lo, exec_lo, s40
	s_and_saveexec_b32 s40, s13
	s_cbranch_execnz .LBB2_2295
	s_branch .LBB2_2296
.LBB2_2578:                             ;   in Loop: Header=BB2_1978 Depth=2
	s_or_saveexec_b32 s40, s40
	v_mov_b32_e32 v119, 0x7f800001
	s_xor_b32 exec_lo, exec_lo, s40
	s_cbranch_execz .LBB2_2300
.LBB2_2579:                             ;   in Loop: Header=BB2_1978 Depth=2
	v_cmp_ne_u16_sdwa s41, v11, v29 src0_sel:BYTE_0 src1_sel:DWORD
	v_mov_b32_e32 v119, 0
	s_andn2_b32 s13, s13, exec_lo
	s_and_b32 s41, s41, exec_lo
	s_or_b32 s13, s13, s41
	s_or_b32 exec_lo, exec_lo, s40
	s_and_saveexec_b32 s40, s13
	s_cbranch_execnz .LBB2_2301
	s_branch .LBB2_2302
.LBB2_2580:                             ;   in Loop: Header=BB2_1978 Depth=2
	s_or_saveexec_b32 s40, s40
	v_mov_b32_e32 v119, 0x7f800001
	s_xor_b32 exec_lo, exec_lo, s40
	s_cbranch_execz .LBB2_2314
.LBB2_2581:                             ;   in Loop: Header=BB2_1978 Depth=2
	v_cmp_ne_u16_sdwa s41, v40, v29 src0_sel:BYTE_1 src1_sel:DWORD
	v_mov_b32_e32 v119, 0
	s_andn2_b32 s13, s13, exec_lo
	s_and_b32 s41, s41, exec_lo
	s_or_b32 s13, s13, s41
	s_or_b32 exec_lo, exec_lo, s40
	s_and_saveexec_b32 s40, s13
	s_cbranch_execnz .LBB2_2315
	s_branch .LBB2_2316
.LBB2_2582:                             ;   in Loop: Header=BB2_1978 Depth=2
	s_or_saveexec_b32 s40, s40
	v_mov_b32_e32 v41, 0x7f800001
	s_xor_b32 exec_lo, exec_lo, s40
	s_cbranch_execz .LBB2_2320
.LBB2_2583:                             ;   in Loop: Header=BB2_1978 Depth=2
	v_cmp_ne_u16_sdwa s41, v11, v29 src0_sel:BYTE_1 src1_sel:DWORD
	v_mov_b32_e32 v41, 0
	s_andn2_b32 s13, s13, exec_lo
	s_and_b32 s41, s41, exec_lo
	s_or_b32 s13, s13, s41
	s_or_b32 exec_lo, exec_lo, s40
	s_and_saveexec_b32 s40, s13
	s_cbranch_execnz .LBB2_2321
	s_branch .LBB2_2322
.LBB2_2584:                             ;   in Loop: Header=BB2_1978 Depth=2
	s_or_saveexec_b32 s40, s40
	v_mov_b32_e32 v115, 0x7f800001
	s_xor_b32 exec_lo, exec_lo, s40
	s_cbranch_execz .LBB2_2334
.LBB2_2585:                             ;   in Loop: Header=BB2_1978 Depth=2
	v_cmp_ne_u16_sdwa s41, v118, v29 src0_sel:BYTE_0 src1_sel:DWORD
	v_mov_b32_e32 v115, 0
	s_andn2_b32 s13, s13, exec_lo
	s_and_b32 s41, s41, exec_lo
	s_or_b32 s13, s13, s41
	s_or_b32 exec_lo, exec_lo, s40
	v_lshl_or_b32 v118, v118, 16, v40
	s_and_saveexec_b32 s40, s13
	s_cbranch_execnz .LBB2_2335
	s_branch .LBB2_2336
.LBB2_2586:                             ;   in Loop: Header=BB2_1978 Depth=2
	s_or_saveexec_b32 s40, s40
	v_mov_b32_e32 v40, 0x7f800001
	s_xor_b32 exec_lo, exec_lo, s40
	s_cbranch_execz .LBB2_2340
.LBB2_2587:                             ;   in Loop: Header=BB2_1978 Depth=2
	v_cmp_ne_u16_e32 vcc_lo, 0, v41
	v_mov_b32_e32 v40, 0
	s_andn2_b32 s13, s13, exec_lo
	s_and_b32 s41, vcc_lo, exec_lo
	s_or_b32 s13, s13, s41
	s_or_b32 exec_lo, exec_lo, s40
	s_and_saveexec_b32 s40, s13
	s_cbranch_execnz .LBB2_2341
	s_branch .LBB2_2342
.LBB2_2588:                             ;   in Loop: Header=BB2_1978 Depth=2
	s_or_saveexec_b32 s40, s40
	v_mov_b32_e32 v40, 0x7f800001
	s_xor_b32 exec_lo, exec_lo, s40
	s_cbranch_execz .LBB2_2354
.LBB2_2589:                             ;   in Loop: Header=BB2_1978 Depth=2
	v_cmp_ne_u16_sdwa s41, v118, v29 src0_sel:BYTE_3 src1_sel:DWORD
	v_mov_b32_e32 v40, 0
	s_andn2_b32 s13, s13, exec_lo
	s_and_b32 s41, s41, exec_lo
	s_or_b32 s13, s13, s41
	s_or_b32 exec_lo, exec_lo, s40
	s_and_saveexec_b32 s40, s13
	s_cbranch_execnz .LBB2_2355
	s_branch .LBB2_2356
.LBB2_2590:                             ;   in Loop: Header=BB2_1978 Depth=2
	s_or_saveexec_b32 s40, s40
	v_mov_b32_e32 v118, 0x7f800001
	s_xor_b32 exec_lo, exec_lo, s40
	s_cbranch_execz .LBB2_2360
.LBB2_2591:                             ;   in Loop: Header=BB2_1978 Depth=2
	v_cmp_ne_u16_sdwa s41, v11, v29 src0_sel:BYTE_3 src1_sel:DWORD
	v_mov_b32_e32 v118, 0
	s_andn2_b32 s13, s13, exec_lo
	s_and_b32 s41, s41, exec_lo
	s_or_b32 s13, s13, s41
	s_or_b32 exec_lo, exec_lo, s40
	s_and_saveexec_b32 s40, s13
	s_cbranch_execnz .LBB2_2361
	s_branch .LBB2_2362
.LBB2_2592:                             ;   in Loop: Header=BB2_1978 Depth=2
	s_or_saveexec_b32 s40, s40
	v_mov_b32_e32 v112, 0x7f800001
	s_xor_b32 exec_lo, exec_lo, s40
	s_cbranch_execz .LBB2_2374
.LBB2_2593:                             ;   in Loop: Header=BB2_1978 Depth=2
	v_cmp_ne_u16_sdwa s41, v118, v29 src0_sel:BYTE_0 src1_sel:DWORD
	v_mov_b32_e32 v112, 0
	s_andn2_b32 s13, s13, exec_lo
	s_and_b32 s41, s41, exec_lo
	s_or_b32 s13, s13, s41
	s_or_b32 exec_lo, exec_lo, s40
	s_and_saveexec_b32 s40, s13
	s_cbranch_execnz .LBB2_2375
	s_branch .LBB2_2376
.LBB2_2594:                             ;   in Loop: Header=BB2_1978 Depth=2
	s_or_saveexec_b32 s40, s40
	v_mov_b32_e32 v116, 0x7f800001
	s_xor_b32 exec_lo, exec_lo, s40
	s_cbranch_execz .LBB2_2380
.LBB2_2595:                             ;   in Loop: Header=BB2_1978 Depth=2
	v_cmp_ne_u16_sdwa s41, v12, v29 src0_sel:BYTE_0 src1_sel:DWORD
	v_mov_b32_e32 v116, 0
	s_andn2_b32 s13, s13, exec_lo
	s_and_b32 s41, s41, exec_lo
	s_or_b32 s13, s13, s41
	s_or_b32 exec_lo, exec_lo, s40
	s_and_saveexec_b32 s40, s13
	s_cbranch_execnz .LBB2_2381
	s_branch .LBB2_2382
.LBB2_2596:                             ;   in Loop: Header=BB2_1978 Depth=2
	s_or_saveexec_b32 s40, s40
	v_mov_b32_e32 v116, 0x7f800001
	s_xor_b32 exec_lo, exec_lo, s40
	s_cbranch_execz .LBB2_2394
.LBB2_2597:                             ;   in Loop: Header=BB2_1978 Depth=2
	v_cmp_ne_u16_sdwa s41, v118, v29 src0_sel:BYTE_1 src1_sel:DWORD
	v_mov_b32_e32 v116, 0
	s_andn2_b32 s13, s13, exec_lo
	s_and_b32 s41, s41, exec_lo
	s_or_b32 s13, s13, s41
	s_or_b32 exec_lo, exec_lo, s40
	s_and_saveexec_b32 s40, s13
	s_cbranch_execnz .LBB2_2395
	s_branch .LBB2_2396
.LBB2_2598:                             ;   in Loop: Header=BB2_1978 Depth=2
	s_or_saveexec_b32 s40, s40
	v_mov_b32_e32 v40, 0x7f800001
	s_xor_b32 exec_lo, exec_lo, s40
	s_cbranch_execz .LBB2_2400
.LBB2_2599:                             ;   in Loop: Header=BB2_1978 Depth=2
	v_cmp_ne_u16_sdwa s41, v12, v29 src0_sel:BYTE_1 src1_sel:DWORD
	v_mov_b32_e32 v40, 0
	s_andn2_b32 s13, s13, exec_lo
	s_and_b32 s41, s41, exec_lo
	s_or_b32 s13, s13, s41
	s_or_b32 exec_lo, exec_lo, s40
	s_and_saveexec_b32 s40, s13
	s_cbranch_execnz .LBB2_2401
	s_branch .LBB2_2402
.LBB2_2600:                             ;   in Loop: Header=BB2_1978 Depth=2
	s_or_saveexec_b32 s40, s40
	v_mov_b32_e32 v102, 0x7f800001
	s_xor_b32 exec_lo, exec_lo, s40
	s_cbranch_execz .LBB2_2414
.LBB2_2601:                             ;   in Loop: Header=BB2_1978 Depth=2
	v_cmp_ne_u16_sdwa s41, v114, v29 src0_sel:BYTE_0 src1_sel:DWORD
	v_mov_b32_e32 v102, 0
	s_andn2_b32 s13, s13, exec_lo
	s_and_b32 s41, s41, exec_lo
	s_or_b32 s13, s13, s41
	s_or_b32 exec_lo, exec_lo, s40
	v_lshl_or_b32 v114, v114, 16, v118
	s_and_saveexec_b32 s40, s13
	s_cbranch_execnz .LBB2_2415
	s_branch .LBB2_2416
.LBB2_2602:                             ;   in Loop: Header=BB2_1978 Depth=2
	s_or_saveexec_b32 s40, s40
	v_mov_b32_e32 v118, 0x7f800001
	s_xor_b32 exec_lo, exec_lo, s40
	s_cbranch_execz .LBB2_2420
.LBB2_2603:                             ;   in Loop: Header=BB2_1978 Depth=2
	v_cmp_ne_u16_e32 vcc_lo, 0, v40
	v_mov_b32_e32 v118, 0
	s_andn2_b32 s13, s13, exec_lo
	s_and_b32 s41, vcc_lo, exec_lo
	s_or_b32 s13, s13, s41
	s_or_b32 exec_lo, exec_lo, s40
	s_and_saveexec_b32 s40, s13
	s_cbranch_execnz .LBB2_2421
	s_branch .LBB2_2422
.LBB2_2604:                             ;   in Loop: Header=BB2_1978 Depth=2
	s_or_saveexec_b32 s40, s40
	v_mov_b32_e32 v118, 0x7f800001
	s_xor_b32 exec_lo, exec_lo, s40
	s_cbranch_execz .LBB2_2434
.LBB2_2605:                             ;   in Loop: Header=BB2_1978 Depth=2
	v_cmp_ne_u16_sdwa s41, v114, v29 src0_sel:BYTE_3 src1_sel:DWORD
	v_mov_b32_e32 v118, 0
	s_andn2_b32 s13, s13, exec_lo
	s_and_b32 s41, s41, exec_lo
	s_or_b32 s13, s13, s41
	s_or_b32 exec_lo, exec_lo, s40
	s_and_saveexec_b32 s40, s13
	s_cbranch_execnz .LBB2_2435
	s_branch .LBB2_2436
.LBB2_2606:                             ;   in Loop: Header=BB2_1978 Depth=2
	s_or_saveexec_b32 s40, s40
	v_mov_b32_e32 v114, 0x7f800001
	s_xor_b32 exec_lo, exec_lo, s40
	s_cbranch_execz .LBB2_2440
.LBB2_2607:                             ;   in Loop: Header=BB2_1978 Depth=2
	v_cmp_ne_u16_sdwa s41, v12, v29 src0_sel:BYTE_3 src1_sel:DWORD
	v_mov_b32_e32 v114, 0
	s_andn2_b32 s13, s13, exec_lo
	s_and_b32 s41, s41, exec_lo
	s_or_b32 s13, s13, s41
	s_or_b32 exec_lo, exec_lo, s40
	s_and_saveexec_b32 s40, s13
	s_cbranch_execnz .LBB2_2441
	s_branch .LBB2_2442
.LBB2_2608:                             ;   in Loop: Header=BB2_1978 Depth=2
	s_or_saveexec_b32 s40, s40
	v_mov_b32_e32 v99, 0x7f800001
	s_xor_b32 exec_lo, exec_lo, s40
	s_cbranch_execz .LBB2_2454
.LBB2_2609:                             ;   in Loop: Header=BB2_1978 Depth=2
	v_cmp_ne_u16_sdwa s41, v103, v29 src0_sel:BYTE_0 src1_sel:DWORD
	v_mov_b32_e32 v99, 0
	s_andn2_b32 s13, s13, exec_lo
	s_and_b32 s41, s41, exec_lo
	s_or_b32 s13, s13, s41
	s_or_b32 exec_lo, exec_lo, s40
	s_and_saveexec_b32 s40, s13
	s_cbranch_execnz .LBB2_2455
	s_branch .LBB2_2456
.LBB2_2610:                             ;   in Loop: Header=BB2_1978 Depth=2
	s_or_saveexec_b32 s40, s40
	v_mov_b32_e32 v114, 0x7f800001
	s_xor_b32 exec_lo, exec_lo, s40
	s_cbranch_execz .LBB2_2460
.LBB2_2611:                             ;   in Loop: Header=BB2_1978 Depth=2
	v_cmp_ne_u16_sdwa s41, v13, v29 src0_sel:BYTE_0 src1_sel:DWORD
	v_mov_b32_e32 v114, 0
	s_andn2_b32 s13, s13, exec_lo
	s_and_b32 s41, s41, exec_lo
	s_or_b32 s13, s13, s41
	s_or_b32 exec_lo, exec_lo, s40
	s_and_saveexec_b32 s40, s13
	s_cbranch_execnz .LBB2_2461
	s_branch .LBB2_2462
.LBB2_2612:                             ;   in Loop: Header=BB2_1978 Depth=2
	s_or_saveexec_b32 s40, s40
	v_mov_b32_e32 v114, 0x7f800001
	s_xor_b32 exec_lo, exec_lo, s40
	s_cbranch_execz .LBB2_2474
.LBB2_2613:                             ;   in Loop: Header=BB2_1978 Depth=2
	v_cmp_ne_u16_sdwa s41, v103, v29 src0_sel:BYTE_1 src1_sel:DWORD
	v_mov_b32_e32 v114, 0
	s_andn2_b32 s13, s13, exec_lo
	s_and_b32 s41, s41, exec_lo
	s_or_b32 s13, s13, s41
	s_or_b32 exec_lo, exec_lo, s40
	s_and_saveexec_b32 s40, s13
	s_cbranch_execnz .LBB2_2475
	s_branch .LBB2_2476
.LBB2_2614:                             ;   in Loop: Header=BB2_1978 Depth=2
	s_or_saveexec_b32 s40, s40
	v_mov_b32_e32 v118, 0x7f800001
	s_xor_b32 exec_lo, exec_lo, s40
	s_cbranch_execz .LBB2_2480
.LBB2_2615:                             ;   in Loop: Header=BB2_1978 Depth=2
	v_cmp_ne_u16_sdwa s41, v13, v29 src0_sel:BYTE_1 src1_sel:DWORD
	v_mov_b32_e32 v118, 0
	s_andn2_b32 s13, s13, exec_lo
	s_and_b32 s41, s41, exec_lo
	s_or_b32 s13, s13, s41
	s_or_b32 exec_lo, exec_lo, s40
	s_and_saveexec_b32 s40, s13
	s_cbranch_execnz .LBB2_2481
	s_branch .LBB2_2482
.LBB2_2616:                             ;   in Loop: Header=BB2_1978 Depth=2
	s_or_saveexec_b32 s40, s40
	v_mov_b32_e32 v98, 0x7f800001
	s_xor_b32 exec_lo, exec_lo, s40
	s_cbranch_execz .LBB2_2494
.LBB2_2617:                             ;   in Loop: Header=BB2_1978 Depth=2
	v_cmp_ne_u16_sdwa s41, v101, v29 src0_sel:BYTE_0 src1_sel:DWORD
	v_mov_b32_e32 v98, 0
	s_andn2_b32 s13, s13, exec_lo
	s_and_b32 s41, s41, exec_lo
	s_or_b32 s13, s13, s41
	s_or_b32 exec_lo, exec_lo, s40
	v_lshl_or_b32 v101, v101, 16, v103
	s_and_saveexec_b32 s40, s13
	s_cbranch_execnz .LBB2_2495
	s_branch .LBB2_2496
.LBB2_2618:                             ;   in Loop: Header=BB2_1978 Depth=2
	s_or_saveexec_b32 s40, s40
	v_mov_b32_e32 v103, 0x7f800001
	s_xor_b32 exec_lo, exec_lo, s40
	s_cbranch_execz .LBB2_2500
.LBB2_2619:                             ;   in Loop: Header=BB2_1978 Depth=2
	v_cmp_ne_u16_e32 vcc_lo, 0, v118
	v_mov_b32_e32 v103, 0
	s_andn2_b32 s13, s13, exec_lo
	s_and_b32 s41, vcc_lo, exec_lo
	s_or_b32 s13, s13, s41
	s_or_b32 exec_lo, exec_lo, s40
	s_and_saveexec_b32 s40, s13
	s_cbranch_execnz .LBB2_2501
	s_branch .LBB2_2502
.LBB2_2620:                             ;   in Loop: Header=BB2_1978 Depth=2
	s_or_saveexec_b32 s40, s40
	v_mov_b32_e32 v103, 0x7f800001
	s_xor_b32 exec_lo, exec_lo, s40
	s_cbranch_execz .LBB2_2514
.LBB2_2621:                             ;   in Loop: Header=BB2_1978 Depth=2
	v_cmp_ne_u16_sdwa s41, v101, v29 src0_sel:BYTE_3 src1_sel:DWORD
	v_mov_b32_e32 v103, 0
	s_andn2_b32 s13, s13, exec_lo
	s_and_b32 s41, s41, exec_lo
	s_or_b32 s13, s13, s41
	s_or_b32 exec_lo, exec_lo, s40
	s_and_saveexec_b32 s40, s13
	s_cbranch_execnz .LBB2_2515
	s_branch .LBB2_2516
.LBB2_2622:                             ;   in Loop: Header=BB2_1978 Depth=2
	s_or_saveexec_b32 s40, s40
	v_mov_b32_e32 v101, 0x7f800001
	s_xor_b32 exec_lo, exec_lo, s40
	s_cbranch_execz .LBB2_2520
.LBB2_2623:                             ;   in Loop: Header=BB2_1978 Depth=2
	v_cmp_ne_u16_sdwa s41, v13, v29 src0_sel:BYTE_3 src1_sel:DWORD
	v_mov_b32_e32 v101, 0
	s_andn2_b32 s13, s13, exec_lo
	s_and_b32 s41, s41, exec_lo
	s_or_b32 s13, s13, s41
	s_or_b32 exec_lo, exec_lo, s40
	s_and_saveexec_b32 s40, s13
	s_cbranch_execnz .LBB2_2521
	s_branch .LBB2_2522
.LBB2_2624:                             ;   in Loop: Header=BB2_1901 Depth=1
	s_or_b32 exec_lo, exec_lo, s26
.LBB2_2625:                             ;   in Loop: Header=BB2_1901 Depth=1
	s_or_b32 exec_lo, exec_lo, s25
	v_and_b32_e32 v10, 15, v28
	s_mov_b32 s25, 0
	s_mov_b32 s13, exec_lo
                                        ; implicit-def: $vgpr48
	v_cndmask_b32_e64 v87, v86, v10, s12
	v_mov_b32_e32 v86, 0
	v_cmpx_ne_u32_e32 0, v87
	s_cbranch_execz .LBB2_3279
; %bb.2626:                             ;   in Loop: Header=BB2_1901 Depth=1
	v_cmp_lt_i32_e32 vcc_lo, 0, v96
	s_mov_b32 s25, exec_lo
	v_cndmask_b32_e32 v10, 0, v54, vcc_lo
	v_sub_nc_u32_e32 v10, v10, v96
	v_lshl_or_b32 v10, v10, 5, v39
	v_ashrrev_i32_e32 v11, 31, v10
	v_lshrrev_b32_e32 v11, 27, v11
	v_add_nc_u32_e32 v11, v10, v11
	v_and_b32_e32 v12, 0xffffffe0, v11
	v_ashrrev_i32_e32 v11, 5, v11
	v_sub_nc_u32_e32 v96, v10, v12
	v_and_b32_e32 v12, 0x1f0, v28
	v_sub_nc_u32_e32 v97, 0, v11
	v_lshlrev_b32_e32 v10, 4, v96
	v_cndmask_b32_e64 v12, 0, v12, s12
	v_lshl_add_u32 v10, v11, 9, v10
	v_and_or_b32 v86, 0x3ffffe00, v28, v12
	v_sub_nc_u32_e32 v98, v87, v10
	v_cmpx_lt_i32_e32 15, v98
	s_cbranch_execz .LBB2_3278
; %bb.2627:                             ;   in Loop: Header=BB2_1901 Depth=1
	s_trap 2
	ds_read_b64 v[11:12], v0
	v_add_nc_u32_e32 v10, v10, v86
	v_ashrrev_i32_e32 v13, 31, v10
	v_add_co_u32 v48, vcc_lo, v10, v35
	v_add_co_ci_u32_e64 v49, null, v13, v36, vcc_lo
	v_add_co_u32 v50, vcc_lo, v10, v37
	v_add_co_ci_u32_e64 v51, null, v13, v38, vcc_lo
	s_waitcnt lgkmcnt(0)
	v_readfirstlane_b32 s12, v11
	v_add_co_u32 v52, vcc_lo, v11, v10
	v_add_co_ci_u32_e64 v53, null, v12, v13, vcc_lo
	s_and_b32 s26, s12, 7
	s_bfe_u32 s29, s12, 0x40003
	s_flbit_i32_b32 s27, s26
	s_min_u32 s27, s27, 32
	s_sub_i32 s28, s27, 28
	s_sub_i32 s27, 29, s27
	s_lshl_b32 s28, s12, s28
	s_and_b32 s28, s28, 7
	s_cmp_eq_u32 s29, 0
	s_cselect_b32 s27, s27, s29
	s_cselect_b32 s26, s28, s26
	s_lshl_b32 s28, s12, 24
	s_lshl_b32 s27, s27, 23
	s_and_b32 s28, s28, 0x80000000
	s_add_i32 s27, s27, 0x3b800000
	s_lshl_b32 s29, s26, 20
	s_or_b32 s27, s28, s27
	s_mov_b32 s26, 0
	s_or_b32 s27, s27, s29
	s_and_b32 s28, s12, 0xff
	s_branch .LBB2_2631
.LBB2_2628:                             ;   in Loop: Header=BB2_2631 Depth=2
	s_or_b32 exec_lo, exec_lo, s12
	v_lshrrev_b32_e32 v113, 20, v113
	v_min_i32_e32 v40, 15, v103
	v_cmp_gt_i32_e32 vcc_lo, 16, v103
	v_and_b32_sdwa v13, v13, v80 dst_sel:DWORD dst_unused:UNUSED_PAD src0_sel:BYTE_3 src1_sel:DWORD
	v_lshlrev_b32_e32 v40, 3, v40
	v_cndmask_b32_e32 v113, 7, v113, vcc_lo
	v_and_b32_e32 v40, 0xf8, v40
	v_and_b32_e32 v42, 7, v113
	v_or_b32_e32 v103, v103, v113
	v_or3_b32 v13, v13, v40, v42
	v_cmp_ne_u32_e32 vcc_lo, 0, v103
	v_lshlrev_b32_e32 v13, 8, v13
	v_cndmask_b32_e32 v103, 0, v13, vcc_lo
.LBB2_2629:                             ;   in Loop: Header=BB2_2631 Depth=2
	s_or_b32 exec_lo, exec_lo, s40
.LBB2_2630:                             ;   in Loop: Header=BB2_2631 Depth=2
	s_or_b32 exec_lo, exec_lo, s29
	v_or_b32_sdwa v11, v11, v117 dst_sel:WORD_1 dst_unused:UNUSED_PAD src0_sel:DWORD src1_sel:DWORD
	v_or_b32_sdwa v10, v10, v115 dst_sel:WORD_1 dst_unused:UNUSED_PAD src0_sel:DWORD src1_sel:DWORD
	;; [unrolled: 1-line block ×4, first 2 shown]
	v_sub_nc_u32_e32 v98, v98, v67
	v_or3_b32 v11, v41, v119, v11
	v_or3_b32 v10, v102, v99, v10
	;; [unrolled: 1-line block ×4, first 2 shown]
	v_add_co_u32 v48, vcc_lo, v48, v67
	v_add_co_ci_u32_e64 v49, null, 0, v49, vcc_lo
	v_add_co_u32 v52, vcc_lo, v52, v67
	global_store_dwordx4 v[50:51], v[10:13], off glc slc
	v_add_co_ci_u32_e64 v53, null, 0, v53, vcc_lo
	v_cmp_gt_i32_e32 vcc_lo, 16, v98
	v_add_co_u32 v50, s12, v50, v67
	v_add_co_ci_u32_e64 v51, null, 0, v51, s12
	v_sub_nc_u32_e32 v97, v97, v54
	s_or_b32 s26, vcc_lo, s26
	s_andn2_b32 exec_lo, exec_lo, s26
	s_cbranch_execz .LBB2_3277
.LBB2_2631:                             ;   Parent Loop BB2_1901 Depth=1
                                        ; =>  This Inner Loop Header: Depth=2
	s_cmpk_lt_i32 s28, 0x80
	s_cbranch_scc1 .LBB2_2635
; %bb.2632:                             ;   in Loop: Header=BB2_2631 Depth=2
	s_and_b32 s12, 0xffff, s28
	s_cmpk_eq_i32 s12, 0x80
	s_mov_b32 s12, -1
	s_cbranch_scc0 .LBB2_2634
; %bb.2633:                             ;   in Loop: Header=BB2_2631 Depth=2
	s_mov_b32 s12, 0
.LBB2_2634:                             ;   in Loop: Header=BB2_2631 Depth=2
	s_mov_b32 s29, 0x7f800001
	s_branch .LBB2_2637
.LBB2_2635:                             ;   in Loop: Header=BB2_2631 Depth=2
	s_mov_b32 s12, 0
	s_mov_b32 s29, 0x7f800001
	s_cbranch_execz .LBB2_2637
; %bb.2636:                             ;   in Loop: Header=BB2_2631 Depth=2
	s_and_b32 s12, 0xffff, s28
	s_mov_b32 s29, 0
	s_cmp_lg_u32 s12, 0
	s_cselect_b32 s12, -1, 0
.LBB2_2637:                             ;   in Loop: Header=BB2_2631 Depth=2
	s_andn2_b32 vcc_lo, exec_lo, s12
	s_cbranch_vccnz .LBB2_2639
; %bb.2638:                             ;   in Loop: Header=BB2_2631 Depth=2
	s_mov_b32 s29, s27
.LBB2_2639:                             ;   in Loop: Header=BB2_2631 Depth=2
	global_load_dwordx4 v[10:13], v[48:49], off slc
	s_mov_b32 s12, 0
	s_waitcnt vmcnt(0)
	v_cmp_gt_i16_sdwa s40, v10, v71 src0_sel:BYTE_0 src1_sel:DWORD
	s_and_saveexec_b32 s41, s40
	s_xor_b32 s40, exec_lo, s41
	s_cbranch_execz .LBB2_3181
; %bb.2640:                             ;   in Loop: Header=BB2_2631 Depth=2
	v_cmp_eq_u16_sdwa s42, v10, v80 src0_sel:BYTE_0 src1_sel:DWORD
	s_mov_b32 s12, -1
	s_and_saveexec_b32 s41, s42
; %bb.2641:                             ;   in Loop: Header=BB2_2631 Depth=2
	s_xor_b32 s12, exec_lo, -1
; %bb.2642:                             ;   in Loop: Header=BB2_2631 Depth=2
	s_or_b32 exec_lo, exec_lo, s41
	s_and_b32 s12, s12, exec_lo
	s_or_saveexec_b32 s40, s40
	v_mov_b32_e32 v99, 0x7f800001
	s_xor_b32 exec_lo, exec_lo, s40
	s_cbranch_execnz .LBB2_3182
.LBB2_2643:                             ;   in Loop: Header=BB2_2631 Depth=2
	s_or_b32 exec_lo, exec_lo, s40
	s_and_saveexec_b32 s40, s12
	s_cbranch_execz .LBB2_2645
.LBB2_2644:                             ;   in Loop: Header=BB2_2631 Depth=2
	v_and_b32_e32 v99, 7, v10
	v_bfe_u32 v102, v10, 3, 4
	v_lshlrev_b32_e32 v103, 24, v10
	v_ffbh_u32_e32 v100, v99
	v_cmp_eq_u32_e32 vcc_lo, 0, v102
	v_min_u32_e32 v100, 32, v100
	v_subrev_nc_u32_e32 v101, 28, v100
	v_sub_nc_u32_e32 v100, 29, v100
	v_lshlrev_b32_e32 v101, v101, v10
	v_cndmask_b32_e32 v100, v102, v100, vcc_lo
	v_and_b32_e32 v101, 7, v101
	v_lshl_add_u32 v100, v100, 23, 0x3b800000
	v_cndmask_b32_e32 v99, v99, v101, vcc_lo
	v_and_b32_e32 v101, 0x80000000, v103
	v_lshlrev_b32_e32 v99, 20, v99
	v_or3_b32 v99, v101, v100, v99
.LBB2_2645:                             ;   in Loop: Header=BB2_2631 Depth=2
	s_or_b32 exec_lo, exec_lo, s40
	v_mul_f32_e32 v100, s29, v99
	v_and_b32_e32 v99, 0x7f800000, v100
	v_cmp_ne_u32_e32 vcc_lo, 0x7f800000, v99
	v_mov_b32_e32 v99, 0x80
	s_and_saveexec_b32 s40, vcc_lo
	s_cbranch_execz .LBB2_2653
; %bb.2646:                             ;   in Loop: Header=BB2_2631 Depth=2
	v_mov_b32_e32 v99, 0
	s_mov_b32 s41, exec_lo
	v_cmpx_ne_u32_e32 0, v100
	s_cbranch_execz .LBB2_2652
; %bb.2647:                             ;   in Loop: Header=BB2_2631 Depth=2
	v_bfe_u32 v99, v100, 23, 8
	v_and_b32_e32 v101, 0x7fffff, v100
	v_sub_nc_u32_e32 v102, 0x78, v99
	v_cmp_gt_u32_e32 vcc_lo, 0x79, v99
	v_or_b32_e32 v103, 0x800000, v101
	v_cndmask_b32_e32 v102, 0, v102, vcc_lo
	v_cmp_eq_u32_e32 vcc_lo, 0, v99
	v_add_nc_u32_e32 v99, 0xffffff89, v99
	v_cndmask_b32_e64 v102, v102, 0x77, vcc_lo
	v_cndmask_b32_e32 v101, v103, v101, vcc_lo
	v_cndmask_b32_e64 v99, v99, 0xffffff8a, vcc_lo
	v_lshl_add_u32 v103, 0x100000, v102, -1
	v_lshrrev_b32_e32 v112, v102, v101
	v_lshlrev_b32_e64 v114, v102, 0x80000
	v_add_nc_u32_e32 v102, v102, v99
	v_and_b32_e32 v101, v103, v101
	v_bfe_u32 v113, v112, 20, 1
	v_cmp_eq_u32_e64 s12, v101, v114
	v_add_nc_u32_e32 v103, -1, v113
	v_cndmask_b32_e64 v101, 0, v103, s12
	v_lshrrev_b32_e32 v103, 23, v112
	s_mov_b32 s12, exec_lo
	v_add_nc_u32_e32 v101, v101, v112
	v_xor_b32_e32 v103, 1, v103
	v_and_b32_e32 v99, 0xfffff, v101
	v_add_nc_u32_e32 v101, v99, v112
                                        ; implicit-def: $vgpr99
	v_cmpx_ne_u32_e64 v102, v103
	s_xor_b32 s12, exec_lo, s12
; %bb.2648:                             ;   in Loop: Header=BB2_2631 Depth=2
	v_cmp_lt_u32_e32 vcc_lo, 0xffffff, v101
	v_sub_nc_u32_e32 v99, v102, v103
	v_cndmask_b32_e64 v102, 0, 1, vcc_lo
	v_add_co_ci_u32_e64 v99, null, 0, v99, vcc_lo
	v_lshrrev_b32_e32 v101, v102, v101
; %bb.2649:                             ;   in Loop: Header=BB2_2631 Depth=2
	s_andn2_saveexec_b32 s12, s12
; %bb.2650:                             ;   in Loop: Header=BB2_2631 Depth=2
	v_bfe_u32 v99, v101, 23, 1
; %bb.2651:                             ;   in Loop: Header=BB2_2631 Depth=2
	s_or_b32 exec_lo, exec_lo, s12
	v_lshrrev_b32_e32 v101, 20, v101
	v_min_i32_e32 v102, 15, v99
	v_cmp_gt_i32_e32 vcc_lo, 16, v99
	v_and_b32_sdwa v100, v100, v80 dst_sel:DWORD dst_unused:UNUSED_PAD src0_sel:BYTE_3 src1_sel:DWORD
	v_lshlrev_b32_e32 v102, 3, v102
	v_cndmask_b32_e32 v101, 7, v101, vcc_lo
	v_and_b32_e32 v102, 0xf8, v102
	v_and_b32_e32 v103, 7, v101
	v_or_b32_e32 v99, v99, v101
	v_or3_b32 v100, v102, v100, v103
	v_cmp_ne_u32_e32 vcc_lo, 0, v99
	v_cndmask_b32_e32 v99, 0, v100, vcc_lo
.LBB2_2652:                             ;   in Loop: Header=BB2_2631 Depth=2
	s_or_b32 exec_lo, exec_lo, s41
.LBB2_2653:                             ;   in Loop: Header=BB2_2631 Depth=2
	s_or_b32 exec_lo, exec_lo, s40
	v_cmp_gt_i16_sdwa s40, v10, v71 src0_sel:BYTE_1 src1_sel:DWORD
	s_mov_b32 s12, 0
	s_and_saveexec_b32 s41, s40
	s_xor_b32 s40, exec_lo, s41
	s_cbranch_execz .LBB2_3183
; %bb.2654:                             ;   in Loop: Header=BB2_2631 Depth=2
	v_cmp_eq_u16_sdwa s42, v10, v80 src0_sel:BYTE_1 src1_sel:DWORD
	s_mov_b32 s12, -1
	s_and_saveexec_b32 s41, s42
; %bb.2655:                             ;   in Loop: Header=BB2_2631 Depth=2
	s_xor_b32 s12, exec_lo, -1
; %bb.2656:                             ;   in Loop: Header=BB2_2631 Depth=2
	s_or_b32 exec_lo, exec_lo, s41
	s_and_b32 s12, s12, exec_lo
	s_or_saveexec_b32 s40, s40
	v_mov_b32_e32 v100, 0x7f800001
	s_xor_b32 exec_lo, exec_lo, s40
	s_cbranch_execnz .LBB2_3184
.LBB2_2657:                             ;   in Loop: Header=BB2_2631 Depth=2
	s_or_b32 exec_lo, exec_lo, s40
	s_and_saveexec_b32 s40, s12
	s_cbranch_execz .LBB2_2659
.LBB2_2658:                             ;   in Loop: Header=BB2_2631 Depth=2
	v_and_b32_sdwa v100, v81, v10 dst_sel:DWORD dst_unused:UNUSED_PAD src0_sel:DWORD src1_sel:BYTE_1
	v_and_b32_e32 v101, 7, v100
	v_bfe_u32 v112, v100, 3, 4
	v_ffbh_u32_e32 v102, v101
	v_cmp_eq_u32_e32 vcc_lo, 0, v112
	v_min_u32_e32 v102, 32, v102
	v_subrev_nc_u32_e32 v103, 28, v102
	v_sub_nc_u32_e32 v102, 29, v102
	v_lshlrev_b32_e32 v100, v103, v100
	v_lshlrev_b32_sdwa v103, v82, v10 dst_sel:DWORD dst_unused:UNUSED_PAD src0_sel:DWORD src1_sel:BYTE_1
	v_cndmask_b32_e32 v102, v112, v102, vcc_lo
	v_and_b32_e32 v100, 7, v100
	v_lshl_add_u32 v102, v102, 23, 0x3b800000
	v_cndmask_b32_e32 v100, v101, v100, vcc_lo
	v_and_b32_e32 v101, 0x80000000, v103
	v_lshlrev_b32_e32 v100, 20, v100
	v_or3_b32 v100, v101, v102, v100
.LBB2_2659:                             ;   in Loop: Header=BB2_2631 Depth=2
	s_or_b32 exec_lo, exec_lo, s40
	v_mul_f32_e32 v100, s29, v100
	v_mov_b32_e32 v102, 0x8000
	s_mov_b32 s40, exec_lo
	v_and_b32_e32 v101, 0x7f800000, v100
	v_cmpx_ne_u32_e32 0x7f800000, v101
	s_cbranch_execz .LBB2_2667
; %bb.2660:                             ;   in Loop: Header=BB2_2631 Depth=2
	v_mov_b32_e32 v102, 0
	s_mov_b32 s41, exec_lo
	v_cmpx_ne_u32_e32 0, v100
	s_cbranch_execz .LBB2_2666
; %bb.2661:                             ;   in Loop: Header=BB2_2631 Depth=2
	v_bfe_u32 v101, v100, 23, 8
	v_and_b32_e32 v102, 0x7fffff, v100
	v_sub_nc_u32_e32 v103, 0x78, v101
	v_cmp_gt_u32_e32 vcc_lo, 0x79, v101
	v_or_b32_e32 v112, 0x800000, v102
	v_cndmask_b32_e32 v103, 0, v103, vcc_lo
	v_cmp_eq_u32_e32 vcc_lo, 0, v101
	v_add_nc_u32_e32 v101, 0xffffff89, v101
	v_cndmask_b32_e64 v103, v103, 0x77, vcc_lo
	v_cndmask_b32_e32 v102, v112, v102, vcc_lo
	v_cndmask_b32_e64 v101, v101, 0xffffff8a, vcc_lo
	v_lshl_add_u32 v112, 0x100000, v103, -1
	v_lshrrev_b32_e32 v113, v103, v102
	v_lshlrev_b32_e64 v115, v103, 0x80000
	v_add_nc_u32_e32 v103, v103, v101
	v_and_b32_e32 v102, v112, v102
	v_bfe_u32 v114, v113, 20, 1
	v_cmp_eq_u32_e64 s12, v102, v115
	v_add_nc_u32_e32 v112, -1, v114
	v_cndmask_b32_e64 v102, 0, v112, s12
	v_lshrrev_b32_e32 v112, 23, v113
	s_mov_b32 s12, exec_lo
	v_add_nc_u32_e32 v102, v102, v113
	v_xor_b32_e32 v112, 1, v112
	v_and_b32_e32 v101, 0xfffff, v102
	v_add_nc_u32_e32 v102, v101, v113
                                        ; implicit-def: $vgpr101
	v_cmpx_ne_u32_e64 v103, v112
	s_xor_b32 s12, exec_lo, s12
; %bb.2662:                             ;   in Loop: Header=BB2_2631 Depth=2
	v_cmp_lt_u32_e32 vcc_lo, 0xffffff, v102
	v_sub_nc_u32_e32 v101, v103, v112
	v_cndmask_b32_e64 v103, 0, 1, vcc_lo
	v_add_co_ci_u32_e64 v101, null, 0, v101, vcc_lo
	v_lshrrev_b32_e32 v102, v103, v102
; %bb.2663:                             ;   in Loop: Header=BB2_2631 Depth=2
	s_andn2_saveexec_b32 s12, s12
; %bb.2664:                             ;   in Loop: Header=BB2_2631 Depth=2
	v_bfe_u32 v101, v102, 23, 1
; %bb.2665:                             ;   in Loop: Header=BB2_2631 Depth=2
	s_or_b32 exec_lo, exec_lo, s12
	v_lshrrev_b32_e32 v102, 20, v102
	v_min_i32_e32 v103, 15, v101
	v_cmp_gt_i32_e32 vcc_lo, 16, v101
	v_and_b32_sdwa v100, v100, v80 dst_sel:DWORD dst_unused:UNUSED_PAD src0_sel:BYTE_3 src1_sel:DWORD
	v_lshlrev_b32_e32 v103, 3, v103
	v_cndmask_b32_e32 v102, 7, v102, vcc_lo
	v_and_b32_e32 v103, 0xf8, v103
	v_and_b32_e32 v112, 7, v102
	v_or_b32_e32 v101, v101, v102
	v_or3_b32 v100, v100, v103, v112
	v_cmp_ne_u32_e32 vcc_lo, 0, v101
	v_lshlrev_b32_e32 v100, 8, v100
	v_cndmask_b32_e32 v102, 0, v100, vcc_lo
.LBB2_2666:                             ;   in Loop: Header=BB2_2631 Depth=2
	s_or_b32 exec_lo, exec_lo, s41
.LBB2_2667:                             ;   in Loop: Header=BB2_2631 Depth=2
	s_or_b32 exec_lo, exec_lo, s40
	v_and_b32_sdwa v101, v10, v83 dst_sel:DWORD dst_unused:UNUSED_PAD src0_sel:WORD_1 src1_sel:DWORD
	s_mov_b32 s12, 0
	s_mov_b32 s40, exec_lo
	v_cmpx_lt_i16_e32 0x7f, v101
	s_xor_b32 s40, exec_lo, s40
	s_cbranch_execz .LBB2_3185
; %bb.2668:                             ;   in Loop: Header=BB2_2631 Depth=2
	s_mov_b32 s12, -1
	s_mov_b32 s41, exec_lo
	v_cmpx_eq_u16_e32 0x80, v101
; %bb.2669:                             ;   in Loop: Header=BB2_2631 Depth=2
	s_xor_b32 s12, exec_lo, -1
; %bb.2670:                             ;   in Loop: Header=BB2_2631 Depth=2
	s_or_b32 exec_lo, exec_lo, s41
	s_and_b32 s12, s12, exec_lo
                                        ; implicit-def: $vgpr101
	s_or_saveexec_b32 s40, s40
	v_mov_b32_e32 v100, 0x7f800001
	s_xor_b32 exec_lo, exec_lo, s40
	s_cbranch_execnz .LBB2_3186
.LBB2_2671:                             ;   in Loop: Header=BB2_2631 Depth=2
	s_or_b32 exec_lo, exec_lo, s40
	s_and_saveexec_b32 s40, s12
	s_cbranch_execz .LBB2_2673
.LBB2_2672:                             ;   in Loop: Header=BB2_2631 Depth=2
	v_bfe_u32 v100, v10, 16, 3
	v_bfe_u32 v112, v10, 19, 4
	v_lshlrev_b32_e32 v113, 8, v10
	v_ffbh_u32_e32 v101, v100
	v_cmp_eq_u32_e32 vcc_lo, 0, v112
	v_min_u32_e32 v101, 32, v101
	v_subrev_nc_u32_e32 v103, 28, v101
	v_sub_nc_u32_e32 v101, 29, v101
	v_lshlrev_b32_sdwa v103, v103, v10 dst_sel:DWORD dst_unused:UNUSED_PAD src0_sel:DWORD src1_sel:WORD_1
	v_cndmask_b32_e32 v101, v112, v101, vcc_lo
	v_and_b32_e32 v103, 7, v103
	v_lshl_add_u32 v101, v101, 23, 0x3b800000
	v_cndmask_b32_e32 v100, v100, v103, vcc_lo
	v_and_b32_e32 v103, 0x80000000, v113
	v_lshlrev_b32_e32 v100, 20, v100
	v_or3_b32 v100, v103, v101, v100
.LBB2_2673:                             ;   in Loop: Header=BB2_2631 Depth=2
	s_or_b32 exec_lo, exec_lo, s40
	v_mul_f32_e32 v100, s29, v100
	v_mov_b32_e32 v115, 0x80
	s_mov_b32 s40, exec_lo
	v_and_b32_e32 v101, 0x7f800000, v100
	v_cmpx_ne_u32_e32 0x7f800000, v101
	s_cbranch_execz .LBB2_2681
; %bb.2674:                             ;   in Loop: Header=BB2_2631 Depth=2
	v_mov_b32_e32 v115, 0
	s_mov_b32 s41, exec_lo
	v_cmpx_ne_u32_e32 0, v100
	s_cbranch_execz .LBB2_2680
; %bb.2675:                             ;   in Loop: Header=BB2_2631 Depth=2
	v_bfe_u32 v101, v100, 23, 8
	v_and_b32_e32 v103, 0x7fffff, v100
	v_sub_nc_u32_e32 v112, 0x78, v101
	v_cmp_gt_u32_e32 vcc_lo, 0x79, v101
	v_or_b32_e32 v113, 0x800000, v103
	v_cndmask_b32_e32 v112, 0, v112, vcc_lo
	v_cmp_eq_u32_e32 vcc_lo, 0, v101
	v_add_nc_u32_e32 v101, 0xffffff89, v101
	v_cndmask_b32_e64 v112, v112, 0x77, vcc_lo
	v_cndmask_b32_e32 v103, v113, v103, vcc_lo
	v_cndmask_b32_e64 v101, v101, 0xffffff8a, vcc_lo
	v_lshl_add_u32 v113, 0x100000, v112, -1
	v_lshrrev_b32_e32 v114, v112, v103
	v_lshlrev_b32_e64 v116, v112, 0x80000
	v_add_nc_u32_e32 v112, v112, v101
	v_and_b32_e32 v103, v113, v103
	v_bfe_u32 v115, v114, 20, 1
	v_cmp_eq_u32_e64 s12, v103, v116
	v_add_nc_u32_e32 v113, -1, v115
	v_cndmask_b32_e64 v103, 0, v113, s12
	v_lshrrev_b32_e32 v113, 23, v114
	s_mov_b32 s12, exec_lo
	v_add_nc_u32_e32 v103, v103, v114
	v_xor_b32_e32 v113, 1, v113
	v_and_b32_e32 v101, 0xfffff, v103
	v_add_nc_u32_e32 v103, v101, v114
                                        ; implicit-def: $vgpr101
	v_cmpx_ne_u32_e64 v112, v113
	s_xor_b32 s12, exec_lo, s12
; %bb.2676:                             ;   in Loop: Header=BB2_2631 Depth=2
	v_cmp_lt_u32_e32 vcc_lo, 0xffffff, v103
	v_sub_nc_u32_e32 v101, v112, v113
	v_cndmask_b32_e64 v112, 0, 1, vcc_lo
	v_add_co_ci_u32_e64 v101, null, 0, v101, vcc_lo
	v_lshrrev_b32_e32 v103, v112, v103
; %bb.2677:                             ;   in Loop: Header=BB2_2631 Depth=2
	s_andn2_saveexec_b32 s12, s12
; %bb.2678:                             ;   in Loop: Header=BB2_2631 Depth=2
	v_bfe_u32 v101, v103, 23, 1
; %bb.2679:                             ;   in Loop: Header=BB2_2631 Depth=2
	s_or_b32 exec_lo, exec_lo, s12
	v_lshrrev_b32_e32 v103, 20, v103
	v_min_i32_e32 v112, 15, v101
	v_cmp_gt_i32_e32 vcc_lo, 16, v101
	v_and_b32_sdwa v100, v100, v80 dst_sel:DWORD dst_unused:UNUSED_PAD src0_sel:BYTE_3 src1_sel:DWORD
	v_lshlrev_b32_e32 v112, 3, v112
	v_cndmask_b32_e32 v103, 7, v103, vcc_lo
	v_and_b32_e32 v112, 0xf8, v112
	v_and_b32_e32 v113, 7, v103
	v_or_b32_e32 v101, v101, v103
	v_or3_b32 v100, v112, v100, v113
	v_cmp_ne_u32_e32 vcc_lo, 0, v101
	v_cndmask_b32_e32 v115, 0, v100, vcc_lo
.LBB2_2680:                             ;   in Loop: Header=BB2_2631 Depth=2
	s_or_b32 exec_lo, exec_lo, s41
.LBB2_2681:                             ;   in Loop: Header=BB2_2631 Depth=2
	s_or_b32 exec_lo, exec_lo, s40
	v_cmp_gt_i16_sdwa s40, v10, v71 src0_sel:BYTE_3 src1_sel:DWORD
	s_mov_b32 s12, 0
	s_and_saveexec_b32 s41, s40
	s_xor_b32 s40, exec_lo, s41
	s_cbranch_execz .LBB2_3187
; %bb.2682:                             ;   in Loop: Header=BB2_2631 Depth=2
	v_cmp_eq_u16_sdwa s42, v10, v80 src0_sel:BYTE_3 src1_sel:DWORD
	s_mov_b32 s12, -1
	s_and_saveexec_b32 s41, s42
; %bb.2683:                             ;   in Loop: Header=BB2_2631 Depth=2
	s_xor_b32 s12, exec_lo, -1
; %bb.2684:                             ;   in Loop: Header=BB2_2631 Depth=2
	s_or_b32 exec_lo, exec_lo, s41
	s_and_b32 s12, s12, exec_lo
	s_or_saveexec_b32 s40, s40
	v_mov_b32_e32 v100, 0x7f800001
	s_xor_b32 exec_lo, exec_lo, s40
	s_cbranch_execnz .LBB2_3188
.LBB2_2685:                             ;   in Loop: Header=BB2_2631 Depth=2
	s_or_b32 exec_lo, exec_lo, s40
	s_and_saveexec_b32 s40, s12
	s_cbranch_execz .LBB2_2687
.LBB2_2686:                             ;   in Loop: Header=BB2_2631 Depth=2
	v_bfe_u32 v100, v10, 24, 3
	v_bfe_u32 v112, v10, 27, 4
	v_ffbh_u32_e32 v101, v100
	v_cmp_eq_u32_e32 vcc_lo, 0, v112
	v_min_u32_e32 v101, 32, v101
	v_subrev_nc_u32_e32 v103, 28, v101
	v_sub_nc_u32_e32 v101, 29, v101
	v_lshlrev_b32_sdwa v103, v103, v10 dst_sel:DWORD dst_unused:UNUSED_PAD src0_sel:DWORD src1_sel:BYTE_3
	v_cndmask_b32_e32 v101, v112, v101, vcc_lo
	v_and_b32_e32 v10, 0x80000000, v10
	v_and_b32_e32 v103, 7, v103
	v_lshl_add_u32 v101, v101, 23, 0x3b800000
	v_cndmask_b32_e32 v100, v100, v103, vcc_lo
	v_lshlrev_b32_e32 v100, 20, v100
	v_or3_b32 v100, v10, v101, v100
.LBB2_2687:                             ;   in Loop: Header=BB2_2631 Depth=2
	s_or_b32 exec_lo, exec_lo, s40
	v_mul_f32_e32 v10, s29, v100
	v_mov_b32_e32 v42, 0x8000
	s_mov_b32 s40, exec_lo
	v_and_b32_e32 v100, 0x7f800000, v10
	v_cmpx_ne_u32_e32 0x7f800000, v100
	s_cbranch_execz .LBB2_2695
; %bb.2688:                             ;   in Loop: Header=BB2_2631 Depth=2
	v_mov_b32_e32 v42, 0
	s_mov_b32 s41, exec_lo
	v_cmpx_ne_u32_e32 0, v10
	s_cbranch_execz .LBB2_2694
; %bb.2689:                             ;   in Loop: Header=BB2_2631 Depth=2
	v_bfe_u32 v100, v10, 23, 8
	v_and_b32_e32 v101, 0x7fffff, v10
	v_sub_nc_u32_e32 v103, 0x78, v100
	v_cmp_gt_u32_e32 vcc_lo, 0x79, v100
	v_or_b32_e32 v112, 0x800000, v101
	v_cndmask_b32_e32 v103, 0, v103, vcc_lo
	v_cmp_eq_u32_e32 vcc_lo, 0, v100
	v_add_nc_u32_e32 v100, 0xffffff89, v100
	v_cndmask_b32_e64 v103, v103, 0x77, vcc_lo
	v_cndmask_b32_e32 v101, v112, v101, vcc_lo
	v_cndmask_b32_e64 v100, v100, 0xffffff8a, vcc_lo
	v_lshl_add_u32 v112, 0x100000, v103, -1
	v_lshrrev_b32_e32 v113, v103, v101
	v_lshlrev_b32_e64 v116, v103, 0x80000
	v_add_nc_u32_e32 v103, v103, v100
	v_and_b32_e32 v101, v112, v101
	v_bfe_u32 v114, v113, 20, 1
	v_cmp_eq_u32_e64 s12, v101, v116
	v_add_nc_u32_e32 v112, -1, v114
	v_cndmask_b32_e64 v101, 0, v112, s12
	v_lshrrev_b32_e32 v112, 23, v113
	s_mov_b32 s12, exec_lo
	v_add_nc_u32_e32 v101, v101, v113
	v_xor_b32_e32 v112, 1, v112
	v_and_b32_e32 v100, 0xfffff, v101
	v_add_nc_u32_e32 v101, v100, v113
                                        ; implicit-def: $vgpr100
	v_cmpx_ne_u32_e64 v103, v112
	s_xor_b32 s12, exec_lo, s12
; %bb.2690:                             ;   in Loop: Header=BB2_2631 Depth=2
	v_cmp_lt_u32_e32 vcc_lo, 0xffffff, v101
	v_sub_nc_u32_e32 v100, v103, v112
	v_cndmask_b32_e64 v103, 0, 1, vcc_lo
	v_add_co_ci_u32_e64 v100, null, 0, v100, vcc_lo
	v_lshrrev_b32_e32 v101, v103, v101
; %bb.2691:                             ;   in Loop: Header=BB2_2631 Depth=2
	s_andn2_saveexec_b32 s12, s12
; %bb.2692:                             ;   in Loop: Header=BB2_2631 Depth=2
	v_bfe_u32 v100, v101, 23, 1
; %bb.2693:                             ;   in Loop: Header=BB2_2631 Depth=2
	s_or_b32 exec_lo, exec_lo, s12
	v_lshrrev_b32_e32 v101, 20, v101
	v_min_i32_e32 v103, 15, v100
	v_cmp_gt_i32_e32 vcc_lo, 16, v100
	v_and_b32_sdwa v10, v10, v80 dst_sel:DWORD dst_unused:UNUSED_PAD src0_sel:BYTE_3 src1_sel:DWORD
	v_lshlrev_b32_e32 v103, 3, v103
	v_cndmask_b32_e32 v101, 7, v101, vcc_lo
	v_and_b32_e32 v103, 0xf8, v103
	v_and_b32_e32 v112, 7, v101
	v_or_b32_e32 v100, v100, v101
	v_or3_b32 v10, v10, v103, v112
	v_cmp_ne_u32_e32 vcc_lo, 0, v100
	v_lshlrev_b32_e32 v10, 8, v10
	v_cndmask_b32_e32 v42, 0, v10, vcc_lo
.LBB2_2694:                             ;   in Loop: Header=BB2_2631 Depth=2
	s_or_b32 exec_lo, exec_lo, s41
.LBB2_2695:                             ;   in Loop: Header=BB2_2631 Depth=2
	s_or_b32 exec_lo, exec_lo, s40
	v_cmp_gt_i16_sdwa s40, v11, v71 src0_sel:BYTE_0 src1_sel:DWORD
	s_mov_b32 s12, 0
	s_and_saveexec_b32 s41, s40
	s_xor_b32 s40, exec_lo, s41
	s_cbranch_execz .LBB2_3189
; %bb.2696:                             ;   in Loop: Header=BB2_2631 Depth=2
	v_cmp_eq_u16_sdwa s42, v11, v80 src0_sel:BYTE_0 src1_sel:DWORD
	s_mov_b32 s12, -1
	s_and_saveexec_b32 s41, s42
; %bb.2697:                             ;   in Loop: Header=BB2_2631 Depth=2
	s_xor_b32 s12, exec_lo, -1
; %bb.2698:                             ;   in Loop: Header=BB2_2631 Depth=2
	s_or_b32 exec_lo, exec_lo, s41
	s_and_b32 s12, s12, exec_lo
	s_or_saveexec_b32 s40, s40
	v_mov_b32_e32 v10, 0x7f800001
	s_xor_b32 exec_lo, exec_lo, s40
	s_cbranch_execnz .LBB2_3190
.LBB2_2699:                             ;   in Loop: Header=BB2_2631 Depth=2
	s_or_b32 exec_lo, exec_lo, s40
	s_and_saveexec_b32 s40, s12
	s_cbranch_execz .LBB2_2701
.LBB2_2700:                             ;   in Loop: Header=BB2_2631 Depth=2
	v_and_b32_e32 v10, 7, v11
	v_bfe_u32 v103, v11, 3, 4
	v_lshlrev_b32_e32 v112, 24, v11
	v_ffbh_u32_e32 v100, v10
	v_cmp_eq_u32_e32 vcc_lo, 0, v103
	v_min_u32_e32 v100, 32, v100
	v_subrev_nc_u32_e32 v101, 28, v100
	v_sub_nc_u32_e32 v100, 29, v100
	v_lshlrev_b32_e32 v101, v101, v11
	v_cndmask_b32_e32 v100, v103, v100, vcc_lo
	v_and_b32_e32 v101, 7, v101
	v_lshl_add_u32 v100, v100, 23, 0x3b800000
	v_cndmask_b32_e32 v10, v10, v101, vcc_lo
	v_and_b32_e32 v101, 0x80000000, v112
	v_lshlrev_b32_e32 v10, 20, v10
	v_or3_b32 v10, v101, v100, v10
.LBB2_2701:                             ;   in Loop: Header=BB2_2631 Depth=2
	s_or_b32 exec_lo, exec_lo, s40
	v_mul_f32_e32 v10, s29, v10
	v_mov_b32_e32 v119, 0x80
	s_mov_b32 s40, exec_lo
	v_and_b32_e32 v100, 0x7f800000, v10
	v_cmpx_ne_u32_e32 0x7f800000, v100
	s_cbranch_execz .LBB2_2709
; %bb.2702:                             ;   in Loop: Header=BB2_2631 Depth=2
	v_mov_b32_e32 v119, 0
	s_mov_b32 s41, exec_lo
	v_cmpx_ne_u32_e32 0, v10
	s_cbranch_execz .LBB2_2708
; %bb.2703:                             ;   in Loop: Header=BB2_2631 Depth=2
	v_bfe_u32 v100, v10, 23, 8
	v_and_b32_e32 v101, 0x7fffff, v10
	v_sub_nc_u32_e32 v103, 0x78, v100
	v_cmp_gt_u32_e32 vcc_lo, 0x79, v100
	v_or_b32_e32 v112, 0x800000, v101
	v_cndmask_b32_e32 v103, 0, v103, vcc_lo
	v_cmp_eq_u32_e32 vcc_lo, 0, v100
	v_add_nc_u32_e32 v100, 0xffffff89, v100
	v_cndmask_b32_e64 v103, v103, 0x77, vcc_lo
	v_cndmask_b32_e32 v101, v112, v101, vcc_lo
	v_cndmask_b32_e64 v100, v100, 0xffffff8a, vcc_lo
	v_lshl_add_u32 v112, 0x100000, v103, -1
	v_lshrrev_b32_e32 v113, v103, v101
	v_lshlrev_b32_e64 v116, v103, 0x80000
	v_add_nc_u32_e32 v103, v103, v100
	v_and_b32_e32 v101, v112, v101
	v_bfe_u32 v114, v113, 20, 1
	v_cmp_eq_u32_e64 s12, v101, v116
	v_add_nc_u32_e32 v112, -1, v114
	v_cndmask_b32_e64 v101, 0, v112, s12
	v_lshrrev_b32_e32 v112, 23, v113
	s_mov_b32 s12, exec_lo
	v_add_nc_u32_e32 v101, v101, v113
	v_xor_b32_e32 v112, 1, v112
	v_and_b32_e32 v100, 0xfffff, v101
	v_add_nc_u32_e32 v101, v100, v113
                                        ; implicit-def: $vgpr100
	v_cmpx_ne_u32_e64 v103, v112
	s_xor_b32 s12, exec_lo, s12
; %bb.2704:                             ;   in Loop: Header=BB2_2631 Depth=2
	v_cmp_lt_u32_e32 vcc_lo, 0xffffff, v101
	v_sub_nc_u32_e32 v100, v103, v112
	v_cndmask_b32_e64 v103, 0, 1, vcc_lo
	v_add_co_ci_u32_e64 v100, null, 0, v100, vcc_lo
	v_lshrrev_b32_e32 v101, v103, v101
; %bb.2705:                             ;   in Loop: Header=BB2_2631 Depth=2
	s_andn2_saveexec_b32 s12, s12
; %bb.2706:                             ;   in Loop: Header=BB2_2631 Depth=2
	v_bfe_u32 v100, v101, 23, 1
; %bb.2707:                             ;   in Loop: Header=BB2_2631 Depth=2
	s_or_b32 exec_lo, exec_lo, s12
	v_lshrrev_b32_e32 v101, 20, v101
	v_min_i32_e32 v103, 15, v100
	v_cmp_gt_i32_e32 vcc_lo, 16, v100
	v_and_b32_sdwa v10, v10, v80 dst_sel:DWORD dst_unused:UNUSED_PAD src0_sel:BYTE_3 src1_sel:DWORD
	v_lshlrev_b32_e32 v103, 3, v103
	v_cndmask_b32_e32 v101, 7, v101, vcc_lo
	v_and_b32_e32 v103, 0xf8, v103
	v_and_b32_e32 v112, 7, v101
	v_or_b32_e32 v100, v100, v101
	v_or3_b32 v10, v103, v10, v112
	v_cmp_ne_u32_e32 vcc_lo, 0, v100
	v_cndmask_b32_e32 v119, 0, v10, vcc_lo
.LBB2_2708:                             ;   in Loop: Header=BB2_2631 Depth=2
	s_or_b32 exec_lo, exec_lo, s41
.LBB2_2709:                             ;   in Loop: Header=BB2_2631 Depth=2
	s_or_b32 exec_lo, exec_lo, s40
	v_cmp_gt_i16_sdwa s40, v11, v71 src0_sel:BYTE_1 src1_sel:DWORD
	s_mov_b32 s12, 0
	s_and_saveexec_b32 s41, s40
	s_xor_b32 s40, exec_lo, s41
	s_cbranch_execz .LBB2_3191
; %bb.2710:                             ;   in Loop: Header=BB2_2631 Depth=2
	v_cmp_eq_u16_sdwa s42, v11, v80 src0_sel:BYTE_1 src1_sel:DWORD
	s_mov_b32 s12, -1
	s_and_saveexec_b32 s41, s42
; %bb.2711:                             ;   in Loop: Header=BB2_2631 Depth=2
	s_xor_b32 s12, exec_lo, -1
; %bb.2712:                             ;   in Loop: Header=BB2_2631 Depth=2
	s_or_b32 exec_lo, exec_lo, s41
	s_and_b32 s12, s12, exec_lo
	s_or_saveexec_b32 s40, s40
	v_mov_b32_e32 v10, 0x7f800001
	s_xor_b32 exec_lo, exec_lo, s40
	s_cbranch_execnz .LBB2_3192
.LBB2_2713:                             ;   in Loop: Header=BB2_2631 Depth=2
	s_or_b32 exec_lo, exec_lo, s40
	s_and_saveexec_b32 s40, s12
	s_cbranch_execz .LBB2_2715
.LBB2_2714:                             ;   in Loop: Header=BB2_2631 Depth=2
	v_and_b32_sdwa v10, v81, v11 dst_sel:DWORD dst_unused:UNUSED_PAD src0_sel:DWORD src1_sel:BYTE_1
	v_and_b32_e32 v100, 7, v10
	v_bfe_u32 v112, v10, 3, 4
	v_ffbh_u32_e32 v101, v100
	v_cmp_eq_u32_e32 vcc_lo, 0, v112
	v_min_u32_e32 v101, 32, v101
	v_subrev_nc_u32_e32 v103, 28, v101
	v_sub_nc_u32_e32 v101, 29, v101
	v_lshlrev_b32_e32 v10, v103, v10
	v_lshlrev_b32_sdwa v103, v82, v11 dst_sel:DWORD dst_unused:UNUSED_PAD src0_sel:DWORD src1_sel:BYTE_1
	v_cndmask_b32_e32 v101, v112, v101, vcc_lo
	v_and_b32_e32 v10, 7, v10
	v_lshl_add_u32 v101, v101, 23, 0x3b800000
	v_cndmask_b32_e32 v10, v100, v10, vcc_lo
	v_and_b32_e32 v100, 0x80000000, v103
	v_lshlrev_b32_e32 v10, 20, v10
	v_or3_b32 v10, v100, v101, v10
.LBB2_2715:                             ;   in Loop: Header=BB2_2631 Depth=2
	s_or_b32 exec_lo, exec_lo, s40
	v_mul_f32_e32 v10, s29, v10
	v_mov_b32_e32 v41, 0x8000
	s_mov_b32 s40, exec_lo
	v_and_b32_e32 v100, 0x7f800000, v10
	v_cmpx_ne_u32_e32 0x7f800000, v100
	s_cbranch_execz .LBB2_2723
; %bb.2716:                             ;   in Loop: Header=BB2_2631 Depth=2
	v_mov_b32_e32 v41, 0
	s_mov_b32 s41, exec_lo
	v_cmpx_ne_u32_e32 0, v10
	s_cbranch_execz .LBB2_2722
; %bb.2717:                             ;   in Loop: Header=BB2_2631 Depth=2
	v_bfe_u32 v100, v10, 23, 8
	v_and_b32_e32 v101, 0x7fffff, v10
	v_sub_nc_u32_e32 v103, 0x78, v100
	v_cmp_gt_u32_e32 vcc_lo, 0x79, v100
	v_or_b32_e32 v112, 0x800000, v101
	v_cndmask_b32_e32 v103, 0, v103, vcc_lo
	v_cmp_eq_u32_e32 vcc_lo, 0, v100
	v_add_nc_u32_e32 v100, 0xffffff89, v100
	v_cndmask_b32_e64 v103, v103, 0x77, vcc_lo
	v_cndmask_b32_e32 v101, v112, v101, vcc_lo
	v_cndmask_b32_e64 v100, v100, 0xffffff8a, vcc_lo
	v_lshl_add_u32 v112, 0x100000, v103, -1
	v_lshrrev_b32_e32 v113, v103, v101
	v_lshlrev_b32_e64 v116, v103, 0x80000
	v_add_nc_u32_e32 v103, v103, v100
	v_and_b32_e32 v101, v112, v101
	v_bfe_u32 v114, v113, 20, 1
	v_cmp_eq_u32_e64 s12, v101, v116
	v_add_nc_u32_e32 v112, -1, v114
	v_cndmask_b32_e64 v101, 0, v112, s12
	v_lshrrev_b32_e32 v112, 23, v113
	s_mov_b32 s12, exec_lo
	v_add_nc_u32_e32 v101, v101, v113
	v_xor_b32_e32 v112, 1, v112
	v_and_b32_e32 v100, 0xfffff, v101
	v_add_nc_u32_e32 v101, v100, v113
                                        ; implicit-def: $vgpr100
	v_cmpx_ne_u32_e64 v103, v112
	s_xor_b32 s12, exec_lo, s12
; %bb.2718:                             ;   in Loop: Header=BB2_2631 Depth=2
	v_cmp_lt_u32_e32 vcc_lo, 0xffffff, v101
	v_sub_nc_u32_e32 v100, v103, v112
	v_cndmask_b32_e64 v103, 0, 1, vcc_lo
	v_add_co_ci_u32_e64 v100, null, 0, v100, vcc_lo
	v_lshrrev_b32_e32 v101, v103, v101
; %bb.2719:                             ;   in Loop: Header=BB2_2631 Depth=2
	s_andn2_saveexec_b32 s12, s12
; %bb.2720:                             ;   in Loop: Header=BB2_2631 Depth=2
	v_bfe_u32 v100, v101, 23, 1
; %bb.2721:                             ;   in Loop: Header=BB2_2631 Depth=2
	s_or_b32 exec_lo, exec_lo, s12
	v_lshrrev_b32_e32 v101, 20, v101
	v_min_i32_e32 v103, 15, v100
	v_cmp_gt_i32_e32 vcc_lo, 16, v100
	v_and_b32_sdwa v10, v10, v80 dst_sel:DWORD dst_unused:UNUSED_PAD src0_sel:BYTE_3 src1_sel:DWORD
	v_lshlrev_b32_e32 v103, 3, v103
	v_cndmask_b32_e32 v101, 7, v101, vcc_lo
	v_and_b32_e32 v103, 0xf8, v103
	v_and_b32_e32 v112, 7, v101
	v_or_b32_e32 v100, v100, v101
	v_or3_b32 v10, v10, v103, v112
	v_cmp_ne_u32_e32 vcc_lo, 0, v100
	v_lshlrev_b32_e32 v10, 8, v10
	v_cndmask_b32_e32 v41, 0, v10, vcc_lo
.LBB2_2722:                             ;   in Loop: Header=BB2_2631 Depth=2
	s_or_b32 exec_lo, exec_lo, s41
.LBB2_2723:                             ;   in Loop: Header=BB2_2631 Depth=2
	s_or_b32 exec_lo, exec_lo, s40
	v_and_b32_sdwa v100, v11, v83 dst_sel:DWORD dst_unused:UNUSED_PAD src0_sel:WORD_1 src1_sel:DWORD
	s_mov_b32 s12, 0
	s_mov_b32 s40, exec_lo
	v_cmpx_lt_i16_e32 0x7f, v100
	s_xor_b32 s40, exec_lo, s40
	s_cbranch_execz .LBB2_3193
; %bb.2724:                             ;   in Loop: Header=BB2_2631 Depth=2
	s_mov_b32 s12, -1
	s_mov_b32 s41, exec_lo
	v_cmpx_eq_u16_e32 0x80, v100
; %bb.2725:                             ;   in Loop: Header=BB2_2631 Depth=2
	s_xor_b32 s12, exec_lo, -1
; %bb.2726:                             ;   in Loop: Header=BB2_2631 Depth=2
	s_or_b32 exec_lo, exec_lo, s41
	s_and_b32 s12, s12, exec_lo
                                        ; implicit-def: $vgpr100
	s_or_saveexec_b32 s40, s40
	v_mov_b32_e32 v10, 0x7f800001
	s_xor_b32 exec_lo, exec_lo, s40
	s_cbranch_execnz .LBB2_3194
.LBB2_2727:                             ;   in Loop: Header=BB2_2631 Depth=2
	s_or_b32 exec_lo, exec_lo, s40
	s_and_saveexec_b32 s40, s12
	s_cbranch_execz .LBB2_2729
.LBB2_2728:                             ;   in Loop: Header=BB2_2631 Depth=2
	v_bfe_u32 v10, v11, 16, 3
	v_bfe_u32 v103, v11, 19, 4
	v_lshlrev_b32_e32 v112, 8, v11
	v_ffbh_u32_e32 v100, v10
	v_cmp_eq_u32_e32 vcc_lo, 0, v103
	v_min_u32_e32 v100, 32, v100
	v_subrev_nc_u32_e32 v101, 28, v100
	v_sub_nc_u32_e32 v100, 29, v100
	v_lshlrev_b32_sdwa v101, v101, v11 dst_sel:DWORD dst_unused:UNUSED_PAD src0_sel:DWORD src1_sel:WORD_1
	v_cndmask_b32_e32 v100, v103, v100, vcc_lo
	v_and_b32_e32 v101, 7, v101
	v_lshl_add_u32 v100, v100, 23, 0x3b800000
	v_cndmask_b32_e32 v10, v10, v101, vcc_lo
	v_and_b32_e32 v101, 0x80000000, v112
	v_lshlrev_b32_e32 v10, 20, v10
	v_or3_b32 v10, v101, v100, v10
.LBB2_2729:                             ;   in Loop: Header=BB2_2631 Depth=2
	s_or_b32 exec_lo, exec_lo, s40
	v_mul_f32_e32 v10, s29, v10
	v_mov_b32_e32 v117, 0x80
	s_mov_b32 s40, exec_lo
	v_and_b32_e32 v100, 0x7f800000, v10
	v_cmpx_ne_u32_e32 0x7f800000, v100
	s_cbranch_execz .LBB2_2737
; %bb.2730:                             ;   in Loop: Header=BB2_2631 Depth=2
	v_mov_b32_e32 v117, 0
	s_mov_b32 s41, exec_lo
	v_cmpx_ne_u32_e32 0, v10
	s_cbranch_execz .LBB2_2736
; %bb.2731:                             ;   in Loop: Header=BB2_2631 Depth=2
	v_bfe_u32 v100, v10, 23, 8
	v_and_b32_e32 v101, 0x7fffff, v10
	v_sub_nc_u32_e32 v103, 0x78, v100
	v_cmp_gt_u32_e32 vcc_lo, 0x79, v100
	v_or_b32_e32 v112, 0x800000, v101
	v_cndmask_b32_e32 v103, 0, v103, vcc_lo
	v_cmp_eq_u32_e32 vcc_lo, 0, v100
	v_add_nc_u32_e32 v100, 0xffffff89, v100
	v_cndmask_b32_e64 v103, v103, 0x77, vcc_lo
	v_cndmask_b32_e32 v101, v112, v101, vcc_lo
	v_cndmask_b32_e64 v100, v100, 0xffffff8a, vcc_lo
	v_lshl_add_u32 v112, 0x100000, v103, -1
	v_lshrrev_b32_e32 v113, v103, v101
	v_lshlrev_b32_e64 v116, v103, 0x80000
	v_add_nc_u32_e32 v103, v103, v100
	v_and_b32_e32 v101, v112, v101
	v_bfe_u32 v114, v113, 20, 1
	v_cmp_eq_u32_e64 s12, v101, v116
	v_add_nc_u32_e32 v112, -1, v114
	v_cndmask_b32_e64 v101, 0, v112, s12
	v_lshrrev_b32_e32 v112, 23, v113
	s_mov_b32 s12, exec_lo
	v_add_nc_u32_e32 v101, v101, v113
	v_xor_b32_e32 v112, 1, v112
	v_and_b32_e32 v100, 0xfffff, v101
	v_add_nc_u32_e32 v101, v100, v113
                                        ; implicit-def: $vgpr100
	v_cmpx_ne_u32_e64 v103, v112
	s_xor_b32 s12, exec_lo, s12
; %bb.2732:                             ;   in Loop: Header=BB2_2631 Depth=2
	v_cmp_lt_u32_e32 vcc_lo, 0xffffff, v101
	v_sub_nc_u32_e32 v100, v103, v112
	v_cndmask_b32_e64 v103, 0, 1, vcc_lo
	v_add_co_ci_u32_e64 v100, null, 0, v100, vcc_lo
	v_lshrrev_b32_e32 v101, v103, v101
; %bb.2733:                             ;   in Loop: Header=BB2_2631 Depth=2
	s_andn2_saveexec_b32 s12, s12
; %bb.2734:                             ;   in Loop: Header=BB2_2631 Depth=2
	v_bfe_u32 v100, v101, 23, 1
; %bb.2735:                             ;   in Loop: Header=BB2_2631 Depth=2
	s_or_b32 exec_lo, exec_lo, s12
	v_lshrrev_b32_e32 v101, 20, v101
	v_min_i32_e32 v103, 15, v100
	v_cmp_gt_i32_e32 vcc_lo, 16, v100
	v_and_b32_sdwa v10, v10, v80 dst_sel:DWORD dst_unused:UNUSED_PAD src0_sel:BYTE_3 src1_sel:DWORD
	v_lshlrev_b32_e32 v103, 3, v103
	v_cndmask_b32_e32 v101, 7, v101, vcc_lo
	v_and_b32_e32 v103, 0xf8, v103
	v_and_b32_e32 v112, 7, v101
	v_or_b32_e32 v100, v100, v101
	v_or3_b32 v10, v103, v10, v112
	v_cmp_ne_u32_e32 vcc_lo, 0, v100
	v_cndmask_b32_e32 v117, 0, v10, vcc_lo
.LBB2_2736:                             ;   in Loop: Header=BB2_2631 Depth=2
	s_or_b32 exec_lo, exec_lo, s41
.LBB2_2737:                             ;   in Loop: Header=BB2_2631 Depth=2
	s_or_b32 exec_lo, exec_lo, s40
	v_cmp_gt_i16_sdwa s40, v11, v71 src0_sel:BYTE_3 src1_sel:DWORD
	s_mov_b32 s12, 0
	s_and_saveexec_b32 s41, s40
	s_xor_b32 s40, exec_lo, s41
	s_cbranch_execz .LBB2_3195
; %bb.2738:                             ;   in Loop: Header=BB2_2631 Depth=2
	v_cmp_eq_u16_sdwa s42, v11, v80 src0_sel:BYTE_3 src1_sel:DWORD
	s_mov_b32 s12, -1
	s_and_saveexec_b32 s41, s42
; %bb.2739:                             ;   in Loop: Header=BB2_2631 Depth=2
	s_xor_b32 s12, exec_lo, -1
; %bb.2740:                             ;   in Loop: Header=BB2_2631 Depth=2
	s_or_b32 exec_lo, exec_lo, s41
	s_and_b32 s12, s12, exec_lo
	s_or_saveexec_b32 s40, s40
	v_mov_b32_e32 v10, 0x7f800001
	s_xor_b32 exec_lo, exec_lo, s40
	s_cbranch_execnz .LBB2_3196
.LBB2_2741:                             ;   in Loop: Header=BB2_2631 Depth=2
	s_or_b32 exec_lo, exec_lo, s40
	s_and_saveexec_b32 s40, s12
	s_cbranch_execz .LBB2_2743
.LBB2_2742:                             ;   in Loop: Header=BB2_2631 Depth=2
	v_bfe_u32 v10, v11, 24, 3
	v_bfe_u32 v103, v11, 27, 4
	v_ffbh_u32_e32 v100, v10
	v_cmp_eq_u32_e32 vcc_lo, 0, v103
	v_min_u32_e32 v100, 32, v100
	v_subrev_nc_u32_e32 v101, 28, v100
	v_sub_nc_u32_e32 v100, 29, v100
	v_lshlrev_b32_sdwa v101, v101, v11 dst_sel:DWORD dst_unused:UNUSED_PAD src0_sel:DWORD src1_sel:BYTE_3
	v_cndmask_b32_e32 v100, v103, v100, vcc_lo
	v_and_b32_e32 v11, 0x80000000, v11
	v_and_b32_e32 v101, 7, v101
	v_lshl_add_u32 v100, v100, 23, 0x3b800000
	v_cndmask_b32_e32 v10, v10, v101, vcc_lo
	v_lshlrev_b32_e32 v10, 20, v10
	v_or3_b32 v10, v11, v100, v10
.LBB2_2743:                             ;   in Loop: Header=BB2_2631 Depth=2
	s_or_b32 exec_lo, exec_lo, s40
	v_mul_f32_e32 v10, s29, v10
	v_mov_b32_e32 v40, 0x8000
	s_mov_b32 s40, exec_lo
	v_and_b32_e32 v11, 0x7f800000, v10
	v_cmpx_ne_u32_e32 0x7f800000, v11
	s_cbranch_execz .LBB2_2751
; %bb.2744:                             ;   in Loop: Header=BB2_2631 Depth=2
	v_mov_b32_e32 v40, 0
	s_mov_b32 s41, exec_lo
	v_cmpx_ne_u32_e32 0, v10
	s_cbranch_execz .LBB2_2750
; %bb.2745:                             ;   in Loop: Header=BB2_2631 Depth=2
	v_bfe_u32 v11, v10, 23, 8
	v_and_b32_e32 v100, 0x7fffff, v10
	v_sub_nc_u32_e32 v101, 0x78, v11
	v_cmp_gt_u32_e32 vcc_lo, 0x79, v11
	v_or_b32_e32 v103, 0x800000, v100
	v_cndmask_b32_e32 v101, 0, v101, vcc_lo
	v_cmp_eq_u32_e32 vcc_lo, 0, v11
	v_add_nc_u32_e32 v11, 0xffffff89, v11
	v_cndmask_b32_e64 v101, v101, 0x77, vcc_lo
	v_cndmask_b32_e32 v100, v103, v100, vcc_lo
	v_cndmask_b32_e64 v11, v11, 0xffffff8a, vcc_lo
	v_lshl_add_u32 v103, 0x100000, v101, -1
	v_lshrrev_b32_e32 v112, v101, v100
	v_lshlrev_b32_e64 v114, v101, 0x80000
	v_add_nc_u32_e32 v101, v101, v11
	v_and_b32_e32 v100, v103, v100
	v_bfe_u32 v113, v112, 20, 1
	v_cmp_eq_u32_e64 s12, v100, v114
	v_add_nc_u32_e32 v103, -1, v113
	v_cndmask_b32_e64 v100, 0, v103, s12
	v_lshrrev_b32_e32 v103, 23, v112
	s_mov_b32 s12, exec_lo
	v_add_nc_u32_e32 v100, v100, v112
	v_xor_b32_e32 v103, 1, v103
	v_and_b32_e32 v11, 0xfffff, v100
	v_add_nc_u32_e32 v100, v11, v112
                                        ; implicit-def: $vgpr11
	v_cmpx_ne_u32_e64 v101, v103
	s_xor_b32 s12, exec_lo, s12
; %bb.2746:                             ;   in Loop: Header=BB2_2631 Depth=2
	v_cmp_lt_u32_e32 vcc_lo, 0xffffff, v100
	v_sub_nc_u32_e32 v11, v101, v103
	v_cndmask_b32_e64 v101, 0, 1, vcc_lo
	v_add_co_ci_u32_e64 v11, null, 0, v11, vcc_lo
	v_lshrrev_b32_e32 v100, v101, v100
; %bb.2747:                             ;   in Loop: Header=BB2_2631 Depth=2
	s_andn2_saveexec_b32 s12, s12
; %bb.2748:                             ;   in Loop: Header=BB2_2631 Depth=2
	v_bfe_u32 v11, v100, 23, 1
; %bb.2749:                             ;   in Loop: Header=BB2_2631 Depth=2
	s_or_b32 exec_lo, exec_lo, s12
	v_lshrrev_b32_e32 v100, 20, v100
	v_min_i32_e32 v101, 15, v11
	v_cmp_gt_i32_e32 vcc_lo, 16, v11
	v_and_b32_sdwa v10, v10, v80 dst_sel:DWORD dst_unused:UNUSED_PAD src0_sel:BYTE_3 src1_sel:DWORD
	v_lshlrev_b32_e32 v101, 3, v101
	v_cndmask_b32_e32 v100, 7, v100, vcc_lo
	v_and_b32_e32 v101, 0xf8, v101
	v_and_b32_e32 v103, 7, v100
	v_or_b32_e32 v11, v11, v100
	v_or3_b32 v10, v10, v101, v103
	v_cmp_ne_u32_e32 vcc_lo, 0, v11
	v_lshlrev_b32_e32 v10, 8, v10
	v_cndmask_b32_e32 v40, 0, v10, vcc_lo
.LBB2_2750:                             ;   in Loop: Header=BB2_2631 Depth=2
	s_or_b32 exec_lo, exec_lo, s41
.LBB2_2751:                             ;   in Loop: Header=BB2_2631 Depth=2
	s_or_b32 exec_lo, exec_lo, s40
	v_cmp_gt_i16_sdwa s40, v12, v71 src0_sel:BYTE_0 src1_sel:DWORD
	s_mov_b32 s12, 0
	s_and_saveexec_b32 s41, s40
	s_xor_b32 s40, exec_lo, s41
	s_cbranch_execz .LBB2_3197
; %bb.2752:                             ;   in Loop: Header=BB2_2631 Depth=2
	v_cmp_eq_u16_sdwa s42, v12, v80 src0_sel:BYTE_0 src1_sel:DWORD
	s_mov_b32 s12, -1
	s_and_saveexec_b32 s41, s42
; %bb.2753:                             ;   in Loop: Header=BB2_2631 Depth=2
	s_xor_b32 s12, exec_lo, -1
; %bb.2754:                             ;   in Loop: Header=BB2_2631 Depth=2
	s_or_b32 exec_lo, exec_lo, s41
	s_and_b32 s12, s12, exec_lo
	s_or_saveexec_b32 s40, s40
	v_mov_b32_e32 v10, 0x7f800001
	s_xor_b32 exec_lo, exec_lo, s40
	s_cbranch_execnz .LBB2_3198
.LBB2_2755:                             ;   in Loop: Header=BB2_2631 Depth=2
	s_or_b32 exec_lo, exec_lo, s40
	s_and_saveexec_b32 s40, s12
	s_cbranch_execz .LBB2_2757
.LBB2_2756:                             ;   in Loop: Header=BB2_2631 Depth=2
	v_and_b32_e32 v10, 7, v12
	v_bfe_u32 v101, v12, 3, 4
	v_lshlrev_b32_e32 v103, 24, v12
	v_ffbh_u32_e32 v11, v10
	v_cmp_eq_u32_e32 vcc_lo, 0, v101
	v_min_u32_e32 v11, 32, v11
	v_subrev_nc_u32_e32 v100, 28, v11
	v_sub_nc_u32_e32 v11, 29, v11
	v_lshlrev_b32_e32 v100, v100, v12
	v_cndmask_b32_e32 v11, v101, v11, vcc_lo
	v_and_b32_e32 v100, 7, v100
	v_lshl_add_u32 v11, v11, 23, 0x3b800000
	v_cndmask_b32_e32 v10, v10, v100, vcc_lo
	v_and_b32_e32 v100, 0x80000000, v103
	v_lshlrev_b32_e32 v10, 20, v10
	v_or3_b32 v10, v100, v11, v10
.LBB2_2757:                             ;   in Loop: Header=BB2_2631 Depth=2
	s_or_b32 exec_lo, exec_lo, s40
	v_mul_f32_e32 v10, s29, v10
	v_mov_b32_e32 v114, 0x80
	s_mov_b32 s40, exec_lo
	v_and_b32_e32 v11, 0x7f800000, v10
	v_cmpx_ne_u32_e32 0x7f800000, v11
	s_cbranch_execz .LBB2_2765
; %bb.2758:                             ;   in Loop: Header=BB2_2631 Depth=2
	v_mov_b32_e32 v114, 0
	s_mov_b32 s41, exec_lo
	v_cmpx_ne_u32_e32 0, v10
	s_cbranch_execz .LBB2_2764
; %bb.2759:                             ;   in Loop: Header=BB2_2631 Depth=2
	v_bfe_u32 v11, v10, 23, 8
	v_and_b32_e32 v100, 0x7fffff, v10
	v_sub_nc_u32_e32 v101, 0x78, v11
	v_cmp_gt_u32_e32 vcc_lo, 0x79, v11
	v_or_b32_e32 v103, 0x800000, v100
	v_cndmask_b32_e32 v101, 0, v101, vcc_lo
	v_cmp_eq_u32_e32 vcc_lo, 0, v11
	v_add_nc_u32_e32 v11, 0xffffff89, v11
	v_cndmask_b32_e64 v101, v101, 0x77, vcc_lo
	v_cndmask_b32_e32 v100, v103, v100, vcc_lo
	v_cndmask_b32_e64 v11, v11, 0xffffff8a, vcc_lo
	v_lshl_add_u32 v103, 0x100000, v101, -1
	v_lshrrev_b32_e32 v112, v101, v100
	v_lshlrev_b32_e64 v114, v101, 0x80000
	v_add_nc_u32_e32 v101, v101, v11
	v_and_b32_e32 v100, v103, v100
	v_bfe_u32 v113, v112, 20, 1
	v_cmp_eq_u32_e64 s12, v100, v114
	v_add_nc_u32_e32 v103, -1, v113
	v_cndmask_b32_e64 v100, 0, v103, s12
	v_lshrrev_b32_e32 v103, 23, v112
	s_mov_b32 s12, exec_lo
	v_add_nc_u32_e32 v100, v100, v112
	v_xor_b32_e32 v103, 1, v103
	v_and_b32_e32 v11, 0xfffff, v100
	v_add_nc_u32_e32 v100, v11, v112
                                        ; implicit-def: $vgpr11
	v_cmpx_ne_u32_e64 v101, v103
	s_xor_b32 s12, exec_lo, s12
; %bb.2760:                             ;   in Loop: Header=BB2_2631 Depth=2
	v_cmp_lt_u32_e32 vcc_lo, 0xffffff, v100
	v_sub_nc_u32_e32 v11, v101, v103
	v_cndmask_b32_e64 v101, 0, 1, vcc_lo
	v_add_co_ci_u32_e64 v11, null, 0, v11, vcc_lo
	v_lshrrev_b32_e32 v100, v101, v100
; %bb.2761:                             ;   in Loop: Header=BB2_2631 Depth=2
	s_andn2_saveexec_b32 s12, s12
; %bb.2762:                             ;   in Loop: Header=BB2_2631 Depth=2
	v_bfe_u32 v11, v100, 23, 1
; %bb.2763:                             ;   in Loop: Header=BB2_2631 Depth=2
	s_or_b32 exec_lo, exec_lo, s12
	v_lshrrev_b32_e32 v100, 20, v100
	v_min_i32_e32 v101, 15, v11
	v_cmp_gt_i32_e32 vcc_lo, 16, v11
	v_and_b32_sdwa v10, v10, v80 dst_sel:DWORD dst_unused:UNUSED_PAD src0_sel:BYTE_3 src1_sel:DWORD
	v_lshlrev_b32_e32 v101, 3, v101
	v_cndmask_b32_e32 v100, 7, v100, vcc_lo
	v_and_b32_e32 v101, 0xf8, v101
	v_and_b32_e32 v103, 7, v100
	v_or_b32_e32 v11, v11, v100
	v_or3_b32 v10, v101, v10, v103
	v_cmp_ne_u32_e32 vcc_lo, 0, v11
	v_cndmask_b32_e32 v114, 0, v10, vcc_lo
.LBB2_2764:                             ;   in Loop: Header=BB2_2631 Depth=2
	s_or_b32 exec_lo, exec_lo, s41
.LBB2_2765:                             ;   in Loop: Header=BB2_2631 Depth=2
	s_or_b32 exec_lo, exec_lo, s40
	v_cmp_gt_i16_sdwa s40, v12, v71 src0_sel:BYTE_1 src1_sel:DWORD
	s_mov_b32 s12, 0
	s_and_saveexec_b32 s41, s40
	s_xor_b32 s40, exec_lo, s41
	s_cbranch_execz .LBB2_3199
; %bb.2766:                             ;   in Loop: Header=BB2_2631 Depth=2
	v_cmp_eq_u16_sdwa s42, v12, v80 src0_sel:BYTE_1 src1_sel:DWORD
	s_mov_b32 s12, -1
	s_and_saveexec_b32 s41, s42
; %bb.2767:                             ;   in Loop: Header=BB2_2631 Depth=2
	s_xor_b32 s12, exec_lo, -1
; %bb.2768:                             ;   in Loop: Header=BB2_2631 Depth=2
	s_or_b32 exec_lo, exec_lo, s41
	s_and_b32 s12, s12, exec_lo
	s_or_saveexec_b32 s40, s40
	v_mov_b32_e32 v10, 0x7f800001
	s_xor_b32 exec_lo, exec_lo, s40
	s_cbranch_execnz .LBB2_3200
.LBB2_2769:                             ;   in Loop: Header=BB2_2631 Depth=2
	s_or_b32 exec_lo, exec_lo, s40
	s_and_saveexec_b32 s40, s12
	s_cbranch_execz .LBB2_2771
.LBB2_2770:                             ;   in Loop: Header=BB2_2631 Depth=2
	v_and_b32_sdwa v10, v81, v12 dst_sel:DWORD dst_unused:UNUSED_PAD src0_sel:DWORD src1_sel:BYTE_1
	v_and_b32_e32 v11, 7, v10
	v_bfe_u32 v103, v10, 3, 4
	v_ffbh_u32_e32 v100, v11
	v_cmp_eq_u32_e32 vcc_lo, 0, v103
	v_min_u32_e32 v100, 32, v100
	v_subrev_nc_u32_e32 v101, 28, v100
	v_sub_nc_u32_e32 v100, 29, v100
	v_lshlrev_b32_e32 v10, v101, v10
	v_lshlrev_b32_sdwa v101, v82, v12 dst_sel:DWORD dst_unused:UNUSED_PAD src0_sel:DWORD src1_sel:BYTE_1
	v_cndmask_b32_e32 v100, v103, v100, vcc_lo
	v_and_b32_e32 v10, 7, v10
	v_lshl_add_u32 v100, v100, 23, 0x3b800000
	v_cndmask_b32_e32 v10, v11, v10, vcc_lo
	v_and_b32_e32 v11, 0x80000000, v101
	v_lshlrev_b32_e32 v10, 20, v10
	v_or3_b32 v10, v11, v100, v10
.LBB2_2771:                             ;   in Loop: Header=BB2_2631 Depth=2
	s_or_b32 exec_lo, exec_lo, s40
	v_mul_f32_e32 v10, s29, v10
	v_mov_b32_e32 v118, 0x8000
	s_mov_b32 s40, exec_lo
	v_and_b32_e32 v11, 0x7f800000, v10
	v_cmpx_ne_u32_e32 0x7f800000, v11
	s_cbranch_execz .LBB2_2779
; %bb.2772:                             ;   in Loop: Header=BB2_2631 Depth=2
	v_mov_b32_e32 v118, 0
	s_mov_b32 s41, exec_lo
	v_cmpx_ne_u32_e32 0, v10
	s_cbranch_execz .LBB2_2778
; %bb.2773:                             ;   in Loop: Header=BB2_2631 Depth=2
	v_bfe_u32 v11, v10, 23, 8
	v_and_b32_e32 v100, 0x7fffff, v10
	v_sub_nc_u32_e32 v101, 0x78, v11
	v_cmp_gt_u32_e32 vcc_lo, 0x79, v11
	v_or_b32_e32 v103, 0x800000, v100
	v_cndmask_b32_e32 v101, 0, v101, vcc_lo
	v_cmp_eq_u32_e32 vcc_lo, 0, v11
	v_add_nc_u32_e32 v11, 0xffffff89, v11
	v_cndmask_b32_e64 v101, v101, 0x77, vcc_lo
	v_cndmask_b32_e32 v100, v103, v100, vcc_lo
	v_cndmask_b32_e64 v11, v11, 0xffffff8a, vcc_lo
	v_lshl_add_u32 v103, 0x100000, v101, -1
	v_lshrrev_b32_e32 v112, v101, v100
	v_lshlrev_b32_e64 v116, v101, 0x80000
	v_add_nc_u32_e32 v101, v101, v11
	v_and_b32_e32 v100, v103, v100
	v_bfe_u32 v113, v112, 20, 1
	v_cmp_eq_u32_e64 s12, v100, v116
	v_add_nc_u32_e32 v103, -1, v113
	v_cndmask_b32_e64 v100, 0, v103, s12
	v_lshrrev_b32_e32 v103, 23, v112
	s_mov_b32 s12, exec_lo
	v_add_nc_u32_e32 v100, v100, v112
	v_xor_b32_e32 v103, 1, v103
	v_and_b32_e32 v11, 0xfffff, v100
	v_add_nc_u32_e32 v100, v11, v112
                                        ; implicit-def: $vgpr11
	v_cmpx_ne_u32_e64 v101, v103
	s_xor_b32 s12, exec_lo, s12
; %bb.2774:                             ;   in Loop: Header=BB2_2631 Depth=2
	v_cmp_lt_u32_e32 vcc_lo, 0xffffff, v100
	v_sub_nc_u32_e32 v11, v101, v103
	v_cndmask_b32_e64 v101, 0, 1, vcc_lo
	v_add_co_ci_u32_e64 v11, null, 0, v11, vcc_lo
	v_lshrrev_b32_e32 v100, v101, v100
; %bb.2775:                             ;   in Loop: Header=BB2_2631 Depth=2
	s_andn2_saveexec_b32 s12, s12
; %bb.2776:                             ;   in Loop: Header=BB2_2631 Depth=2
	v_bfe_u32 v11, v100, 23, 1
; %bb.2777:                             ;   in Loop: Header=BB2_2631 Depth=2
	s_or_b32 exec_lo, exec_lo, s12
	v_lshrrev_b32_e32 v100, 20, v100
	v_min_i32_e32 v101, 15, v11
	v_cmp_gt_i32_e32 vcc_lo, 16, v11
	v_and_b32_sdwa v10, v10, v80 dst_sel:DWORD dst_unused:UNUSED_PAD src0_sel:BYTE_3 src1_sel:DWORD
	v_lshlrev_b32_e32 v101, 3, v101
	v_cndmask_b32_e32 v100, 7, v100, vcc_lo
	v_and_b32_e32 v101, 0xf8, v101
	v_and_b32_e32 v103, 7, v100
	v_or_b32_e32 v11, v11, v100
	v_or3_b32 v10, v10, v101, v103
	v_cmp_ne_u32_e32 vcc_lo, 0, v11
	v_lshlrev_b32_e32 v10, 8, v10
	v_cndmask_b32_e32 v118, 0, v10, vcc_lo
.LBB2_2778:                             ;   in Loop: Header=BB2_2631 Depth=2
	s_or_b32 exec_lo, exec_lo, s41
.LBB2_2779:                             ;   in Loop: Header=BB2_2631 Depth=2
	s_or_b32 exec_lo, exec_lo, s40
	v_and_b32_sdwa v11, v12, v83 dst_sel:DWORD dst_unused:UNUSED_PAD src0_sel:WORD_1 src1_sel:DWORD
	s_mov_b32 s12, 0
	s_mov_b32 s40, exec_lo
	v_cmpx_lt_i16_e32 0x7f, v11
	s_xor_b32 s40, exec_lo, s40
	s_cbranch_execz .LBB2_3201
; %bb.2780:                             ;   in Loop: Header=BB2_2631 Depth=2
	s_mov_b32 s12, -1
	s_mov_b32 s41, exec_lo
	v_cmpx_eq_u16_e32 0x80, v11
; %bb.2781:                             ;   in Loop: Header=BB2_2631 Depth=2
	s_xor_b32 s12, exec_lo, -1
; %bb.2782:                             ;   in Loop: Header=BB2_2631 Depth=2
	s_or_b32 exec_lo, exec_lo, s41
	s_and_b32 s12, s12, exec_lo
                                        ; implicit-def: $vgpr11
	s_or_saveexec_b32 s40, s40
	v_mov_b32_e32 v10, 0x7f800001
	s_xor_b32 exec_lo, exec_lo, s40
	s_cbranch_execnz .LBB2_3202
.LBB2_2783:                             ;   in Loop: Header=BB2_2631 Depth=2
	s_or_b32 exec_lo, exec_lo, s40
	s_and_saveexec_b32 s40, s12
	s_cbranch_execz .LBB2_2785
.LBB2_2784:                             ;   in Loop: Header=BB2_2631 Depth=2
	v_bfe_u32 v10, v12, 16, 3
	v_bfe_u32 v101, v12, 19, 4
	v_lshlrev_b32_e32 v103, 8, v12
	v_ffbh_u32_e32 v11, v10
	v_cmp_eq_u32_e32 vcc_lo, 0, v101
	v_min_u32_e32 v11, 32, v11
	v_subrev_nc_u32_e32 v100, 28, v11
	v_sub_nc_u32_e32 v11, 29, v11
	v_lshlrev_b32_sdwa v100, v100, v12 dst_sel:DWORD dst_unused:UNUSED_PAD src0_sel:DWORD src1_sel:WORD_1
	v_cndmask_b32_e32 v11, v101, v11, vcc_lo
	v_and_b32_e32 v100, 7, v100
	v_lshl_add_u32 v11, v11, 23, 0x3b800000
	v_cndmask_b32_e32 v10, v10, v100, vcc_lo
	v_and_b32_e32 v100, 0x80000000, v103
	v_lshlrev_b32_e32 v10, 20, v10
	v_or3_b32 v10, v100, v11, v10
.LBB2_2785:                             ;   in Loop: Header=BB2_2631 Depth=2
	s_or_b32 exec_lo, exec_lo, s40
	v_mul_f32_e32 v10, s29, v10
	v_mov_b32_e32 v112, 0x80
	s_mov_b32 s40, exec_lo
	v_and_b32_e32 v11, 0x7f800000, v10
	v_cmpx_ne_u32_e32 0x7f800000, v11
	s_cbranch_execz .LBB2_2793
; %bb.2786:                             ;   in Loop: Header=BB2_2631 Depth=2
	v_mov_b32_e32 v112, 0
	s_mov_b32 s41, exec_lo
	v_cmpx_ne_u32_e32 0, v10
	s_cbranch_execz .LBB2_2792
; %bb.2787:                             ;   in Loop: Header=BB2_2631 Depth=2
	v_bfe_u32 v11, v10, 23, 8
	v_and_b32_e32 v100, 0x7fffff, v10
	v_sub_nc_u32_e32 v101, 0x78, v11
	v_cmp_gt_u32_e32 vcc_lo, 0x79, v11
	v_or_b32_e32 v103, 0x800000, v100
	v_cndmask_b32_e32 v101, 0, v101, vcc_lo
	v_cmp_eq_u32_e32 vcc_lo, 0, v11
	v_add_nc_u32_e32 v11, 0xffffff89, v11
	v_cndmask_b32_e64 v101, v101, 0x77, vcc_lo
	v_cndmask_b32_e32 v100, v103, v100, vcc_lo
	v_cndmask_b32_e64 v11, v11, 0xffffff8a, vcc_lo
	v_lshl_add_u32 v103, 0x100000, v101, -1
	v_lshrrev_b32_e32 v112, v101, v100
	v_lshlrev_b32_e64 v116, v101, 0x80000
	v_add_nc_u32_e32 v101, v101, v11
	v_and_b32_e32 v100, v103, v100
	v_bfe_u32 v113, v112, 20, 1
	v_cmp_eq_u32_e64 s12, v100, v116
	v_add_nc_u32_e32 v103, -1, v113
	v_cndmask_b32_e64 v100, 0, v103, s12
	v_lshrrev_b32_e32 v103, 23, v112
	s_mov_b32 s12, exec_lo
	v_add_nc_u32_e32 v100, v100, v112
	v_xor_b32_e32 v103, 1, v103
	v_and_b32_e32 v11, 0xfffff, v100
	v_add_nc_u32_e32 v100, v11, v112
                                        ; implicit-def: $vgpr11
	v_cmpx_ne_u32_e64 v101, v103
	s_xor_b32 s12, exec_lo, s12
; %bb.2788:                             ;   in Loop: Header=BB2_2631 Depth=2
	v_cmp_lt_u32_e32 vcc_lo, 0xffffff, v100
	v_sub_nc_u32_e32 v11, v101, v103
	v_cndmask_b32_e64 v101, 0, 1, vcc_lo
	v_add_co_ci_u32_e64 v11, null, 0, v11, vcc_lo
	v_lshrrev_b32_e32 v100, v101, v100
; %bb.2789:                             ;   in Loop: Header=BB2_2631 Depth=2
	s_andn2_saveexec_b32 s12, s12
; %bb.2790:                             ;   in Loop: Header=BB2_2631 Depth=2
	v_bfe_u32 v11, v100, 23, 1
; %bb.2791:                             ;   in Loop: Header=BB2_2631 Depth=2
	s_or_b32 exec_lo, exec_lo, s12
	v_lshrrev_b32_e32 v100, 20, v100
	v_min_i32_e32 v101, 15, v11
	v_cmp_gt_i32_e32 vcc_lo, 16, v11
	v_and_b32_sdwa v10, v10, v80 dst_sel:DWORD dst_unused:UNUSED_PAD src0_sel:BYTE_3 src1_sel:DWORD
	v_lshlrev_b32_e32 v101, 3, v101
	v_cndmask_b32_e32 v100, 7, v100, vcc_lo
	v_and_b32_e32 v101, 0xf8, v101
	v_and_b32_e32 v103, 7, v100
	v_or_b32_e32 v11, v11, v100
	v_or3_b32 v10, v101, v10, v103
	v_cmp_ne_u32_e32 vcc_lo, 0, v11
	v_cndmask_b32_e32 v112, 0, v10, vcc_lo
.LBB2_2792:                             ;   in Loop: Header=BB2_2631 Depth=2
	s_or_b32 exec_lo, exec_lo, s41
.LBB2_2793:                             ;   in Loop: Header=BB2_2631 Depth=2
	s_or_b32 exec_lo, exec_lo, s40
	v_cmp_gt_i16_sdwa s40, v12, v71 src0_sel:BYTE_3 src1_sel:DWORD
	s_mov_b32 s12, 0
	s_and_saveexec_b32 s41, s40
	s_xor_b32 s40, exec_lo, s41
	s_cbranch_execz .LBB2_3203
; %bb.2794:                             ;   in Loop: Header=BB2_2631 Depth=2
	v_cmp_eq_u16_sdwa s42, v12, v80 src0_sel:BYTE_3 src1_sel:DWORD
	s_mov_b32 s12, -1
	s_and_saveexec_b32 s41, s42
; %bb.2795:                             ;   in Loop: Header=BB2_2631 Depth=2
	s_xor_b32 s12, exec_lo, -1
; %bb.2796:                             ;   in Loop: Header=BB2_2631 Depth=2
	s_or_b32 exec_lo, exec_lo, s41
	s_and_b32 s12, s12, exec_lo
	s_or_saveexec_b32 s40, s40
	v_mov_b32_e32 v10, 0x7f800001
	s_xor_b32 exec_lo, exec_lo, s40
	s_cbranch_execnz .LBB2_3204
.LBB2_2797:                             ;   in Loop: Header=BB2_2631 Depth=2
	s_or_b32 exec_lo, exec_lo, s40
	s_and_saveexec_b32 s40, s12
	s_cbranch_execz .LBB2_2799
.LBB2_2798:                             ;   in Loop: Header=BB2_2631 Depth=2
	v_bfe_u32 v10, v12, 24, 3
	v_bfe_u32 v101, v12, 27, 4
	v_ffbh_u32_e32 v11, v10
	v_cmp_eq_u32_e32 vcc_lo, 0, v101
	v_min_u32_e32 v11, 32, v11
	v_subrev_nc_u32_e32 v100, 28, v11
	v_sub_nc_u32_e32 v11, 29, v11
	v_lshlrev_b32_sdwa v100, v100, v12 dst_sel:DWORD dst_unused:UNUSED_PAD src0_sel:DWORD src1_sel:BYTE_3
	v_cndmask_b32_e32 v11, v101, v11, vcc_lo
	v_and_b32_e32 v12, 0x80000000, v12
	v_and_b32_e32 v100, 7, v100
	v_lshl_add_u32 v11, v11, 23, 0x3b800000
	v_cndmask_b32_e32 v10, v10, v100, vcc_lo
	v_lshlrev_b32_e32 v10, 20, v10
	v_or3_b32 v10, v12, v11, v10
.LBB2_2799:                             ;   in Loop: Header=BB2_2631 Depth=2
	s_or_b32 exec_lo, exec_lo, s40
	v_mul_f32_e32 v10, s29, v10
	v_mov_b32_e32 v116, 0x8000
	s_mov_b32 s40, exec_lo
	v_and_b32_e32 v11, 0x7f800000, v10
	v_cmpx_ne_u32_e32 0x7f800000, v11
	s_cbranch_execz .LBB2_2807
; %bb.2800:                             ;   in Loop: Header=BB2_2631 Depth=2
	v_mov_b32_e32 v116, 0
	s_mov_b32 s41, exec_lo
	v_cmpx_ne_u32_e32 0, v10
	s_cbranch_execz .LBB2_2806
; %bb.2801:                             ;   in Loop: Header=BB2_2631 Depth=2
	v_bfe_u32 v11, v10, 23, 8
	v_and_b32_e32 v12, 0x7fffff, v10
	v_sub_nc_u32_e32 v100, 0x78, v11
	v_cmp_gt_u32_e32 vcc_lo, 0x79, v11
	v_or_b32_e32 v101, 0x800000, v12
	v_cndmask_b32_e32 v100, 0, v100, vcc_lo
	v_cmp_eq_u32_e32 vcc_lo, 0, v11
	v_add_nc_u32_e32 v11, 0xffffff89, v11
	v_cndmask_b32_e64 v100, v100, 0x77, vcc_lo
	v_cndmask_b32_e32 v12, v101, v12, vcc_lo
	v_cndmask_b32_e64 v11, v11, 0xffffff8a, vcc_lo
	v_lshl_add_u32 v101, 0x100000, v100, -1
	v_lshrrev_b32_e32 v103, v100, v12
	v_lshlrev_b32_e64 v116, v100, 0x80000
	v_add_nc_u32_e32 v100, v100, v11
	v_and_b32_e32 v12, v101, v12
	v_bfe_u32 v113, v103, 20, 1
	v_cmp_eq_u32_e64 s12, v12, v116
	v_add_nc_u32_e32 v101, -1, v113
	v_cndmask_b32_e64 v12, 0, v101, s12
	v_lshrrev_b32_e32 v101, 23, v103
	s_mov_b32 s12, exec_lo
	v_add_nc_u32_e32 v12, v12, v103
	v_xor_b32_e32 v101, 1, v101
	v_and_b32_e32 v11, 0xfffff, v12
	v_add_nc_u32_e32 v12, v11, v103
                                        ; implicit-def: $vgpr11
	v_cmpx_ne_u32_e64 v100, v101
	s_xor_b32 s12, exec_lo, s12
; %bb.2802:                             ;   in Loop: Header=BB2_2631 Depth=2
	v_cmp_lt_u32_e32 vcc_lo, 0xffffff, v12
	v_sub_nc_u32_e32 v11, v100, v101
	v_cndmask_b32_e64 v100, 0, 1, vcc_lo
	v_add_co_ci_u32_e64 v11, null, 0, v11, vcc_lo
	v_lshrrev_b32_e32 v12, v100, v12
; %bb.2803:                             ;   in Loop: Header=BB2_2631 Depth=2
	s_andn2_saveexec_b32 s12, s12
; %bb.2804:                             ;   in Loop: Header=BB2_2631 Depth=2
	v_bfe_u32 v11, v12, 23, 1
; %bb.2805:                             ;   in Loop: Header=BB2_2631 Depth=2
	s_or_b32 exec_lo, exec_lo, s12
	v_lshrrev_b32_e32 v12, 20, v12
	v_min_i32_e32 v100, 15, v11
	v_cmp_gt_i32_e32 vcc_lo, 16, v11
	v_and_b32_sdwa v10, v10, v80 dst_sel:DWORD dst_unused:UNUSED_PAD src0_sel:BYTE_3 src1_sel:DWORD
	v_lshlrev_b32_e32 v100, 3, v100
	v_cndmask_b32_e32 v12, 7, v12, vcc_lo
	v_and_b32_e32 v100, 0xf8, v100
	v_and_b32_e32 v101, 7, v12
	v_or_b32_e32 v11, v11, v12
	v_or3_b32 v10, v10, v100, v101
	v_cmp_ne_u32_e32 vcc_lo, 0, v11
	v_lshlrev_b32_e32 v10, 8, v10
	v_cndmask_b32_e32 v116, 0, v10, vcc_lo
.LBB2_2806:                             ;   in Loop: Header=BB2_2631 Depth=2
	s_or_b32 exec_lo, exec_lo, s41
.LBB2_2807:                             ;   in Loop: Header=BB2_2631 Depth=2
	s_or_b32 exec_lo, exec_lo, s40
	v_cmp_gt_i16_sdwa s40, v13, v71 src0_sel:BYTE_0 src1_sel:DWORD
	s_mov_b32 s12, 0
	s_and_saveexec_b32 s41, s40
	s_xor_b32 s40, exec_lo, s41
	s_cbranch_execz .LBB2_3205
; %bb.2808:                             ;   in Loop: Header=BB2_2631 Depth=2
	v_cmp_eq_u16_sdwa s42, v13, v80 src0_sel:BYTE_0 src1_sel:DWORD
	s_mov_b32 s12, -1
	s_and_saveexec_b32 s41, s42
; %bb.2809:                             ;   in Loop: Header=BB2_2631 Depth=2
	s_xor_b32 s12, exec_lo, -1
; %bb.2810:                             ;   in Loop: Header=BB2_2631 Depth=2
	s_or_b32 exec_lo, exec_lo, s41
	s_and_b32 s12, s12, exec_lo
	s_or_saveexec_b32 s40, s40
	v_mov_b32_e32 v10, 0x7f800001
	s_xor_b32 exec_lo, exec_lo, s40
	s_cbranch_execnz .LBB2_3206
.LBB2_2811:                             ;   in Loop: Header=BB2_2631 Depth=2
	s_or_b32 exec_lo, exec_lo, s40
	s_and_saveexec_b32 s40, s12
	s_cbranch_execz .LBB2_2813
.LBB2_2812:                             ;   in Loop: Header=BB2_2631 Depth=2
	v_and_b32_e32 v10, 7, v13
	v_bfe_u32 v100, v13, 3, 4
	v_lshlrev_b32_e32 v101, 24, v13
	v_ffbh_u32_e32 v11, v10
	v_cmp_eq_u32_e32 vcc_lo, 0, v100
	v_min_u32_e32 v11, 32, v11
	v_subrev_nc_u32_e32 v12, 28, v11
	v_sub_nc_u32_e32 v11, 29, v11
	v_lshlrev_b32_e32 v12, v12, v13
	v_cndmask_b32_e32 v11, v100, v11, vcc_lo
	v_and_b32_e32 v12, 7, v12
	v_lshl_add_u32 v11, v11, 23, 0x3b800000
	v_cndmask_b32_e32 v10, v10, v12, vcc_lo
	v_and_b32_e32 v12, 0x80000000, v101
	v_lshlrev_b32_e32 v10, 20, v10
	v_or3_b32 v10, v12, v11, v10
.LBB2_2813:                             ;   in Loop: Header=BB2_2631 Depth=2
	s_or_b32 exec_lo, exec_lo, s40
	v_mul_f32_e32 v10, s29, v10
	v_mov_b32_e32 v101, 0x80
	s_mov_b32 s40, exec_lo
	v_and_b32_e32 v11, 0x7f800000, v10
	v_cmpx_ne_u32_e32 0x7f800000, v11
	s_cbranch_execz .LBB2_2821
; %bb.2814:                             ;   in Loop: Header=BB2_2631 Depth=2
	v_mov_b32_e32 v101, 0
	s_mov_b32 s41, exec_lo
	v_cmpx_ne_u32_e32 0, v10
	s_cbranch_execz .LBB2_2820
; %bb.2815:                             ;   in Loop: Header=BB2_2631 Depth=2
	v_bfe_u32 v11, v10, 23, 8
	v_and_b32_e32 v12, 0x7fffff, v10
	v_sub_nc_u32_e32 v100, 0x78, v11
	v_cmp_gt_u32_e32 vcc_lo, 0x79, v11
	v_or_b32_e32 v101, 0x800000, v12
	v_cndmask_b32_e32 v100, 0, v100, vcc_lo
	v_cmp_eq_u32_e32 vcc_lo, 0, v11
	v_add_nc_u32_e32 v11, 0xffffff89, v11
	v_cndmask_b32_e64 v100, v100, 0x77, vcc_lo
	v_cndmask_b32_e32 v12, v101, v12, vcc_lo
	v_cndmask_b32_e64 v11, v11, 0xffffff8a, vcc_lo
	v_lshl_add_u32 v101, 0x100000, v100, -1
	v_lshrrev_b32_e32 v103, v100, v12
	v_lshlrev_b32_e64 v43, v100, 0x80000
	v_add_nc_u32_e32 v100, v100, v11
	v_and_b32_e32 v12, v101, v12
	v_bfe_u32 v113, v103, 20, 1
	v_cmp_eq_u32_e64 s12, v12, v43
	v_add_nc_u32_e32 v101, -1, v113
	v_cndmask_b32_e64 v12, 0, v101, s12
	v_lshrrev_b32_e32 v101, 23, v103
	s_mov_b32 s12, exec_lo
	v_add_nc_u32_e32 v12, v12, v103
	v_xor_b32_e32 v101, 1, v101
	v_and_b32_e32 v11, 0xfffff, v12
	v_add_nc_u32_e32 v12, v11, v103
                                        ; implicit-def: $vgpr11
	v_cmpx_ne_u32_e64 v100, v101
	s_xor_b32 s12, exec_lo, s12
; %bb.2816:                             ;   in Loop: Header=BB2_2631 Depth=2
	v_cmp_lt_u32_e32 vcc_lo, 0xffffff, v12
	v_sub_nc_u32_e32 v11, v100, v101
	v_cndmask_b32_e64 v100, 0, 1, vcc_lo
	v_add_co_ci_u32_e64 v11, null, 0, v11, vcc_lo
	v_lshrrev_b32_e32 v12, v100, v12
; %bb.2817:                             ;   in Loop: Header=BB2_2631 Depth=2
	s_andn2_saveexec_b32 s12, s12
; %bb.2818:                             ;   in Loop: Header=BB2_2631 Depth=2
	v_bfe_u32 v11, v12, 23, 1
; %bb.2819:                             ;   in Loop: Header=BB2_2631 Depth=2
	s_or_b32 exec_lo, exec_lo, s12
	v_lshrrev_b32_e32 v12, 20, v12
	v_min_i32_e32 v100, 15, v11
	v_cmp_gt_i32_e32 vcc_lo, 16, v11
	v_and_b32_sdwa v10, v10, v80 dst_sel:DWORD dst_unused:UNUSED_PAD src0_sel:BYTE_3 src1_sel:DWORD
	v_lshlrev_b32_e32 v100, 3, v100
	v_cndmask_b32_e32 v12, 7, v12, vcc_lo
	v_and_b32_e32 v100, 0xf8, v100
	v_and_b32_e32 v101, 7, v12
	v_or_b32_e32 v11, v11, v12
	v_or3_b32 v10, v100, v10, v101
	v_cmp_ne_u32_e32 vcc_lo, 0, v11
	v_cndmask_b32_e32 v101, 0, v10, vcc_lo
.LBB2_2820:                             ;   in Loop: Header=BB2_2631 Depth=2
	s_or_b32 exec_lo, exec_lo, s41
.LBB2_2821:                             ;   in Loop: Header=BB2_2631 Depth=2
	s_or_b32 exec_lo, exec_lo, s40
	v_cmp_gt_i16_sdwa s40, v13, v71 src0_sel:BYTE_1 src1_sel:DWORD
	s_mov_b32 s12, 0
	s_and_saveexec_b32 s41, s40
	s_xor_b32 s40, exec_lo, s41
	s_cbranch_execz .LBB2_3207
; %bb.2822:                             ;   in Loop: Header=BB2_2631 Depth=2
	v_cmp_eq_u16_sdwa s42, v13, v80 src0_sel:BYTE_1 src1_sel:DWORD
	s_mov_b32 s12, -1
	s_and_saveexec_b32 s41, s42
; %bb.2823:                             ;   in Loop: Header=BB2_2631 Depth=2
	s_xor_b32 s12, exec_lo, -1
; %bb.2824:                             ;   in Loop: Header=BB2_2631 Depth=2
	s_or_b32 exec_lo, exec_lo, s41
	s_and_b32 s12, s12, exec_lo
	s_or_saveexec_b32 s40, s40
	v_mov_b32_e32 v10, 0x7f800001
	s_xor_b32 exec_lo, exec_lo, s40
	s_cbranch_execnz .LBB2_3208
.LBB2_2825:                             ;   in Loop: Header=BB2_2631 Depth=2
	s_or_b32 exec_lo, exec_lo, s40
	s_and_saveexec_b32 s40, s12
	s_cbranch_execz .LBB2_2827
.LBB2_2826:                             ;   in Loop: Header=BB2_2631 Depth=2
	v_and_b32_sdwa v10, v81, v13 dst_sel:DWORD dst_unused:UNUSED_PAD src0_sel:DWORD src1_sel:BYTE_1
	v_and_b32_e32 v11, 7, v10
	v_bfe_u32 v103, v10, 3, 4
	v_ffbh_u32_e32 v12, v11
	v_cmp_eq_u32_e32 vcc_lo, 0, v103
	v_min_u32_e32 v12, 32, v12
	v_subrev_nc_u32_e32 v100, 28, v12
	v_sub_nc_u32_e32 v12, 29, v12
	v_lshlrev_b32_e32 v10, v100, v10
	v_lshlrev_b32_sdwa v100, v82, v13 dst_sel:DWORD dst_unused:UNUSED_PAD src0_sel:DWORD src1_sel:BYTE_1
	v_cndmask_b32_e32 v12, v103, v12, vcc_lo
	v_and_b32_e32 v10, 7, v10
	v_lshl_add_u32 v12, v12, 23, 0x3b800000
	v_cndmask_b32_e32 v10, v11, v10, vcc_lo
	v_and_b32_e32 v11, 0x80000000, v100
	v_lshlrev_b32_e32 v10, 20, v10
	v_or3_b32 v10, v11, v12, v10
.LBB2_2827:                             ;   in Loop: Header=BB2_2631 Depth=2
	s_or_b32 exec_lo, exec_lo, s40
	v_mul_f32_e32 v10, s29, v10
	v_mov_b32_e32 v113, 0x8000
	s_mov_b32 s40, exec_lo
	v_and_b32_e32 v11, 0x7f800000, v10
	v_cmpx_ne_u32_e32 0x7f800000, v11
	s_cbranch_execz .LBB2_2835
; %bb.2828:                             ;   in Loop: Header=BB2_2631 Depth=2
	v_mov_b32_e32 v113, 0
	s_mov_b32 s41, exec_lo
	v_cmpx_ne_u32_e32 0, v10
	s_cbranch_execz .LBB2_2834
; %bb.2829:                             ;   in Loop: Header=BB2_2631 Depth=2
	v_bfe_u32 v11, v10, 23, 8
	v_and_b32_e32 v12, 0x7fffff, v10
	v_sub_nc_u32_e32 v100, 0x78, v11
	v_cmp_gt_u32_e32 vcc_lo, 0x79, v11
	v_or_b32_e32 v103, 0x800000, v12
	v_cndmask_b32_e32 v100, 0, v100, vcc_lo
	v_cmp_eq_u32_e32 vcc_lo, 0, v11
	v_add_nc_u32_e32 v11, 0xffffff89, v11
	v_cndmask_b32_e64 v100, v100, 0x77, vcc_lo
	v_cndmask_b32_e32 v12, v103, v12, vcc_lo
	v_cndmask_b32_e64 v11, v11, 0xffffff8a, vcc_lo
	v_lshl_add_u32 v103, 0x100000, v100, -1
	v_lshrrev_b32_e32 v113, v100, v12
	v_lshlrev_b32_e64 v44, v100, 0x80000
	v_add_nc_u32_e32 v100, v100, v11
	v_and_b32_e32 v12, v103, v12
	v_bfe_u32 v43, v113, 20, 1
	v_cmp_eq_u32_e64 s12, v12, v44
	v_add_nc_u32_e32 v103, -1, v43
	v_cndmask_b32_e64 v12, 0, v103, s12
	v_lshrrev_b32_e32 v103, 23, v113
	s_mov_b32 s12, exec_lo
	v_add_nc_u32_e32 v12, v12, v113
	v_xor_b32_e32 v103, 1, v103
	v_and_b32_e32 v11, 0xfffff, v12
	v_add_nc_u32_e32 v12, v11, v113
                                        ; implicit-def: $vgpr11
	v_cmpx_ne_u32_e64 v100, v103
	s_xor_b32 s12, exec_lo, s12
; %bb.2830:                             ;   in Loop: Header=BB2_2631 Depth=2
	v_cmp_lt_u32_e32 vcc_lo, 0xffffff, v12
	v_sub_nc_u32_e32 v11, v100, v103
	v_cndmask_b32_e64 v100, 0, 1, vcc_lo
	v_add_co_ci_u32_e64 v11, null, 0, v11, vcc_lo
	v_lshrrev_b32_e32 v12, v100, v12
; %bb.2831:                             ;   in Loop: Header=BB2_2631 Depth=2
	s_andn2_saveexec_b32 s12, s12
; %bb.2832:                             ;   in Loop: Header=BB2_2631 Depth=2
	v_bfe_u32 v11, v12, 23, 1
; %bb.2833:                             ;   in Loop: Header=BB2_2631 Depth=2
	s_or_b32 exec_lo, exec_lo, s12
	v_lshrrev_b32_e32 v12, 20, v12
	v_min_i32_e32 v100, 15, v11
	v_cmp_gt_i32_e32 vcc_lo, 16, v11
	v_and_b32_sdwa v10, v10, v80 dst_sel:DWORD dst_unused:UNUSED_PAD src0_sel:BYTE_3 src1_sel:DWORD
	v_lshlrev_b32_e32 v100, 3, v100
	v_cndmask_b32_e32 v12, 7, v12, vcc_lo
	v_and_b32_e32 v100, 0xf8, v100
	v_and_b32_e32 v103, 7, v12
	v_or_b32_e32 v11, v11, v12
	v_or3_b32 v10, v10, v100, v103
	v_cmp_ne_u32_e32 vcc_lo, 0, v11
	v_lshlrev_b32_e32 v10, 8, v10
	v_cndmask_b32_e32 v113, 0, v10, vcc_lo
.LBB2_2834:                             ;   in Loop: Header=BB2_2631 Depth=2
	s_or_b32 exec_lo, exec_lo, s41
.LBB2_2835:                             ;   in Loop: Header=BB2_2631 Depth=2
	s_or_b32 exec_lo, exec_lo, s40
	v_and_b32_sdwa v11, v13, v83 dst_sel:DWORD dst_unused:UNUSED_PAD src0_sel:WORD_1 src1_sel:DWORD
	s_mov_b32 s12, 0
	s_mov_b32 s40, exec_lo
	v_cmpx_lt_i16_e32 0x7f, v11
	s_xor_b32 s40, exec_lo, s40
	s_cbranch_execz .LBB2_3209
; %bb.2836:                             ;   in Loop: Header=BB2_2631 Depth=2
	s_mov_b32 s12, -1
	s_mov_b32 s41, exec_lo
	v_cmpx_eq_u16_e32 0x80, v11
; %bb.2837:                             ;   in Loop: Header=BB2_2631 Depth=2
	s_xor_b32 s12, exec_lo, -1
; %bb.2838:                             ;   in Loop: Header=BB2_2631 Depth=2
	s_or_b32 exec_lo, exec_lo, s41
	s_and_b32 s12, s12, exec_lo
                                        ; implicit-def: $vgpr11
	s_or_saveexec_b32 s40, s40
	v_mov_b32_e32 v10, 0x7f800001
	s_xor_b32 exec_lo, exec_lo, s40
	s_cbranch_execnz .LBB2_3210
.LBB2_2839:                             ;   in Loop: Header=BB2_2631 Depth=2
	s_or_b32 exec_lo, exec_lo, s40
	s_and_saveexec_b32 s40, s12
	s_cbranch_execz .LBB2_2841
.LBB2_2840:                             ;   in Loop: Header=BB2_2631 Depth=2
	v_bfe_u32 v10, v13, 16, 3
	v_bfe_u32 v100, v13, 19, 4
	v_lshlrev_b32_e32 v103, 8, v13
	v_ffbh_u32_e32 v11, v10
	v_cmp_eq_u32_e32 vcc_lo, 0, v100
	v_min_u32_e32 v11, 32, v11
	v_subrev_nc_u32_e32 v12, 28, v11
	v_sub_nc_u32_e32 v11, 29, v11
	v_lshlrev_b32_sdwa v12, v12, v13 dst_sel:DWORD dst_unused:UNUSED_PAD src0_sel:DWORD src1_sel:WORD_1
	v_cndmask_b32_e32 v11, v100, v11, vcc_lo
	v_and_b32_e32 v12, 7, v12
	v_lshl_add_u32 v11, v11, 23, 0x3b800000
	v_cndmask_b32_e32 v10, v10, v12, vcc_lo
	v_and_b32_e32 v12, 0x80000000, v103
	v_lshlrev_b32_e32 v10, 20, v10
	v_or3_b32 v10, v12, v11, v10
.LBB2_2841:                             ;   in Loop: Header=BB2_2631 Depth=2
	s_or_b32 exec_lo, exec_lo, s40
	v_mul_f32_e32 v10, s29, v10
	v_mov_b32_e32 v100, 0x80
	s_mov_b32 s40, exec_lo
	v_and_b32_e32 v11, 0x7f800000, v10
	v_cmpx_ne_u32_e32 0x7f800000, v11
	s_cbranch_execz .LBB2_2849
; %bb.2842:                             ;   in Loop: Header=BB2_2631 Depth=2
	v_mov_b32_e32 v100, 0
	s_mov_b32 s41, exec_lo
	v_cmpx_ne_u32_e32 0, v10
	s_cbranch_execz .LBB2_2848
; %bb.2843:                             ;   in Loop: Header=BB2_2631 Depth=2
	v_bfe_u32 v11, v10, 23, 8
	v_and_b32_e32 v12, 0x7fffff, v10
	v_sub_nc_u32_e32 v100, 0x78, v11
	v_cmp_gt_u32_e32 vcc_lo, 0x79, v11
	v_or_b32_e32 v103, 0x800000, v12
	v_cndmask_b32_e32 v100, 0, v100, vcc_lo
	v_cmp_eq_u32_e32 vcc_lo, 0, v11
	v_add_nc_u32_e32 v11, 0xffffff89, v11
	v_cndmask_b32_e64 v100, v100, 0x77, vcc_lo
	v_cndmask_b32_e32 v12, v103, v12, vcc_lo
	v_cndmask_b32_e64 v11, v11, 0xffffff8a, vcc_lo
	v_lshl_add_u32 v103, 0x100000, v100, -1
	v_lshrrev_b32_e32 v43, v100, v12
	v_lshlrev_b32_e64 v45, v100, 0x80000
	v_add_nc_u32_e32 v100, v100, v11
	v_and_b32_e32 v12, v103, v12
	v_bfe_u32 v44, v43, 20, 1
	v_cmp_eq_u32_e64 s12, v12, v45
	v_add_nc_u32_e32 v103, -1, v44
	v_cndmask_b32_e64 v12, 0, v103, s12
	v_lshrrev_b32_e32 v103, 23, v43
	s_mov_b32 s12, exec_lo
	v_add_nc_u32_e32 v12, v12, v43
	v_xor_b32_e32 v103, 1, v103
	v_and_b32_e32 v11, 0xfffff, v12
	v_add_nc_u32_e32 v12, v11, v43
                                        ; implicit-def: $vgpr11
	v_cmpx_ne_u32_e64 v100, v103
	s_xor_b32 s12, exec_lo, s12
; %bb.2844:                             ;   in Loop: Header=BB2_2631 Depth=2
	v_cmp_lt_u32_e32 vcc_lo, 0xffffff, v12
	v_sub_nc_u32_e32 v11, v100, v103
	v_cndmask_b32_e64 v100, 0, 1, vcc_lo
	v_add_co_ci_u32_e64 v11, null, 0, v11, vcc_lo
	v_lshrrev_b32_e32 v12, v100, v12
; %bb.2845:                             ;   in Loop: Header=BB2_2631 Depth=2
	s_andn2_saveexec_b32 s12, s12
; %bb.2846:                             ;   in Loop: Header=BB2_2631 Depth=2
	v_bfe_u32 v11, v12, 23, 1
; %bb.2847:                             ;   in Loop: Header=BB2_2631 Depth=2
	s_or_b32 exec_lo, exec_lo, s12
	v_lshrrev_b32_e32 v12, 20, v12
	v_min_i32_e32 v100, 15, v11
	v_cmp_gt_i32_e32 vcc_lo, 16, v11
	v_and_b32_sdwa v10, v10, v80 dst_sel:DWORD dst_unused:UNUSED_PAD src0_sel:BYTE_3 src1_sel:DWORD
	v_lshlrev_b32_e32 v100, 3, v100
	v_cndmask_b32_e32 v12, 7, v12, vcc_lo
	v_and_b32_e32 v100, 0xf8, v100
	v_and_b32_e32 v103, 7, v12
	v_or_b32_e32 v11, v11, v12
	v_or3_b32 v10, v100, v10, v103
	v_cmp_ne_u32_e32 vcc_lo, 0, v11
	v_cndmask_b32_e32 v100, 0, v10, vcc_lo
.LBB2_2848:                             ;   in Loop: Header=BB2_2631 Depth=2
	s_or_b32 exec_lo, exec_lo, s41
.LBB2_2849:                             ;   in Loop: Header=BB2_2631 Depth=2
	s_or_b32 exec_lo, exec_lo, s40
	v_cmp_gt_i16_sdwa s40, v13, v71 src0_sel:BYTE_3 src1_sel:DWORD
	s_mov_b32 s12, 0
	s_and_saveexec_b32 s41, s40
	s_xor_b32 s40, exec_lo, s41
	s_cbranch_execz .LBB2_3211
; %bb.2850:                             ;   in Loop: Header=BB2_2631 Depth=2
	v_cmp_eq_u16_sdwa s42, v13, v80 src0_sel:BYTE_3 src1_sel:DWORD
	s_mov_b32 s12, -1
	s_and_saveexec_b32 s41, s42
; %bb.2851:                             ;   in Loop: Header=BB2_2631 Depth=2
	s_xor_b32 s12, exec_lo, -1
; %bb.2852:                             ;   in Loop: Header=BB2_2631 Depth=2
	s_or_b32 exec_lo, exec_lo, s41
	s_and_b32 s12, s12, exec_lo
	s_or_saveexec_b32 s40, s40
	v_mov_b32_e32 v10, 0x7f800001
	s_xor_b32 exec_lo, exec_lo, s40
	s_cbranch_execnz .LBB2_3212
.LBB2_2853:                             ;   in Loop: Header=BB2_2631 Depth=2
	s_or_b32 exec_lo, exec_lo, s40
	s_and_saveexec_b32 s40, s12
	s_cbranch_execz .LBB2_2855
.LBB2_2854:                             ;   in Loop: Header=BB2_2631 Depth=2
	v_bfe_u32 v10, v13, 24, 3
	v_bfe_u32 v103, v13, 27, 4
	v_ffbh_u32_e32 v11, v10
	v_cmp_eq_u32_e32 vcc_lo, 0, v103
	v_min_u32_e32 v11, 32, v11
	v_subrev_nc_u32_e32 v12, 28, v11
	v_sub_nc_u32_e32 v11, 29, v11
	v_lshlrev_b32_sdwa v12, v12, v13 dst_sel:DWORD dst_unused:UNUSED_PAD src0_sel:DWORD src1_sel:BYTE_3
	v_cndmask_b32_e32 v11, v103, v11, vcc_lo
	v_and_b32_e32 v12, 7, v12
	v_lshl_add_u32 v11, v11, 23, 0x3b800000
	v_cndmask_b32_e32 v10, v10, v12, vcc_lo
	v_and_b32_e32 v12, 0x80000000, v13
	v_lshlrev_b32_e32 v10, 20, v10
	v_or3_b32 v10, v12, v11, v10
.LBB2_2855:                             ;   in Loop: Header=BB2_2631 Depth=2
	s_or_b32 exec_lo, exec_lo, s40
	v_mul_f32_e32 v10, s29, v10
	v_mov_b32_e32 v103, 0x8000
	s_mov_b32 s29, exec_lo
	v_and_b32_e32 v11, 0x7f800000, v10
	v_cmpx_ne_u32_e32 0x7f800000, v11
	s_cbranch_execz .LBB2_2863
; %bb.2856:                             ;   in Loop: Header=BB2_2631 Depth=2
	v_mov_b32_e32 v103, 0
	s_mov_b32 s40, exec_lo
	v_cmpx_ne_u32_e32 0, v10
	s_cbranch_execz .LBB2_2862
; %bb.2857:                             ;   in Loop: Header=BB2_2631 Depth=2
	v_bfe_u32 v11, v10, 23, 8
	v_and_b32_e32 v12, 0x7fffff, v10
	v_sub_nc_u32_e32 v13, 0x78, v11
	v_cmp_gt_u32_e32 vcc_lo, 0x79, v11
	v_or_b32_e32 v103, 0x800000, v12
	v_cndmask_b32_e32 v13, 0, v13, vcc_lo
	v_cmp_eq_u32_e32 vcc_lo, 0, v11
	v_add_nc_u32_e32 v11, 0xffffff89, v11
	v_cndmask_b32_e64 v13, v13, 0x77, vcc_lo
	v_cndmask_b32_e32 v12, v103, v12, vcc_lo
	v_cndmask_b32_e64 v11, v11, 0xffffff8a, vcc_lo
	v_lshl_add_u32 v103, 0x100000, v13, -1
	v_lshrrev_b32_e32 v43, v13, v12
	v_lshlrev_b32_e64 v45, v13, 0x80000
	v_add_nc_u32_e32 v13, v13, v11
	v_and_b32_e32 v12, v103, v12
	v_bfe_u32 v44, v43, 20, 1
	v_cmp_eq_u32_e64 s12, v12, v45
	v_add_nc_u32_e32 v103, -1, v44
	v_cndmask_b32_e64 v12, 0, v103, s12
	v_lshrrev_b32_e32 v103, 23, v43
	s_mov_b32 s12, exec_lo
	v_add_nc_u32_e32 v12, v12, v43
	v_xor_b32_e32 v103, 1, v103
	v_and_b32_e32 v11, 0xfffff, v12
	v_add_nc_u32_e32 v12, v11, v43
                                        ; implicit-def: $vgpr11
	v_cmpx_ne_u32_e64 v13, v103
	s_xor_b32 s12, exec_lo, s12
; %bb.2858:                             ;   in Loop: Header=BB2_2631 Depth=2
	v_cmp_lt_u32_e32 vcc_lo, 0xffffff, v12
	v_sub_nc_u32_e32 v11, v13, v103
	v_cndmask_b32_e64 v13, 0, 1, vcc_lo
	v_add_co_ci_u32_e64 v11, null, 0, v11, vcc_lo
	v_lshrrev_b32_e32 v12, v13, v12
; %bb.2859:                             ;   in Loop: Header=BB2_2631 Depth=2
	s_andn2_saveexec_b32 s12, s12
; %bb.2860:                             ;   in Loop: Header=BB2_2631 Depth=2
	v_bfe_u32 v11, v12, 23, 1
; %bb.2861:                             ;   in Loop: Header=BB2_2631 Depth=2
	s_or_b32 exec_lo, exec_lo, s12
	v_lshrrev_b32_e32 v12, 20, v12
	v_min_i32_e32 v13, 15, v11
	v_cmp_gt_i32_e32 vcc_lo, 16, v11
	v_and_b32_sdwa v10, v10, v80 dst_sel:DWORD dst_unused:UNUSED_PAD src0_sel:BYTE_3 src1_sel:DWORD
	v_lshlrev_b32_e32 v13, 3, v13
	v_cndmask_b32_e32 v12, 7, v12, vcc_lo
	v_and_b32_e32 v13, 0xf8, v13
	v_and_b32_e32 v103, 7, v12
	v_or_b32_e32 v11, v11, v12
	v_or3_b32 v10, v10, v13, v103
	v_cmp_ne_u32_e32 vcc_lo, 0, v11
	v_lshlrev_b32_e32 v10, 8, v10
	v_cndmask_b32_e32 v103, 0, v10, vcc_lo
.LBB2_2862:                             ;   in Loop: Header=BB2_2631 Depth=2
	s_or_b32 exec_lo, exec_lo, s40
.LBB2_2863:                             ;   in Loop: Header=BB2_2631 Depth=2
	s_or_b32 exec_lo, exec_lo, s29
	global_load_dwordx4 v[10:13], v[52:53], off slc
	v_or_b32_e32 v43, v102, v99
	s_mov_b32 s12, 0
	v_cmp_gt_i16_sdwa s29, v43, v71 src0_sel:BYTE_0 src1_sel:DWORD
	s_and_saveexec_b32 s40, s29
	s_xor_b32 s29, exec_lo, s40
	s_cbranch_execz .LBB2_3213
; %bb.2864:                             ;   in Loop: Header=BB2_2631 Depth=2
	v_cmp_eq_u16_sdwa s41, v43, v80 src0_sel:BYTE_0 src1_sel:DWORD
	s_mov_b32 s12, -1
	s_and_saveexec_b32 s40, s41
; %bb.2865:                             ;   in Loop: Header=BB2_2631 Depth=2
	s_xor_b32 s12, exec_lo, -1
; %bb.2866:                             ;   in Loop: Header=BB2_2631 Depth=2
	s_or_b32 exec_lo, exec_lo, s40
	s_and_b32 s12, s12, exec_lo
	s_or_saveexec_b32 s29, s29
	v_mov_b32_e32 v99, 0x7f800001
	s_xor_b32 exec_lo, exec_lo, s29
	s_cbranch_execnz .LBB2_3214
.LBB2_2867:                             ;   in Loop: Header=BB2_2631 Depth=2
	s_or_b32 exec_lo, exec_lo, s29
	s_and_saveexec_b32 s29, s12
	s_cbranch_execz .LBB2_2869
.LBB2_2868:                             ;   in Loop: Header=BB2_2631 Depth=2
	v_and_b32_e32 v99, 7, v43
	v_bfe_u32 v45, v43, 3, 4
	v_lshlrev_b32_e32 v46, 24, v43
	v_ffbh_u32_e32 v102, v99
	v_cmp_eq_u32_e32 vcc_lo, 0, v45
	v_min_u32_e32 v102, 32, v102
	v_subrev_nc_u32_e32 v44, 28, v102
	v_sub_nc_u32_e32 v102, 29, v102
	v_lshlrev_b32_e32 v44, v44, v43
	v_cndmask_b32_e32 v102, v45, v102, vcc_lo
	v_and_b32_e32 v44, 7, v44
	v_lshl_add_u32 v102, v102, 23, 0x3b800000
	v_cndmask_b32_e32 v99, v99, v44, vcc_lo
	v_and_b32_e32 v44, 0x80000000, v46
	v_lshlrev_b32_e32 v99, 20, v99
	v_or3_b32 v99, v44, v102, v99
.LBB2_2869:                             ;   in Loop: Header=BB2_2631 Depth=2
	s_or_b32 exec_lo, exec_lo, s29
	s_waitcnt vmcnt(0)
	v_cmp_gt_i16_sdwa s29, v10, v71 src0_sel:BYTE_0 src1_sel:DWORD
	s_mov_b32 s12, 0
	s_and_saveexec_b32 s40, s29
	s_xor_b32 s29, exec_lo, s40
	s_cbranch_execz .LBB2_3215
; %bb.2870:                             ;   in Loop: Header=BB2_2631 Depth=2
	v_cmp_eq_u16_sdwa s41, v10, v80 src0_sel:BYTE_0 src1_sel:DWORD
	s_mov_b32 s12, -1
	s_and_saveexec_b32 s40, s41
; %bb.2871:                             ;   in Loop: Header=BB2_2631 Depth=2
	s_xor_b32 s12, exec_lo, -1
; %bb.2872:                             ;   in Loop: Header=BB2_2631 Depth=2
	s_or_b32 exec_lo, exec_lo, s40
	s_and_b32 s12, s12, exec_lo
	s_or_saveexec_b32 s29, s29
	v_mov_b32_e32 v102, 0x7f800001
	s_xor_b32 exec_lo, exec_lo, s29
	s_cbranch_execnz .LBB2_3216
.LBB2_2873:                             ;   in Loop: Header=BB2_2631 Depth=2
	s_or_b32 exec_lo, exec_lo, s29
	s_and_saveexec_b32 s29, s12
	s_cbranch_execz .LBB2_2875
.LBB2_2874:                             ;   in Loop: Header=BB2_2631 Depth=2
	v_and_b32_e32 v102, 7, v10
	v_bfe_u32 v46, v10, 3, 4
	v_lshlrev_b32_e32 v47, 24, v10
	v_ffbh_u32_e32 v44, v102
	v_cmp_eq_u32_e32 vcc_lo, 0, v46
	v_min_u32_e32 v44, 32, v44
	v_subrev_nc_u32_e32 v45, 28, v44
	v_sub_nc_u32_e32 v44, 29, v44
	v_lshlrev_b32_e32 v45, v45, v10
	v_cndmask_b32_e32 v44, v46, v44, vcc_lo
	v_and_b32_e32 v45, 7, v45
	v_lshl_add_u32 v44, v44, 23, 0x3b800000
	v_cndmask_b32_e32 v102, v102, v45, vcc_lo
	v_and_b32_e32 v45, 0x80000000, v47
	v_lshlrev_b32_e32 v102, 20, v102
	v_or3_b32 v102, v45, v44, v102
.LBB2_2875:                             ;   in Loop: Header=BB2_2631 Depth=2
	s_or_b32 exec_lo, exec_lo, s29
	v_add_f32_e32 v102, v99, v102
	v_and_b32_e32 v99, 0x7f800000, v102
	v_cmp_ne_u32_e32 vcc_lo, 0x7f800000, v99
	v_mov_b32_e32 v99, 0x80
	s_and_saveexec_b32 s29, vcc_lo
	s_cbranch_execz .LBB2_2883
; %bb.2876:                             ;   in Loop: Header=BB2_2631 Depth=2
	v_mov_b32_e32 v99, 0
	s_mov_b32 s40, exec_lo
	v_cmpx_ne_u32_e32 0, v102
	s_cbranch_execz .LBB2_2882
; %bb.2877:                             ;   in Loop: Header=BB2_2631 Depth=2
	v_bfe_u32 v99, v102, 23, 8
	v_and_b32_e32 v44, 0x7fffff, v102
	v_sub_nc_u32_e32 v45, 0x78, v99
	v_cmp_gt_u32_e32 vcc_lo, 0x79, v99
	v_or_b32_e32 v46, 0x800000, v44
	v_cndmask_b32_e32 v45, 0, v45, vcc_lo
	v_cmp_eq_u32_e32 vcc_lo, 0, v99
	v_add_nc_u32_e32 v99, 0xffffff89, v99
	v_cndmask_b32_e64 v45, v45, 0x77, vcc_lo
	v_cndmask_b32_e32 v44, v46, v44, vcc_lo
	v_cndmask_b32_e64 v99, v99, 0xffffff8a, vcc_lo
	v_lshl_add_u32 v46, 0x100000, v45, -1
	v_lshrrev_b32_e32 v47, v45, v44
	v_lshlrev_b32_e64 v57, v45, 0x80000
	v_add_nc_u32_e32 v45, v45, v99
	v_and_b32_e32 v44, v46, v44
	v_bfe_u32 v56, v47, 20, 1
	v_cmp_eq_u32_e64 s12, v44, v57
	v_add_nc_u32_e32 v46, -1, v56
	v_cndmask_b32_e64 v44, 0, v46, s12
	v_lshrrev_b32_e32 v46, 23, v47
	s_mov_b32 s12, exec_lo
	v_add_nc_u32_e32 v44, v44, v47
	v_xor_b32_e32 v46, 1, v46
	v_and_b32_e32 v99, 0xfffff, v44
	v_add_nc_u32_e32 v44, v99, v47
                                        ; implicit-def: $vgpr99
	v_cmpx_ne_u32_e64 v45, v46
	s_xor_b32 s12, exec_lo, s12
; %bb.2878:                             ;   in Loop: Header=BB2_2631 Depth=2
	v_cmp_lt_u32_e32 vcc_lo, 0xffffff, v44
	v_sub_nc_u32_e32 v99, v45, v46
	v_cndmask_b32_e64 v45, 0, 1, vcc_lo
	v_add_co_ci_u32_e64 v99, null, 0, v99, vcc_lo
	v_lshrrev_b32_e32 v44, v45, v44
; %bb.2879:                             ;   in Loop: Header=BB2_2631 Depth=2
	s_andn2_saveexec_b32 s12, s12
; %bb.2880:                             ;   in Loop: Header=BB2_2631 Depth=2
	v_bfe_u32 v99, v44, 23, 1
; %bb.2881:                             ;   in Loop: Header=BB2_2631 Depth=2
	s_or_b32 exec_lo, exec_lo, s12
	v_lshrrev_b32_e32 v44, 20, v44
	v_min_i32_e32 v45, 15, v99
	v_cmp_gt_i32_e32 vcc_lo, 16, v99
	v_and_b32_sdwa v102, v102, v80 dst_sel:DWORD dst_unused:UNUSED_PAD src0_sel:BYTE_3 src1_sel:DWORD
	v_lshlrev_b32_e32 v45, 3, v45
	v_cndmask_b32_e32 v44, 7, v44, vcc_lo
	v_and_b32_e32 v45, 0xf8, v45
	v_and_b32_e32 v46, 7, v44
	v_or_b32_e32 v99, v99, v44
	v_or3_b32 v102, v45, v102, v46
	v_cmp_ne_u32_e32 vcc_lo, 0, v99
	v_cndmask_b32_e32 v99, 0, v102, vcc_lo
.LBB2_2882:                             ;   in Loop: Header=BB2_2631 Depth=2
	s_or_b32 exec_lo, exec_lo, s40
.LBB2_2883:                             ;   in Loop: Header=BB2_2631 Depth=2
	s_or_b32 exec_lo, exec_lo, s29
	v_cmp_gt_i16_sdwa s29, v43, v71 src0_sel:BYTE_1 src1_sel:DWORD
	s_mov_b32 s12, 0
	s_and_saveexec_b32 s40, s29
	s_xor_b32 s29, exec_lo, s40
	s_cbranch_execz .LBB2_3217
; %bb.2884:                             ;   in Loop: Header=BB2_2631 Depth=2
	v_cmp_eq_u16_sdwa s41, v43, v80 src0_sel:BYTE_1 src1_sel:DWORD
	s_mov_b32 s12, -1
	s_and_saveexec_b32 s40, s41
; %bb.2885:                             ;   in Loop: Header=BB2_2631 Depth=2
	s_xor_b32 s12, exec_lo, -1
; %bb.2886:                             ;   in Loop: Header=BB2_2631 Depth=2
	s_or_b32 exec_lo, exec_lo, s40
	s_and_b32 s12, s12, exec_lo
	s_or_saveexec_b32 s29, s29
	v_mov_b32_e32 v102, 0x7f800001
	s_xor_b32 exec_lo, exec_lo, s29
	s_cbranch_execnz .LBB2_3218
.LBB2_2887:                             ;   in Loop: Header=BB2_2631 Depth=2
	s_or_b32 exec_lo, exec_lo, s29
	s_and_saveexec_b32 s29, s12
	s_cbranch_execz .LBB2_2889
.LBB2_2888:                             ;   in Loop: Header=BB2_2631 Depth=2
	v_and_b32_sdwa v102, v81, v43 dst_sel:DWORD dst_unused:UNUSED_PAD src0_sel:DWORD src1_sel:BYTE_1
	v_and_b32_e32 v44, 7, v102
	v_bfe_u32 v47, v102, 3, 4
	v_ffbh_u32_e32 v45, v44
	v_cmp_eq_u32_e32 vcc_lo, 0, v47
	v_min_u32_e32 v45, 32, v45
	v_subrev_nc_u32_e32 v46, 28, v45
	v_sub_nc_u32_e32 v45, 29, v45
	v_lshlrev_b32_e32 v102, v46, v102
	v_lshlrev_b32_sdwa v46, v82, v43 dst_sel:DWORD dst_unused:UNUSED_PAD src0_sel:DWORD src1_sel:BYTE_1
	v_cndmask_b32_e32 v45, v47, v45, vcc_lo
	v_and_b32_e32 v102, 7, v102
	v_lshl_add_u32 v45, v45, 23, 0x3b800000
	v_cndmask_b32_e32 v102, v44, v102, vcc_lo
	v_and_b32_e32 v44, 0x80000000, v46
	v_lshlrev_b32_e32 v102, 20, v102
	v_or3_b32 v102, v44, v45, v102
.LBB2_2889:                             ;   in Loop: Header=BB2_2631 Depth=2
	s_or_b32 exec_lo, exec_lo, s29
	v_cmp_gt_i16_sdwa s29, v10, v71 src0_sel:BYTE_1 src1_sel:DWORD
	s_mov_b32 s12, 0
	s_and_saveexec_b32 s40, s29
	s_xor_b32 s29, exec_lo, s40
	s_cbranch_execz .LBB2_3219
; %bb.2890:                             ;   in Loop: Header=BB2_2631 Depth=2
	v_cmp_eq_u16_sdwa s41, v10, v80 src0_sel:BYTE_1 src1_sel:DWORD
	s_mov_b32 s12, -1
	s_and_saveexec_b32 s40, s41
; %bb.2891:                             ;   in Loop: Header=BB2_2631 Depth=2
	s_xor_b32 s12, exec_lo, -1
; %bb.2892:                             ;   in Loop: Header=BB2_2631 Depth=2
	s_or_b32 exec_lo, exec_lo, s40
	s_and_b32 s12, s12, exec_lo
	s_or_saveexec_b32 s29, s29
	v_mov_b32_e32 v44, 0x7f800001
	s_xor_b32 exec_lo, exec_lo, s29
	s_cbranch_execnz .LBB2_3220
.LBB2_2893:                             ;   in Loop: Header=BB2_2631 Depth=2
	s_or_b32 exec_lo, exec_lo, s29
	s_and_saveexec_b32 s29, s12
	s_cbranch_execz .LBB2_2895
.LBB2_2894:                             ;   in Loop: Header=BB2_2631 Depth=2
	v_and_b32_sdwa v44, v81, v10 dst_sel:DWORD dst_unused:UNUSED_PAD src0_sel:DWORD src1_sel:BYTE_1
	v_and_b32_e32 v45, 7, v44
	v_bfe_u32 v56, v44, 3, 4
	v_ffbh_u32_e32 v46, v45
	v_cmp_eq_u32_e32 vcc_lo, 0, v56
	v_min_u32_e32 v46, 32, v46
	v_subrev_nc_u32_e32 v47, 28, v46
	v_sub_nc_u32_e32 v46, 29, v46
	v_lshlrev_b32_e32 v44, v47, v44
	v_lshlrev_b32_sdwa v47, v82, v10 dst_sel:DWORD dst_unused:UNUSED_PAD src0_sel:DWORD src1_sel:BYTE_1
	v_cndmask_b32_e32 v46, v56, v46, vcc_lo
	v_and_b32_e32 v44, 7, v44
	v_lshl_add_u32 v46, v46, 23, 0x3b800000
	v_cndmask_b32_e32 v44, v45, v44, vcc_lo
	v_and_b32_e32 v45, 0x80000000, v47
	v_lshlrev_b32_e32 v44, 20, v44
	v_or3_b32 v44, v45, v46, v44
.LBB2_2895:                             ;   in Loop: Header=BB2_2631 Depth=2
	s_or_b32 exec_lo, exec_lo, s29
	v_add_f32_e32 v44, v102, v44
	v_and_b32_e32 v102, 0x7f800000, v44
	v_cmp_ne_u32_e32 vcc_lo, 0x7f800000, v102
	v_mov_b32_e32 v102, 0x8000
	s_and_saveexec_b32 s29, vcc_lo
	s_cbranch_execz .LBB2_2903
; %bb.2896:                             ;   in Loop: Header=BB2_2631 Depth=2
	v_mov_b32_e32 v102, 0
	s_mov_b32 s40, exec_lo
	v_cmpx_ne_u32_e32 0, v44
	s_cbranch_execz .LBB2_2902
; %bb.2897:                             ;   in Loop: Header=BB2_2631 Depth=2
	v_bfe_u32 v102, v44, 23, 8
	v_and_b32_e32 v45, 0x7fffff, v44
	v_sub_nc_u32_e32 v46, 0x78, v102
	v_cmp_gt_u32_e32 vcc_lo, 0x79, v102
	v_or_b32_e32 v47, 0x800000, v45
	v_cndmask_b32_e32 v46, 0, v46, vcc_lo
	v_cmp_eq_u32_e32 vcc_lo, 0, v102
	v_add_nc_u32_e32 v102, 0xffffff89, v102
	v_cndmask_b32_e64 v46, v46, 0x77, vcc_lo
	v_cndmask_b32_e32 v45, v47, v45, vcc_lo
	v_cndmask_b32_e64 v102, v102, 0xffffff8a, vcc_lo
	v_lshl_add_u32 v47, 0x100000, v46, -1
	v_lshrrev_b32_e32 v56, v46, v45
	v_lshlrev_b32_e64 v58, v46, 0x80000
	v_add_nc_u32_e32 v46, v46, v102
	v_and_b32_e32 v45, v47, v45
	v_bfe_u32 v57, v56, 20, 1
	v_cmp_eq_u32_e64 s12, v45, v58
	v_add_nc_u32_e32 v47, -1, v57
	v_cndmask_b32_e64 v45, 0, v47, s12
	v_lshrrev_b32_e32 v47, 23, v56
	s_mov_b32 s12, exec_lo
	v_add_nc_u32_e32 v45, v45, v56
	v_xor_b32_e32 v47, 1, v47
	v_and_b32_e32 v102, 0xfffff, v45
	v_add_nc_u32_e32 v45, v102, v56
                                        ; implicit-def: $vgpr102
	v_cmpx_ne_u32_e64 v46, v47
	s_xor_b32 s12, exec_lo, s12
; %bb.2898:                             ;   in Loop: Header=BB2_2631 Depth=2
	v_cmp_lt_u32_e32 vcc_lo, 0xffffff, v45
	v_sub_nc_u32_e32 v102, v46, v47
	v_cndmask_b32_e64 v46, 0, 1, vcc_lo
	v_add_co_ci_u32_e64 v102, null, 0, v102, vcc_lo
	v_lshrrev_b32_e32 v45, v46, v45
; %bb.2899:                             ;   in Loop: Header=BB2_2631 Depth=2
	s_andn2_saveexec_b32 s12, s12
; %bb.2900:                             ;   in Loop: Header=BB2_2631 Depth=2
	v_bfe_u32 v102, v45, 23, 1
; %bb.2901:                             ;   in Loop: Header=BB2_2631 Depth=2
	s_or_b32 exec_lo, exec_lo, s12
	v_lshrrev_b32_e32 v45, 20, v45
	v_min_i32_e32 v46, 15, v102
	v_cmp_gt_i32_e32 vcc_lo, 16, v102
	v_and_b32_sdwa v44, v44, v80 dst_sel:DWORD dst_unused:UNUSED_PAD src0_sel:BYTE_3 src1_sel:DWORD
	v_lshlrev_b32_e32 v46, 3, v46
	v_cndmask_b32_e32 v45, 7, v45, vcc_lo
	v_and_b32_e32 v46, 0xf8, v46
	v_and_b32_e32 v47, 7, v45
	v_or_b32_e32 v102, v102, v45
	v_or3_b32 v44, v44, v46, v47
	v_cmp_ne_u32_e32 vcc_lo, 0, v102
	v_lshlrev_b32_e32 v44, 8, v44
	v_cndmask_b32_e32 v102, 0, v44, vcc_lo
.LBB2_2902:                             ;   in Loop: Header=BB2_2631 Depth=2
	s_or_b32 exec_lo, exec_lo, s40
.LBB2_2903:                             ;   in Loop: Header=BB2_2631 Depth=2
	s_or_b32 exec_lo, exec_lo, s29
	v_or_b32_e32 v42, v42, v115
	s_mov_b32 s12, 0
	v_cmp_gt_i16_sdwa s29, v42, v71 src0_sel:BYTE_0 src1_sel:DWORD
	s_and_saveexec_b32 s40, s29
	s_xor_b32 s29, exec_lo, s40
	s_cbranch_execz .LBB2_3221
; %bb.2904:                             ;   in Loop: Header=BB2_2631 Depth=2
	v_cmp_eq_u16_sdwa s41, v42, v80 src0_sel:BYTE_0 src1_sel:DWORD
	s_mov_b32 s12, -1
	s_and_saveexec_b32 s40, s41
; %bb.2905:                             ;   in Loop: Header=BB2_2631 Depth=2
	s_xor_b32 s12, exec_lo, -1
; %bb.2906:                             ;   in Loop: Header=BB2_2631 Depth=2
	s_or_b32 exec_lo, exec_lo, s40
	s_and_b32 s12, s12, exec_lo
	s_or_saveexec_b32 s29, s29
	v_mov_b32_e32 v115, 0x7f800001
	s_xor_b32 exec_lo, exec_lo, s29
	s_cbranch_execnz .LBB2_3222
.LBB2_2907:                             ;   in Loop: Header=BB2_2631 Depth=2
	s_or_b32 exec_lo, exec_lo, s29
	v_lshl_or_b32 v42, v42, 16, v43
	s_and_saveexec_b32 s29, s12
	s_cbranch_execz .LBB2_2909
.LBB2_2908:                             ;   in Loop: Header=BB2_2631 Depth=2
	v_bfe_u32 v115, v42, 16, 3
	v_bfe_u32 v45, v42, 19, 4
	v_lshlrev_b32_e32 v46, 8, v42
	v_ffbh_u32_e32 v43, v115
	v_cmp_eq_u32_e32 vcc_lo, 0, v45
	v_min_u32_e32 v43, 32, v43
	v_subrev_nc_u32_e32 v44, 28, v43
	v_sub_nc_u32_e32 v43, 29, v43
	v_lshlrev_b32_sdwa v44, v44, v42 dst_sel:DWORD dst_unused:UNUSED_PAD src0_sel:DWORD src1_sel:WORD_1
	v_cndmask_b32_e32 v43, v45, v43, vcc_lo
	v_and_b32_e32 v44, 7, v44
	v_lshl_add_u32 v43, v43, 23, 0x3b800000
	v_cndmask_b32_e32 v115, v115, v44, vcc_lo
	v_and_b32_e32 v44, 0x80000000, v46
	v_lshlrev_b32_e32 v115, 20, v115
	v_or3_b32 v115, v44, v43, v115
.LBB2_2909:                             ;   in Loop: Header=BB2_2631 Depth=2
	s_or_b32 exec_lo, exec_lo, s29
	v_and_b32_sdwa v44, v10, v83 dst_sel:DWORD dst_unused:UNUSED_PAD src0_sel:WORD_1 src1_sel:DWORD
	s_mov_b32 s12, 0
	s_mov_b32 s29, exec_lo
	v_cmpx_lt_i16_e32 0x7f, v44
	s_xor_b32 s29, exec_lo, s29
	s_cbranch_execz .LBB2_3223
; %bb.2910:                             ;   in Loop: Header=BB2_2631 Depth=2
	s_mov_b32 s12, -1
	s_mov_b32 s40, exec_lo
	v_cmpx_eq_u16_e32 0x80, v44
; %bb.2911:                             ;   in Loop: Header=BB2_2631 Depth=2
	s_xor_b32 s12, exec_lo, -1
; %bb.2912:                             ;   in Loop: Header=BB2_2631 Depth=2
	s_or_b32 exec_lo, exec_lo, s40
	s_and_b32 s12, s12, exec_lo
                                        ; implicit-def: $vgpr44
	s_or_saveexec_b32 s29, s29
	v_mov_b32_e32 v43, 0x7f800001
	s_xor_b32 exec_lo, exec_lo, s29
	s_cbranch_execnz .LBB2_3224
.LBB2_2913:                             ;   in Loop: Header=BB2_2631 Depth=2
	s_or_b32 exec_lo, exec_lo, s29
	s_and_saveexec_b32 s29, s12
	s_cbranch_execz .LBB2_2915
.LBB2_2914:                             ;   in Loop: Header=BB2_2631 Depth=2
	v_and_b32_sdwa v43, v10, v84 dst_sel:DWORD dst_unused:UNUSED_PAD src0_sel:WORD_1 src1_sel:DWORD
	v_bfe_u32 v46, v10, 19, 4
	v_lshlrev_b32_sdwa v47, v82, v10 dst_sel:DWORD dst_unused:UNUSED_PAD src0_sel:DWORD src1_sel:WORD_1
	v_ffbh_u32_e32 v44, v43
	v_cmp_eq_u32_e32 vcc_lo, 0, v46
	v_min_u32_e32 v44, 32, v44
	v_subrev_nc_u32_e32 v45, 28, v44
	v_sub_nc_u32_e32 v44, 29, v44
	v_lshlrev_b32_sdwa v45, v45, v10 dst_sel:DWORD dst_unused:UNUSED_PAD src0_sel:DWORD src1_sel:WORD_1
	v_cndmask_b32_e32 v44, v46, v44, vcc_lo
	v_and_b32_e32 v45, 7, v45
	v_lshl_add_u32 v44, v44, 23, 0x3b800000
	v_cndmask_b32_e32 v43, v43, v45, vcc_lo
	v_and_b32_e32 v45, 0x80000000, v47
	v_lshlrev_b32_e32 v43, 20, v43
	v_or3_b32 v43, v45, v44, v43
.LBB2_2915:                             ;   in Loop: Header=BB2_2631 Depth=2
	s_or_b32 exec_lo, exec_lo, s29
	v_add_f32_e32 v43, v115, v43
	v_and_b32_e32 v115, 0x7f800000, v43
	v_cmp_ne_u32_e32 vcc_lo, 0x7f800000, v115
	v_mov_b32_e32 v115, 0x80
	s_and_saveexec_b32 s29, vcc_lo
	s_cbranch_execz .LBB2_2923
; %bb.2916:                             ;   in Loop: Header=BB2_2631 Depth=2
	v_mov_b32_e32 v115, 0
	s_mov_b32 s40, exec_lo
	v_cmpx_ne_u32_e32 0, v43
	s_cbranch_execz .LBB2_2922
; %bb.2917:                             ;   in Loop: Header=BB2_2631 Depth=2
	v_bfe_u32 v115, v43, 23, 8
	v_and_b32_e32 v44, 0x7fffff, v43
	v_sub_nc_u32_e32 v45, 0x78, v115
	v_cmp_gt_u32_e32 vcc_lo, 0x79, v115
	v_or_b32_e32 v46, 0x800000, v44
	v_cndmask_b32_e32 v45, 0, v45, vcc_lo
	v_cmp_eq_u32_e32 vcc_lo, 0, v115
	v_add_nc_u32_e32 v115, 0xffffff89, v115
	v_cndmask_b32_e64 v45, v45, 0x77, vcc_lo
	v_cndmask_b32_e32 v44, v46, v44, vcc_lo
	v_cndmask_b32_e64 v115, v115, 0xffffff8a, vcc_lo
	v_lshl_add_u32 v46, 0x100000, v45, -1
	v_lshrrev_b32_e32 v47, v45, v44
	v_lshlrev_b32_e64 v57, v45, 0x80000
	v_add_nc_u32_e32 v45, v45, v115
	v_and_b32_e32 v44, v46, v44
	v_bfe_u32 v56, v47, 20, 1
	v_cmp_eq_u32_e64 s12, v44, v57
	v_add_nc_u32_e32 v46, -1, v56
	v_cndmask_b32_e64 v44, 0, v46, s12
	v_lshrrev_b32_e32 v46, 23, v47
	s_mov_b32 s12, exec_lo
	v_add_nc_u32_e32 v44, v44, v47
	v_xor_b32_e32 v46, 1, v46
	v_and_b32_e32 v115, 0xfffff, v44
	v_add_nc_u32_e32 v44, v115, v47
                                        ; implicit-def: $vgpr115
	v_cmpx_ne_u32_e64 v45, v46
	s_xor_b32 s12, exec_lo, s12
; %bb.2918:                             ;   in Loop: Header=BB2_2631 Depth=2
	v_cmp_lt_u32_e32 vcc_lo, 0xffffff, v44
	v_sub_nc_u32_e32 v115, v45, v46
	v_cndmask_b32_e64 v45, 0, 1, vcc_lo
	v_add_co_ci_u32_e64 v115, null, 0, v115, vcc_lo
	v_lshrrev_b32_e32 v44, v45, v44
; %bb.2919:                             ;   in Loop: Header=BB2_2631 Depth=2
	s_andn2_saveexec_b32 s12, s12
; %bb.2920:                             ;   in Loop: Header=BB2_2631 Depth=2
	v_bfe_u32 v115, v44, 23, 1
; %bb.2921:                             ;   in Loop: Header=BB2_2631 Depth=2
	s_or_b32 exec_lo, exec_lo, s12
	v_lshrrev_b32_e32 v44, 20, v44
	v_min_i32_e32 v45, 15, v115
	v_cmp_gt_i32_e32 vcc_lo, 16, v115
	v_and_b32_sdwa v43, v43, v80 dst_sel:DWORD dst_unused:UNUSED_PAD src0_sel:BYTE_3 src1_sel:DWORD
	v_lshlrev_b32_e32 v45, 3, v45
	v_cndmask_b32_e32 v44, 7, v44, vcc_lo
	v_and_b32_e32 v45, 0xf8, v45
	v_and_b32_e32 v46, 7, v44
	v_or_b32_e32 v115, v115, v44
	v_or3_b32 v43, v45, v43, v46
	v_cmp_ne_u32_e32 vcc_lo, 0, v115
	v_cndmask_b32_e32 v115, 0, v43, vcc_lo
.LBB2_2922:                             ;   in Loop: Header=BB2_2631 Depth=2
	s_or_b32 exec_lo, exec_lo, s40
.LBB2_2923:                             ;   in Loop: Header=BB2_2631 Depth=2
	s_or_b32 exec_lo, exec_lo, s29
	v_cmp_gt_i16_sdwa s29, v42, v71 src0_sel:BYTE_3 src1_sel:DWORD
	s_mov_b32 s12, 0
	s_and_saveexec_b32 s40, s29
	s_xor_b32 s29, exec_lo, s40
	s_cbranch_execz .LBB2_3225
; %bb.2924:                             ;   in Loop: Header=BB2_2631 Depth=2
	v_cmp_eq_u16_sdwa s41, v42, v80 src0_sel:BYTE_3 src1_sel:DWORD
	s_mov_b32 s12, -1
	s_and_saveexec_b32 s40, s41
; %bb.2925:                             ;   in Loop: Header=BB2_2631 Depth=2
	s_xor_b32 s12, exec_lo, -1
; %bb.2926:                             ;   in Loop: Header=BB2_2631 Depth=2
	s_or_b32 exec_lo, exec_lo, s40
	s_and_b32 s12, s12, exec_lo
	s_or_saveexec_b32 s29, s29
	v_mov_b32_e32 v43, 0x7f800001
	s_xor_b32 exec_lo, exec_lo, s29
	s_cbranch_execnz .LBB2_3226
.LBB2_2927:                             ;   in Loop: Header=BB2_2631 Depth=2
	s_or_b32 exec_lo, exec_lo, s29
	s_and_saveexec_b32 s29, s12
	s_cbranch_execz .LBB2_2929
.LBB2_2928:                             ;   in Loop: Header=BB2_2631 Depth=2
	v_bfe_u32 v43, v42, 24, 3
	v_bfe_u32 v46, v42, 27, 4
	v_ffbh_u32_e32 v44, v43
	v_cmp_eq_u32_e32 vcc_lo, 0, v46
	v_min_u32_e32 v44, 32, v44
	v_subrev_nc_u32_e32 v45, 28, v44
	v_sub_nc_u32_e32 v44, 29, v44
	v_lshlrev_b32_sdwa v45, v45, v42 dst_sel:DWORD dst_unused:UNUSED_PAD src0_sel:DWORD src1_sel:BYTE_3
	v_cndmask_b32_e32 v44, v46, v44, vcc_lo
	v_and_b32_e32 v42, 0x80000000, v42
	v_and_b32_e32 v45, 7, v45
	v_lshl_add_u32 v44, v44, 23, 0x3b800000
	v_cndmask_b32_e32 v43, v43, v45, vcc_lo
	v_lshlrev_b32_e32 v43, 20, v43
	v_or3_b32 v43, v42, v44, v43
.LBB2_2929:                             ;   in Loop: Header=BB2_2631 Depth=2
	s_or_b32 exec_lo, exec_lo, s29
	v_cmp_gt_i16_sdwa s29, v10, v71 src0_sel:BYTE_3 src1_sel:DWORD
	s_mov_b32 s12, 0
	s_and_saveexec_b32 s40, s29
	s_xor_b32 s29, exec_lo, s40
	s_cbranch_execz .LBB2_3227
; %bb.2930:                             ;   in Loop: Header=BB2_2631 Depth=2
	v_cmp_eq_u16_sdwa s41, v10, v80 src0_sel:BYTE_3 src1_sel:DWORD
	s_mov_b32 s12, -1
	s_and_saveexec_b32 s40, s41
; %bb.2931:                             ;   in Loop: Header=BB2_2631 Depth=2
	s_xor_b32 s12, exec_lo, -1
; %bb.2932:                             ;   in Loop: Header=BB2_2631 Depth=2
	s_or_b32 exec_lo, exec_lo, s40
	s_and_b32 s12, s12, exec_lo
	s_or_saveexec_b32 s29, s29
	v_mov_b32_e32 v42, 0x7f800001
	s_xor_b32 exec_lo, exec_lo, s29
	s_cbranch_execnz .LBB2_3228
.LBB2_2933:                             ;   in Loop: Header=BB2_2631 Depth=2
	s_or_b32 exec_lo, exec_lo, s29
	s_and_saveexec_b32 s29, s12
	s_cbranch_execz .LBB2_2935
.LBB2_2934:                             ;   in Loop: Header=BB2_2631 Depth=2
	v_and_b32_sdwa v42, v10, v84 dst_sel:DWORD dst_unused:UNUSED_PAD src0_sel:BYTE_3 src1_sel:DWORD
	v_bfe_u32 v46, v10, 27, 4
	v_ffbh_u32_e32 v44, v42
	v_cmp_eq_u32_e32 vcc_lo, 0, v46
	v_min_u32_e32 v44, 32, v44
	v_subrev_nc_u32_e32 v45, 28, v44
	v_sub_nc_u32_e32 v44, 29, v44
	v_lshlrev_b32_sdwa v45, v45, v10 dst_sel:DWORD dst_unused:UNUSED_PAD src0_sel:DWORD src1_sel:BYTE_3
	v_cndmask_b32_e32 v44, v46, v44, vcc_lo
	v_and_b32_e32 v10, 0x80000000, v10
	v_and_b32_e32 v45, 7, v45
	v_lshl_add_u32 v44, v44, 23, 0x3b800000
	v_cndmask_b32_e32 v42, v42, v45, vcc_lo
	v_lshlrev_b32_e32 v42, 20, v42
	v_or3_b32 v42, v10, v44, v42
.LBB2_2935:                             ;   in Loop: Header=BB2_2631 Depth=2
	s_or_b32 exec_lo, exec_lo, s29
	v_add_f32_e32 v42, v43, v42
	v_and_b32_e32 v10, 0x7f800000, v42
	v_cmp_ne_u32_e32 vcc_lo, 0x7f800000, v10
	v_mov_b32_e32 v10, 0x8000
	s_and_saveexec_b32 s29, vcc_lo
	s_cbranch_execz .LBB2_2943
; %bb.2936:                             ;   in Loop: Header=BB2_2631 Depth=2
	v_mov_b32_e32 v10, 0
	s_mov_b32 s40, exec_lo
	v_cmpx_ne_u32_e32 0, v42
	s_cbranch_execz .LBB2_2942
; %bb.2937:                             ;   in Loop: Header=BB2_2631 Depth=2
	v_bfe_u32 v10, v42, 23, 8
	v_and_b32_e32 v43, 0x7fffff, v42
	v_sub_nc_u32_e32 v44, 0x78, v10
	v_cmp_gt_u32_e32 vcc_lo, 0x79, v10
	v_or_b32_e32 v45, 0x800000, v43
	v_cndmask_b32_e32 v44, 0, v44, vcc_lo
	v_cmp_eq_u32_e32 vcc_lo, 0, v10
	v_add_nc_u32_e32 v10, 0xffffff89, v10
	v_cndmask_b32_e64 v44, v44, 0x77, vcc_lo
	v_cndmask_b32_e32 v43, v45, v43, vcc_lo
	v_cndmask_b32_e64 v10, v10, 0xffffff8a, vcc_lo
	v_lshl_add_u32 v45, 0x100000, v44, -1
	v_lshrrev_b32_e32 v46, v44, v43
	v_lshlrev_b32_e64 v56, v44, 0x80000
	v_add_nc_u32_e32 v44, v44, v10
	v_and_b32_e32 v43, v45, v43
	v_bfe_u32 v47, v46, 20, 1
	v_cmp_eq_u32_e64 s12, v43, v56
	v_add_nc_u32_e32 v45, -1, v47
	v_cndmask_b32_e64 v43, 0, v45, s12
	v_lshrrev_b32_e32 v45, 23, v46
	s_mov_b32 s12, exec_lo
	v_add_nc_u32_e32 v43, v43, v46
	v_xor_b32_e32 v45, 1, v45
	v_and_b32_e32 v10, 0xfffff, v43
	v_add_nc_u32_e32 v43, v10, v46
                                        ; implicit-def: $vgpr10
	v_cmpx_ne_u32_e64 v44, v45
	s_xor_b32 s12, exec_lo, s12
; %bb.2938:                             ;   in Loop: Header=BB2_2631 Depth=2
	v_cmp_lt_u32_e32 vcc_lo, 0xffffff, v43
	v_sub_nc_u32_e32 v10, v44, v45
	v_cndmask_b32_e64 v44, 0, 1, vcc_lo
	v_add_co_ci_u32_e64 v10, null, 0, v10, vcc_lo
	v_lshrrev_b32_e32 v43, v44, v43
; %bb.2939:                             ;   in Loop: Header=BB2_2631 Depth=2
	s_andn2_saveexec_b32 s12, s12
; %bb.2940:                             ;   in Loop: Header=BB2_2631 Depth=2
	v_bfe_u32 v10, v43, 23, 1
; %bb.2941:                             ;   in Loop: Header=BB2_2631 Depth=2
	s_or_b32 exec_lo, exec_lo, s12
	v_lshrrev_b32_e32 v43, 20, v43
	v_min_i32_e32 v44, 15, v10
	v_cmp_gt_i32_e32 vcc_lo, 16, v10
	v_and_b32_sdwa v42, v42, v80 dst_sel:DWORD dst_unused:UNUSED_PAD src0_sel:BYTE_3 src1_sel:DWORD
	v_lshlrev_b32_e32 v44, 3, v44
	v_cndmask_b32_e32 v43, 7, v43, vcc_lo
	v_and_b32_e32 v44, 0xf8, v44
	v_and_b32_e32 v45, 7, v43
	v_or_b32_e32 v10, v10, v43
	v_or3_b32 v42, v42, v44, v45
	v_cmp_ne_u32_e32 vcc_lo, 0, v10
	v_lshlrev_b32_e32 v42, 8, v42
	v_cndmask_b32_e32 v10, 0, v42, vcc_lo
.LBB2_2942:                             ;   in Loop: Header=BB2_2631 Depth=2
	s_or_b32 exec_lo, exec_lo, s40
.LBB2_2943:                             ;   in Loop: Header=BB2_2631 Depth=2
	s_or_b32 exec_lo, exec_lo, s29
	v_or_b32_e32 v42, v41, v119
	s_mov_b32 s12, 0
	v_cmp_gt_i16_sdwa s29, v42, v71 src0_sel:BYTE_0 src1_sel:DWORD
	s_and_saveexec_b32 s40, s29
	s_xor_b32 s29, exec_lo, s40
	s_cbranch_execz .LBB2_3229
; %bb.2944:                             ;   in Loop: Header=BB2_2631 Depth=2
	v_cmp_eq_u16_sdwa s41, v42, v80 src0_sel:BYTE_0 src1_sel:DWORD
	s_mov_b32 s12, -1
	s_and_saveexec_b32 s40, s41
; %bb.2945:                             ;   in Loop: Header=BB2_2631 Depth=2
	s_xor_b32 s12, exec_lo, -1
; %bb.2946:                             ;   in Loop: Header=BB2_2631 Depth=2
	s_or_b32 exec_lo, exec_lo, s40
	s_and_b32 s12, s12, exec_lo
	s_or_saveexec_b32 s29, s29
	v_mov_b32_e32 v119, 0x7f800001
	s_xor_b32 exec_lo, exec_lo, s29
	s_cbranch_execnz .LBB2_3230
.LBB2_2947:                             ;   in Loop: Header=BB2_2631 Depth=2
	s_or_b32 exec_lo, exec_lo, s29
	s_and_saveexec_b32 s29, s12
	s_cbranch_execz .LBB2_2949
.LBB2_2948:                             ;   in Loop: Header=BB2_2631 Depth=2
	v_and_b32_e32 v119, 7, v42
	v_bfe_u32 v44, v42, 3, 4
	v_lshlrev_b32_e32 v45, 24, v42
	v_ffbh_u32_e32 v41, v119
	v_cmp_eq_u32_e32 vcc_lo, 0, v44
	v_min_u32_e32 v41, 32, v41
	v_subrev_nc_u32_e32 v43, 28, v41
	v_sub_nc_u32_e32 v41, 29, v41
	v_lshlrev_b32_e32 v43, v43, v42
	v_cndmask_b32_e32 v41, v44, v41, vcc_lo
	v_and_b32_e32 v43, 7, v43
	v_lshl_add_u32 v41, v41, 23, 0x3b800000
	v_cndmask_b32_e32 v119, v119, v43, vcc_lo
	v_and_b32_e32 v43, 0x80000000, v45
	v_lshlrev_b32_e32 v119, 20, v119
	v_or3_b32 v119, v43, v41, v119
.LBB2_2949:                             ;   in Loop: Header=BB2_2631 Depth=2
	s_or_b32 exec_lo, exec_lo, s29
	v_cmp_gt_i16_sdwa s29, v11, v71 src0_sel:BYTE_0 src1_sel:DWORD
	s_mov_b32 s12, 0
	s_and_saveexec_b32 s40, s29
	s_xor_b32 s29, exec_lo, s40
	s_cbranch_execz .LBB2_3231
; %bb.2950:                             ;   in Loop: Header=BB2_2631 Depth=2
	v_cmp_eq_u16_sdwa s41, v11, v80 src0_sel:BYTE_0 src1_sel:DWORD
	s_mov_b32 s12, -1
	s_and_saveexec_b32 s40, s41
; %bb.2951:                             ;   in Loop: Header=BB2_2631 Depth=2
	s_xor_b32 s12, exec_lo, -1
; %bb.2952:                             ;   in Loop: Header=BB2_2631 Depth=2
	s_or_b32 exec_lo, exec_lo, s40
	s_and_b32 s12, s12, exec_lo
	s_or_saveexec_b32 s29, s29
	v_mov_b32_e32 v41, 0x7f800001
	s_xor_b32 exec_lo, exec_lo, s29
	s_cbranch_execnz .LBB2_3232
.LBB2_2953:                             ;   in Loop: Header=BB2_2631 Depth=2
	s_or_b32 exec_lo, exec_lo, s29
	s_and_saveexec_b32 s29, s12
	s_cbranch_execz .LBB2_2955
.LBB2_2954:                             ;   in Loop: Header=BB2_2631 Depth=2
	v_and_b32_e32 v41, 7, v11
	v_bfe_u32 v45, v11, 3, 4
	v_lshlrev_b32_e32 v46, 24, v11
	v_ffbh_u32_e32 v43, v41
	v_cmp_eq_u32_e32 vcc_lo, 0, v45
	v_min_u32_e32 v43, 32, v43
	v_subrev_nc_u32_e32 v44, 28, v43
	v_sub_nc_u32_e32 v43, 29, v43
	v_lshlrev_b32_e32 v44, v44, v11
	v_cndmask_b32_e32 v43, v45, v43, vcc_lo
	v_and_b32_e32 v44, 7, v44
	v_lshl_add_u32 v43, v43, 23, 0x3b800000
	v_cndmask_b32_e32 v41, v41, v44, vcc_lo
	v_and_b32_e32 v44, 0x80000000, v46
	v_lshlrev_b32_e32 v41, 20, v41
	v_or3_b32 v41, v44, v43, v41
.LBB2_2955:                             ;   in Loop: Header=BB2_2631 Depth=2
	s_or_b32 exec_lo, exec_lo, s29
	v_add_f32_e32 v41, v119, v41
	v_and_b32_e32 v119, 0x7f800000, v41
	v_cmp_ne_u32_e32 vcc_lo, 0x7f800000, v119
	v_mov_b32_e32 v119, 0x80
	s_and_saveexec_b32 s29, vcc_lo
	s_cbranch_execz .LBB2_2963
; %bb.2956:                             ;   in Loop: Header=BB2_2631 Depth=2
	v_mov_b32_e32 v119, 0
	s_mov_b32 s40, exec_lo
	v_cmpx_ne_u32_e32 0, v41
	s_cbranch_execz .LBB2_2962
; %bb.2957:                             ;   in Loop: Header=BB2_2631 Depth=2
	v_bfe_u32 v119, v41, 23, 8
	v_and_b32_e32 v43, 0x7fffff, v41
	v_sub_nc_u32_e32 v44, 0x78, v119
	v_cmp_gt_u32_e32 vcc_lo, 0x79, v119
	v_or_b32_e32 v45, 0x800000, v43
	v_cndmask_b32_e32 v44, 0, v44, vcc_lo
	v_cmp_eq_u32_e32 vcc_lo, 0, v119
	v_add_nc_u32_e32 v119, 0xffffff89, v119
	v_cndmask_b32_e64 v44, v44, 0x77, vcc_lo
	v_cndmask_b32_e32 v43, v45, v43, vcc_lo
	v_cndmask_b32_e64 v119, v119, 0xffffff8a, vcc_lo
	v_lshl_add_u32 v45, 0x100000, v44, -1
	v_lshrrev_b32_e32 v46, v44, v43
	v_lshlrev_b32_e64 v56, v44, 0x80000
	v_add_nc_u32_e32 v44, v44, v119
	v_and_b32_e32 v43, v45, v43
	v_bfe_u32 v47, v46, 20, 1
	v_cmp_eq_u32_e64 s12, v43, v56
	v_add_nc_u32_e32 v45, -1, v47
	v_cndmask_b32_e64 v43, 0, v45, s12
	v_lshrrev_b32_e32 v45, 23, v46
	s_mov_b32 s12, exec_lo
	v_add_nc_u32_e32 v43, v43, v46
	v_xor_b32_e32 v45, 1, v45
	v_and_b32_e32 v119, 0xfffff, v43
	v_add_nc_u32_e32 v43, v119, v46
                                        ; implicit-def: $vgpr119
	v_cmpx_ne_u32_e64 v44, v45
	s_xor_b32 s12, exec_lo, s12
; %bb.2958:                             ;   in Loop: Header=BB2_2631 Depth=2
	v_cmp_lt_u32_e32 vcc_lo, 0xffffff, v43
	v_sub_nc_u32_e32 v119, v44, v45
	v_cndmask_b32_e64 v44, 0, 1, vcc_lo
	v_add_co_ci_u32_e64 v119, null, 0, v119, vcc_lo
	v_lshrrev_b32_e32 v43, v44, v43
; %bb.2959:                             ;   in Loop: Header=BB2_2631 Depth=2
	s_andn2_saveexec_b32 s12, s12
; %bb.2960:                             ;   in Loop: Header=BB2_2631 Depth=2
	v_bfe_u32 v119, v43, 23, 1
; %bb.2961:                             ;   in Loop: Header=BB2_2631 Depth=2
	s_or_b32 exec_lo, exec_lo, s12
	v_lshrrev_b32_e32 v43, 20, v43
	v_min_i32_e32 v44, 15, v119
	v_cmp_gt_i32_e32 vcc_lo, 16, v119
	v_and_b32_sdwa v41, v41, v80 dst_sel:DWORD dst_unused:UNUSED_PAD src0_sel:BYTE_3 src1_sel:DWORD
	v_lshlrev_b32_e32 v44, 3, v44
	v_cndmask_b32_e32 v43, 7, v43, vcc_lo
	v_and_b32_e32 v44, 0xf8, v44
	v_and_b32_e32 v45, 7, v43
	v_or_b32_e32 v119, v119, v43
	v_or3_b32 v41, v44, v41, v45
	v_cmp_ne_u32_e32 vcc_lo, 0, v119
	v_cndmask_b32_e32 v119, 0, v41, vcc_lo
.LBB2_2962:                             ;   in Loop: Header=BB2_2631 Depth=2
	s_or_b32 exec_lo, exec_lo, s40
.LBB2_2963:                             ;   in Loop: Header=BB2_2631 Depth=2
	s_or_b32 exec_lo, exec_lo, s29
	v_cmp_gt_i16_sdwa s29, v42, v71 src0_sel:BYTE_1 src1_sel:DWORD
	s_mov_b32 s12, 0
	s_and_saveexec_b32 s40, s29
	s_xor_b32 s29, exec_lo, s40
	s_cbranch_execz .LBB2_3233
; %bb.2964:                             ;   in Loop: Header=BB2_2631 Depth=2
	v_cmp_eq_u16_sdwa s41, v42, v80 src0_sel:BYTE_1 src1_sel:DWORD
	s_mov_b32 s12, -1
	s_and_saveexec_b32 s40, s41
; %bb.2965:                             ;   in Loop: Header=BB2_2631 Depth=2
	s_xor_b32 s12, exec_lo, -1
; %bb.2966:                             ;   in Loop: Header=BB2_2631 Depth=2
	s_or_b32 exec_lo, exec_lo, s40
	s_and_b32 s12, s12, exec_lo
	s_or_saveexec_b32 s29, s29
	v_mov_b32_e32 v41, 0x7f800001
	s_xor_b32 exec_lo, exec_lo, s29
	s_cbranch_execnz .LBB2_3234
.LBB2_2967:                             ;   in Loop: Header=BB2_2631 Depth=2
	s_or_b32 exec_lo, exec_lo, s29
	s_and_saveexec_b32 s29, s12
	s_cbranch_execz .LBB2_2969
.LBB2_2968:                             ;   in Loop: Header=BB2_2631 Depth=2
	v_and_b32_sdwa v41, v81, v42 dst_sel:DWORD dst_unused:UNUSED_PAD src0_sel:DWORD src1_sel:BYTE_1
	v_and_b32_e32 v43, 7, v41
	v_bfe_u32 v46, v41, 3, 4
	v_ffbh_u32_e32 v44, v43
	v_cmp_eq_u32_e32 vcc_lo, 0, v46
	v_min_u32_e32 v44, 32, v44
	v_subrev_nc_u32_e32 v45, 28, v44
	v_sub_nc_u32_e32 v44, 29, v44
	v_lshlrev_b32_e32 v41, v45, v41
	v_lshlrev_b32_sdwa v45, v82, v42 dst_sel:DWORD dst_unused:UNUSED_PAD src0_sel:DWORD src1_sel:BYTE_1
	v_cndmask_b32_e32 v44, v46, v44, vcc_lo
	v_and_b32_e32 v41, 7, v41
	v_lshl_add_u32 v44, v44, 23, 0x3b800000
	v_cndmask_b32_e32 v41, v43, v41, vcc_lo
	v_and_b32_e32 v43, 0x80000000, v45
	v_lshlrev_b32_e32 v41, 20, v41
	v_or3_b32 v41, v43, v44, v41
.LBB2_2969:                             ;   in Loop: Header=BB2_2631 Depth=2
	s_or_b32 exec_lo, exec_lo, s29
	v_cmp_gt_i16_sdwa s29, v11, v71 src0_sel:BYTE_1 src1_sel:DWORD
	s_mov_b32 s12, 0
	s_and_saveexec_b32 s40, s29
	s_xor_b32 s29, exec_lo, s40
	s_cbranch_execz .LBB2_3235
; %bb.2970:                             ;   in Loop: Header=BB2_2631 Depth=2
	v_cmp_eq_u16_sdwa s41, v11, v80 src0_sel:BYTE_1 src1_sel:DWORD
	s_mov_b32 s12, -1
	s_and_saveexec_b32 s40, s41
; %bb.2971:                             ;   in Loop: Header=BB2_2631 Depth=2
	s_xor_b32 s12, exec_lo, -1
; %bb.2972:                             ;   in Loop: Header=BB2_2631 Depth=2
	s_or_b32 exec_lo, exec_lo, s40
	s_and_b32 s12, s12, exec_lo
	s_or_saveexec_b32 s29, s29
	v_mov_b32_e32 v43, 0x7f800001
	s_xor_b32 exec_lo, exec_lo, s29
	s_cbranch_execnz .LBB2_3236
.LBB2_2973:                             ;   in Loop: Header=BB2_2631 Depth=2
	s_or_b32 exec_lo, exec_lo, s29
	s_and_saveexec_b32 s29, s12
	s_cbranch_execz .LBB2_2975
.LBB2_2974:                             ;   in Loop: Header=BB2_2631 Depth=2
	v_and_b32_sdwa v43, v81, v11 dst_sel:DWORD dst_unused:UNUSED_PAD src0_sel:DWORD src1_sel:BYTE_1
	v_and_b32_e32 v44, 7, v43
	v_bfe_u32 v47, v43, 3, 4
	v_ffbh_u32_e32 v45, v44
	v_cmp_eq_u32_e32 vcc_lo, 0, v47
	v_min_u32_e32 v45, 32, v45
	v_subrev_nc_u32_e32 v46, 28, v45
	v_sub_nc_u32_e32 v45, 29, v45
	v_lshlrev_b32_e32 v43, v46, v43
	v_lshlrev_b32_sdwa v46, v82, v11 dst_sel:DWORD dst_unused:UNUSED_PAD src0_sel:DWORD src1_sel:BYTE_1
	v_cndmask_b32_e32 v45, v47, v45, vcc_lo
	v_and_b32_e32 v43, 7, v43
	v_lshl_add_u32 v45, v45, 23, 0x3b800000
	v_cndmask_b32_e32 v43, v44, v43, vcc_lo
	v_and_b32_e32 v44, 0x80000000, v46
	v_lshlrev_b32_e32 v43, 20, v43
	v_or3_b32 v43, v44, v45, v43
.LBB2_2975:                             ;   in Loop: Header=BB2_2631 Depth=2
	s_or_b32 exec_lo, exec_lo, s29
	v_add_f32_e32 v43, v41, v43
	v_and_b32_e32 v41, 0x7f800000, v43
	v_cmp_ne_u32_e32 vcc_lo, 0x7f800000, v41
	v_mov_b32_e32 v41, 0x8000
	s_and_saveexec_b32 s29, vcc_lo
	s_cbranch_execz .LBB2_2983
; %bb.2976:                             ;   in Loop: Header=BB2_2631 Depth=2
	v_mov_b32_e32 v41, 0
	s_mov_b32 s40, exec_lo
	v_cmpx_ne_u32_e32 0, v43
	s_cbranch_execz .LBB2_2982
; %bb.2977:                             ;   in Loop: Header=BB2_2631 Depth=2
	v_bfe_u32 v41, v43, 23, 8
	v_and_b32_e32 v44, 0x7fffff, v43
	v_sub_nc_u32_e32 v45, 0x78, v41
	v_cmp_gt_u32_e32 vcc_lo, 0x79, v41
	v_or_b32_e32 v46, 0x800000, v44
	v_cndmask_b32_e32 v45, 0, v45, vcc_lo
	v_cmp_eq_u32_e32 vcc_lo, 0, v41
	v_add_nc_u32_e32 v41, 0xffffff89, v41
	v_cndmask_b32_e64 v45, v45, 0x77, vcc_lo
	v_cndmask_b32_e32 v44, v46, v44, vcc_lo
	v_cndmask_b32_e64 v41, v41, 0xffffff8a, vcc_lo
	v_lshl_add_u32 v46, 0x100000, v45, -1
	v_lshrrev_b32_e32 v47, v45, v44
	v_lshlrev_b32_e64 v57, v45, 0x80000
	v_add_nc_u32_e32 v45, v45, v41
	v_and_b32_e32 v44, v46, v44
	v_bfe_u32 v56, v47, 20, 1
	v_cmp_eq_u32_e64 s12, v44, v57
	v_add_nc_u32_e32 v46, -1, v56
	v_cndmask_b32_e64 v44, 0, v46, s12
	v_lshrrev_b32_e32 v46, 23, v47
	s_mov_b32 s12, exec_lo
	v_add_nc_u32_e32 v44, v44, v47
	v_xor_b32_e32 v46, 1, v46
	v_and_b32_e32 v41, 0xfffff, v44
	v_add_nc_u32_e32 v44, v41, v47
                                        ; implicit-def: $vgpr41
	v_cmpx_ne_u32_e64 v45, v46
	s_xor_b32 s12, exec_lo, s12
; %bb.2978:                             ;   in Loop: Header=BB2_2631 Depth=2
	v_cmp_lt_u32_e32 vcc_lo, 0xffffff, v44
	v_sub_nc_u32_e32 v41, v45, v46
	v_cndmask_b32_e64 v45, 0, 1, vcc_lo
	v_add_co_ci_u32_e64 v41, null, 0, v41, vcc_lo
	v_lshrrev_b32_e32 v44, v45, v44
; %bb.2979:                             ;   in Loop: Header=BB2_2631 Depth=2
	s_andn2_saveexec_b32 s12, s12
; %bb.2980:                             ;   in Loop: Header=BB2_2631 Depth=2
	v_bfe_u32 v41, v44, 23, 1
; %bb.2981:                             ;   in Loop: Header=BB2_2631 Depth=2
	s_or_b32 exec_lo, exec_lo, s12
	v_lshrrev_b32_e32 v44, 20, v44
	v_min_i32_e32 v45, 15, v41
	v_cmp_gt_i32_e32 vcc_lo, 16, v41
	v_and_b32_sdwa v43, v43, v80 dst_sel:DWORD dst_unused:UNUSED_PAD src0_sel:BYTE_3 src1_sel:DWORD
	v_lshlrev_b32_e32 v45, 3, v45
	v_cndmask_b32_e32 v44, 7, v44, vcc_lo
	v_and_b32_e32 v45, 0xf8, v45
	v_and_b32_e32 v46, 7, v44
	v_or_b32_e32 v41, v41, v44
	v_or3_b32 v43, v43, v45, v46
	v_cmp_ne_u32_e32 vcc_lo, 0, v41
	v_lshlrev_b32_e32 v43, 8, v43
	v_cndmask_b32_e32 v41, 0, v43, vcc_lo
.LBB2_2982:                             ;   in Loop: Header=BB2_2631 Depth=2
	s_or_b32 exec_lo, exec_lo, s40
.LBB2_2983:                             ;   in Loop: Header=BB2_2631 Depth=2
	s_or_b32 exec_lo, exec_lo, s29
	v_or_b32_e32 v40, v40, v117
	s_mov_b32 s12, 0
	v_cmp_gt_i16_sdwa s29, v40, v71 src0_sel:BYTE_0 src1_sel:DWORD
	s_and_saveexec_b32 s40, s29
	s_xor_b32 s29, exec_lo, s40
	s_cbranch_execz .LBB2_3237
; %bb.2984:                             ;   in Loop: Header=BB2_2631 Depth=2
	v_cmp_eq_u16_sdwa s41, v40, v80 src0_sel:BYTE_0 src1_sel:DWORD
	s_mov_b32 s12, -1
	s_and_saveexec_b32 s40, s41
; %bb.2985:                             ;   in Loop: Header=BB2_2631 Depth=2
	s_xor_b32 s12, exec_lo, -1
; %bb.2986:                             ;   in Loop: Header=BB2_2631 Depth=2
	s_or_b32 exec_lo, exec_lo, s40
	s_and_b32 s12, s12, exec_lo
	s_or_saveexec_b32 s29, s29
	v_mov_b32_e32 v117, 0x7f800001
	s_xor_b32 exec_lo, exec_lo, s29
	s_cbranch_execnz .LBB2_3238
.LBB2_2987:                             ;   in Loop: Header=BB2_2631 Depth=2
	s_or_b32 exec_lo, exec_lo, s29
	v_lshl_or_b32 v40, v40, 16, v42
	s_and_saveexec_b32 s29, s12
	s_cbranch_execz .LBB2_2989
.LBB2_2988:                             ;   in Loop: Header=BB2_2631 Depth=2
	v_bfe_u32 v117, v40, 16, 3
	v_bfe_u32 v44, v40, 19, 4
	v_lshlrev_b32_e32 v45, 8, v40
	v_ffbh_u32_e32 v42, v117
	v_cmp_eq_u32_e32 vcc_lo, 0, v44
	v_min_u32_e32 v42, 32, v42
	v_subrev_nc_u32_e32 v43, 28, v42
	v_sub_nc_u32_e32 v42, 29, v42
	v_lshlrev_b32_sdwa v43, v43, v40 dst_sel:DWORD dst_unused:UNUSED_PAD src0_sel:DWORD src1_sel:WORD_1
	v_cndmask_b32_e32 v42, v44, v42, vcc_lo
	v_and_b32_e32 v43, 7, v43
	v_lshl_add_u32 v42, v42, 23, 0x3b800000
	v_cndmask_b32_e32 v117, v117, v43, vcc_lo
	v_and_b32_e32 v43, 0x80000000, v45
	v_lshlrev_b32_e32 v117, 20, v117
	v_or3_b32 v117, v43, v42, v117
.LBB2_2989:                             ;   in Loop: Header=BB2_2631 Depth=2
	s_or_b32 exec_lo, exec_lo, s29
	v_and_b32_sdwa v43, v11, v83 dst_sel:DWORD dst_unused:UNUSED_PAD src0_sel:WORD_1 src1_sel:DWORD
	s_mov_b32 s12, 0
	s_mov_b32 s29, exec_lo
	v_cmpx_lt_i16_e32 0x7f, v43
	s_xor_b32 s29, exec_lo, s29
	s_cbranch_execz .LBB2_3239
; %bb.2990:                             ;   in Loop: Header=BB2_2631 Depth=2
	s_mov_b32 s12, -1
	s_mov_b32 s40, exec_lo
	v_cmpx_eq_u16_e32 0x80, v43
; %bb.2991:                             ;   in Loop: Header=BB2_2631 Depth=2
	s_xor_b32 s12, exec_lo, -1
; %bb.2992:                             ;   in Loop: Header=BB2_2631 Depth=2
	s_or_b32 exec_lo, exec_lo, s40
	s_and_b32 s12, s12, exec_lo
                                        ; implicit-def: $vgpr43
	s_or_saveexec_b32 s29, s29
	v_mov_b32_e32 v42, 0x7f800001
	s_xor_b32 exec_lo, exec_lo, s29
	s_cbranch_execnz .LBB2_3240
.LBB2_2993:                             ;   in Loop: Header=BB2_2631 Depth=2
	s_or_b32 exec_lo, exec_lo, s29
	s_and_saveexec_b32 s29, s12
	s_cbranch_execz .LBB2_2995
.LBB2_2994:                             ;   in Loop: Header=BB2_2631 Depth=2
	v_and_b32_sdwa v42, v11, v84 dst_sel:DWORD dst_unused:UNUSED_PAD src0_sel:WORD_1 src1_sel:DWORD
	v_bfe_u32 v45, v11, 19, 4
	v_lshlrev_b32_sdwa v46, v82, v11 dst_sel:DWORD dst_unused:UNUSED_PAD src0_sel:DWORD src1_sel:WORD_1
	v_ffbh_u32_e32 v43, v42
	v_cmp_eq_u32_e32 vcc_lo, 0, v45
	v_min_u32_e32 v43, 32, v43
	v_subrev_nc_u32_e32 v44, 28, v43
	v_sub_nc_u32_e32 v43, 29, v43
	v_lshlrev_b32_sdwa v44, v44, v11 dst_sel:DWORD dst_unused:UNUSED_PAD src0_sel:DWORD src1_sel:WORD_1
	v_cndmask_b32_e32 v43, v45, v43, vcc_lo
	v_and_b32_e32 v44, 7, v44
	v_lshl_add_u32 v43, v43, 23, 0x3b800000
	v_cndmask_b32_e32 v42, v42, v44, vcc_lo
	v_and_b32_e32 v44, 0x80000000, v46
	v_lshlrev_b32_e32 v42, 20, v42
	v_or3_b32 v42, v44, v43, v42
.LBB2_2995:                             ;   in Loop: Header=BB2_2631 Depth=2
	s_or_b32 exec_lo, exec_lo, s29
	v_add_f32_e32 v42, v117, v42
	v_and_b32_e32 v117, 0x7f800000, v42
	v_cmp_ne_u32_e32 vcc_lo, 0x7f800000, v117
	v_mov_b32_e32 v117, 0x80
	s_and_saveexec_b32 s29, vcc_lo
	s_cbranch_execz .LBB2_3003
; %bb.2996:                             ;   in Loop: Header=BB2_2631 Depth=2
	v_mov_b32_e32 v117, 0
	s_mov_b32 s40, exec_lo
	v_cmpx_ne_u32_e32 0, v42
	s_cbranch_execz .LBB2_3002
; %bb.2997:                             ;   in Loop: Header=BB2_2631 Depth=2
	v_bfe_u32 v117, v42, 23, 8
	v_and_b32_e32 v43, 0x7fffff, v42
	v_sub_nc_u32_e32 v44, 0x78, v117
	v_cmp_gt_u32_e32 vcc_lo, 0x79, v117
	v_or_b32_e32 v45, 0x800000, v43
	v_cndmask_b32_e32 v44, 0, v44, vcc_lo
	v_cmp_eq_u32_e32 vcc_lo, 0, v117
	v_add_nc_u32_e32 v117, 0xffffff89, v117
	v_cndmask_b32_e64 v44, v44, 0x77, vcc_lo
	v_cndmask_b32_e32 v43, v45, v43, vcc_lo
	v_cndmask_b32_e64 v117, v117, 0xffffff8a, vcc_lo
	v_lshl_add_u32 v45, 0x100000, v44, -1
	v_lshrrev_b32_e32 v46, v44, v43
	v_lshlrev_b32_e64 v56, v44, 0x80000
	v_add_nc_u32_e32 v44, v44, v117
	v_and_b32_e32 v43, v45, v43
	v_bfe_u32 v47, v46, 20, 1
	v_cmp_eq_u32_e64 s12, v43, v56
	v_add_nc_u32_e32 v45, -1, v47
	v_cndmask_b32_e64 v43, 0, v45, s12
	v_lshrrev_b32_e32 v45, 23, v46
	s_mov_b32 s12, exec_lo
	v_add_nc_u32_e32 v43, v43, v46
	v_xor_b32_e32 v45, 1, v45
	v_and_b32_e32 v117, 0xfffff, v43
	v_add_nc_u32_e32 v43, v117, v46
                                        ; implicit-def: $vgpr117
	v_cmpx_ne_u32_e64 v44, v45
	s_xor_b32 s12, exec_lo, s12
; %bb.2998:                             ;   in Loop: Header=BB2_2631 Depth=2
	v_cmp_lt_u32_e32 vcc_lo, 0xffffff, v43
	v_sub_nc_u32_e32 v117, v44, v45
	v_cndmask_b32_e64 v44, 0, 1, vcc_lo
	v_add_co_ci_u32_e64 v117, null, 0, v117, vcc_lo
	v_lshrrev_b32_e32 v43, v44, v43
; %bb.2999:                             ;   in Loop: Header=BB2_2631 Depth=2
	s_andn2_saveexec_b32 s12, s12
; %bb.3000:                             ;   in Loop: Header=BB2_2631 Depth=2
	v_bfe_u32 v117, v43, 23, 1
; %bb.3001:                             ;   in Loop: Header=BB2_2631 Depth=2
	s_or_b32 exec_lo, exec_lo, s12
	v_lshrrev_b32_e32 v43, 20, v43
	v_min_i32_e32 v44, 15, v117
	v_cmp_gt_i32_e32 vcc_lo, 16, v117
	v_and_b32_sdwa v42, v42, v80 dst_sel:DWORD dst_unused:UNUSED_PAD src0_sel:BYTE_3 src1_sel:DWORD
	v_lshlrev_b32_e32 v44, 3, v44
	v_cndmask_b32_e32 v43, 7, v43, vcc_lo
	v_and_b32_e32 v44, 0xf8, v44
	v_and_b32_e32 v45, 7, v43
	v_or_b32_e32 v117, v117, v43
	v_or3_b32 v42, v44, v42, v45
	v_cmp_ne_u32_e32 vcc_lo, 0, v117
	v_cndmask_b32_e32 v117, 0, v42, vcc_lo
.LBB2_3002:                             ;   in Loop: Header=BB2_2631 Depth=2
	s_or_b32 exec_lo, exec_lo, s40
.LBB2_3003:                             ;   in Loop: Header=BB2_2631 Depth=2
	s_or_b32 exec_lo, exec_lo, s29
	v_cmp_gt_i16_sdwa s29, v40, v71 src0_sel:BYTE_3 src1_sel:DWORD
	s_mov_b32 s12, 0
	s_and_saveexec_b32 s40, s29
	s_xor_b32 s29, exec_lo, s40
	s_cbranch_execz .LBB2_3241
; %bb.3004:                             ;   in Loop: Header=BB2_2631 Depth=2
	v_cmp_eq_u16_sdwa s41, v40, v80 src0_sel:BYTE_3 src1_sel:DWORD
	s_mov_b32 s12, -1
	s_and_saveexec_b32 s40, s41
; %bb.3005:                             ;   in Loop: Header=BB2_2631 Depth=2
	s_xor_b32 s12, exec_lo, -1
; %bb.3006:                             ;   in Loop: Header=BB2_2631 Depth=2
	s_or_b32 exec_lo, exec_lo, s40
	s_and_b32 s12, s12, exec_lo
	s_or_saveexec_b32 s29, s29
	v_mov_b32_e32 v42, 0x7f800001
	s_xor_b32 exec_lo, exec_lo, s29
	s_cbranch_execnz .LBB2_3242
.LBB2_3007:                             ;   in Loop: Header=BB2_2631 Depth=2
	s_or_b32 exec_lo, exec_lo, s29
	s_and_saveexec_b32 s29, s12
	s_cbranch_execz .LBB2_3009
.LBB2_3008:                             ;   in Loop: Header=BB2_2631 Depth=2
	v_bfe_u32 v42, v40, 24, 3
	v_bfe_u32 v45, v40, 27, 4
	v_ffbh_u32_e32 v43, v42
	v_cmp_eq_u32_e32 vcc_lo, 0, v45
	v_min_u32_e32 v43, 32, v43
	v_subrev_nc_u32_e32 v44, 28, v43
	v_sub_nc_u32_e32 v43, 29, v43
	v_lshlrev_b32_sdwa v44, v44, v40 dst_sel:DWORD dst_unused:UNUSED_PAD src0_sel:DWORD src1_sel:BYTE_3
	v_cndmask_b32_e32 v43, v45, v43, vcc_lo
	v_and_b32_e32 v40, 0x80000000, v40
	v_and_b32_e32 v44, 7, v44
	v_lshl_add_u32 v43, v43, 23, 0x3b800000
	v_cndmask_b32_e32 v42, v42, v44, vcc_lo
	v_lshlrev_b32_e32 v42, 20, v42
	v_or3_b32 v42, v40, v43, v42
.LBB2_3009:                             ;   in Loop: Header=BB2_2631 Depth=2
	s_or_b32 exec_lo, exec_lo, s29
	v_cmp_gt_i16_sdwa s29, v11, v71 src0_sel:BYTE_3 src1_sel:DWORD
	s_mov_b32 s12, 0
	s_and_saveexec_b32 s40, s29
	s_xor_b32 s29, exec_lo, s40
	s_cbranch_execz .LBB2_3243
; %bb.3010:                             ;   in Loop: Header=BB2_2631 Depth=2
	v_cmp_eq_u16_sdwa s41, v11, v80 src0_sel:BYTE_3 src1_sel:DWORD
	s_mov_b32 s12, -1
	s_and_saveexec_b32 s40, s41
; %bb.3011:                             ;   in Loop: Header=BB2_2631 Depth=2
	s_xor_b32 s12, exec_lo, -1
; %bb.3012:                             ;   in Loop: Header=BB2_2631 Depth=2
	s_or_b32 exec_lo, exec_lo, s40
	s_and_b32 s12, s12, exec_lo
	s_or_saveexec_b32 s29, s29
	v_mov_b32_e32 v40, 0x7f800001
	s_xor_b32 exec_lo, exec_lo, s29
	s_cbranch_execnz .LBB2_3244
.LBB2_3013:                             ;   in Loop: Header=BB2_2631 Depth=2
	s_or_b32 exec_lo, exec_lo, s29
	s_and_saveexec_b32 s29, s12
	s_cbranch_execz .LBB2_3015
.LBB2_3014:                             ;   in Loop: Header=BB2_2631 Depth=2
	v_and_b32_sdwa v40, v11, v84 dst_sel:DWORD dst_unused:UNUSED_PAD src0_sel:BYTE_3 src1_sel:DWORD
	v_bfe_u32 v45, v11, 27, 4
	v_ffbh_u32_e32 v43, v40
	v_cmp_eq_u32_e32 vcc_lo, 0, v45
	v_min_u32_e32 v43, 32, v43
	v_subrev_nc_u32_e32 v44, 28, v43
	v_sub_nc_u32_e32 v43, 29, v43
	v_lshlrev_b32_sdwa v44, v44, v11 dst_sel:DWORD dst_unused:UNUSED_PAD src0_sel:DWORD src1_sel:BYTE_3
	v_cndmask_b32_e32 v43, v45, v43, vcc_lo
	v_and_b32_e32 v11, 0x80000000, v11
	v_and_b32_e32 v44, 7, v44
	v_lshl_add_u32 v43, v43, 23, 0x3b800000
	v_cndmask_b32_e32 v40, v40, v44, vcc_lo
	v_lshlrev_b32_e32 v40, 20, v40
	v_or3_b32 v40, v11, v43, v40
.LBB2_3015:                             ;   in Loop: Header=BB2_2631 Depth=2
	s_or_b32 exec_lo, exec_lo, s29
	v_add_f32_e32 v40, v42, v40
	v_and_b32_e32 v11, 0x7f800000, v40
	v_cmp_ne_u32_e32 vcc_lo, 0x7f800000, v11
	v_mov_b32_e32 v11, 0x8000
	s_and_saveexec_b32 s29, vcc_lo
	s_cbranch_execz .LBB2_3023
; %bb.3016:                             ;   in Loop: Header=BB2_2631 Depth=2
	v_mov_b32_e32 v11, 0
	s_mov_b32 s40, exec_lo
	v_cmpx_ne_u32_e32 0, v40
	s_cbranch_execz .LBB2_3022
; %bb.3017:                             ;   in Loop: Header=BB2_2631 Depth=2
	v_bfe_u32 v11, v40, 23, 8
	v_and_b32_e32 v42, 0x7fffff, v40
	v_sub_nc_u32_e32 v43, 0x78, v11
	v_cmp_gt_u32_e32 vcc_lo, 0x79, v11
	v_or_b32_e32 v44, 0x800000, v42
	v_cndmask_b32_e32 v43, 0, v43, vcc_lo
	v_cmp_eq_u32_e32 vcc_lo, 0, v11
	v_add_nc_u32_e32 v11, 0xffffff89, v11
	v_cndmask_b32_e64 v43, v43, 0x77, vcc_lo
	v_cndmask_b32_e32 v42, v44, v42, vcc_lo
	v_cndmask_b32_e64 v11, v11, 0xffffff8a, vcc_lo
	v_lshl_add_u32 v44, 0x100000, v43, -1
	v_lshrrev_b32_e32 v45, v43, v42
	v_lshlrev_b32_e64 v47, v43, 0x80000
	v_add_nc_u32_e32 v43, v43, v11
	v_and_b32_e32 v42, v44, v42
	v_bfe_u32 v46, v45, 20, 1
	v_cmp_eq_u32_e64 s12, v42, v47
	v_add_nc_u32_e32 v44, -1, v46
	v_cndmask_b32_e64 v42, 0, v44, s12
	v_lshrrev_b32_e32 v44, 23, v45
	s_mov_b32 s12, exec_lo
	v_add_nc_u32_e32 v42, v42, v45
	v_xor_b32_e32 v44, 1, v44
	v_and_b32_e32 v11, 0xfffff, v42
	v_add_nc_u32_e32 v42, v11, v45
                                        ; implicit-def: $vgpr11
	v_cmpx_ne_u32_e64 v43, v44
	s_xor_b32 s12, exec_lo, s12
; %bb.3018:                             ;   in Loop: Header=BB2_2631 Depth=2
	v_cmp_lt_u32_e32 vcc_lo, 0xffffff, v42
	v_sub_nc_u32_e32 v11, v43, v44
	v_cndmask_b32_e64 v43, 0, 1, vcc_lo
	v_add_co_ci_u32_e64 v11, null, 0, v11, vcc_lo
	v_lshrrev_b32_e32 v42, v43, v42
; %bb.3019:                             ;   in Loop: Header=BB2_2631 Depth=2
	s_andn2_saveexec_b32 s12, s12
; %bb.3020:                             ;   in Loop: Header=BB2_2631 Depth=2
	v_bfe_u32 v11, v42, 23, 1
; %bb.3021:                             ;   in Loop: Header=BB2_2631 Depth=2
	s_or_b32 exec_lo, exec_lo, s12
	v_lshrrev_b32_e32 v42, 20, v42
	v_min_i32_e32 v43, 15, v11
	v_cmp_gt_i32_e32 vcc_lo, 16, v11
	v_and_b32_sdwa v40, v40, v80 dst_sel:DWORD dst_unused:UNUSED_PAD src0_sel:BYTE_3 src1_sel:DWORD
	v_lshlrev_b32_e32 v43, 3, v43
	v_cndmask_b32_e32 v42, 7, v42, vcc_lo
	v_and_b32_e32 v43, 0xf8, v43
	v_and_b32_e32 v44, 7, v42
	v_or_b32_e32 v11, v11, v42
	v_or3_b32 v40, v40, v43, v44
	v_cmp_ne_u32_e32 vcc_lo, 0, v11
	v_lshlrev_b32_e32 v40, 8, v40
	v_cndmask_b32_e32 v11, 0, v40, vcc_lo
.LBB2_3022:                             ;   in Loop: Header=BB2_2631 Depth=2
	s_or_b32 exec_lo, exec_lo, s40
.LBB2_3023:                             ;   in Loop: Header=BB2_2631 Depth=2
	s_or_b32 exec_lo, exec_lo, s29
	v_or_b32_e32 v40, v118, v114
	s_mov_b32 s12, 0
	v_cmp_gt_i16_sdwa s29, v40, v71 src0_sel:BYTE_0 src1_sel:DWORD
	s_and_saveexec_b32 s40, s29
	s_xor_b32 s29, exec_lo, s40
	s_cbranch_execz .LBB2_3245
; %bb.3024:                             ;   in Loop: Header=BB2_2631 Depth=2
	v_cmp_eq_u16_sdwa s41, v40, v80 src0_sel:BYTE_0 src1_sel:DWORD
	s_mov_b32 s12, -1
	s_and_saveexec_b32 s40, s41
; %bb.3025:                             ;   in Loop: Header=BB2_2631 Depth=2
	s_xor_b32 s12, exec_lo, -1
; %bb.3026:                             ;   in Loop: Header=BB2_2631 Depth=2
	s_or_b32 exec_lo, exec_lo, s40
	s_and_b32 s12, s12, exec_lo
	s_or_saveexec_b32 s29, s29
	v_mov_b32_e32 v114, 0x7f800001
	s_xor_b32 exec_lo, exec_lo, s29
	s_cbranch_execnz .LBB2_3246
.LBB2_3027:                             ;   in Loop: Header=BB2_2631 Depth=2
	s_or_b32 exec_lo, exec_lo, s29
	s_and_saveexec_b32 s29, s12
	s_cbranch_execz .LBB2_3029
.LBB2_3028:                             ;   in Loop: Header=BB2_2631 Depth=2
	v_and_b32_e32 v114, 7, v40
	v_bfe_u32 v43, v40, 3, 4
	v_lshlrev_b32_e32 v44, 24, v40
	v_ffbh_u32_e32 v118, v114
	v_cmp_eq_u32_e32 vcc_lo, 0, v43
	v_min_u32_e32 v118, 32, v118
	v_subrev_nc_u32_e32 v42, 28, v118
	v_sub_nc_u32_e32 v118, 29, v118
	v_lshlrev_b32_e32 v42, v42, v40
	v_cndmask_b32_e32 v118, v43, v118, vcc_lo
	v_and_b32_e32 v42, 7, v42
	v_lshl_add_u32 v118, v118, 23, 0x3b800000
	v_cndmask_b32_e32 v114, v114, v42, vcc_lo
	v_and_b32_e32 v42, 0x80000000, v44
	v_lshlrev_b32_e32 v114, 20, v114
	v_or3_b32 v114, v42, v118, v114
.LBB2_3029:                             ;   in Loop: Header=BB2_2631 Depth=2
	s_or_b32 exec_lo, exec_lo, s29
	v_cmp_gt_i16_sdwa s29, v12, v71 src0_sel:BYTE_0 src1_sel:DWORD
	s_mov_b32 s12, 0
	s_and_saveexec_b32 s40, s29
	s_xor_b32 s29, exec_lo, s40
	s_cbranch_execz .LBB2_3247
; %bb.3030:                             ;   in Loop: Header=BB2_2631 Depth=2
	v_cmp_eq_u16_sdwa s41, v12, v80 src0_sel:BYTE_0 src1_sel:DWORD
	s_mov_b32 s12, -1
	s_and_saveexec_b32 s40, s41
; %bb.3031:                             ;   in Loop: Header=BB2_2631 Depth=2
	s_xor_b32 s12, exec_lo, -1
; %bb.3032:                             ;   in Loop: Header=BB2_2631 Depth=2
	s_or_b32 exec_lo, exec_lo, s40
	s_and_b32 s12, s12, exec_lo
	s_or_saveexec_b32 s29, s29
	v_mov_b32_e32 v118, 0x7f800001
	s_xor_b32 exec_lo, exec_lo, s29
	s_cbranch_execnz .LBB2_3248
.LBB2_3033:                             ;   in Loop: Header=BB2_2631 Depth=2
	s_or_b32 exec_lo, exec_lo, s29
	s_and_saveexec_b32 s29, s12
	s_cbranch_execz .LBB2_3035
.LBB2_3034:                             ;   in Loop: Header=BB2_2631 Depth=2
	v_and_b32_e32 v118, 7, v12
	v_bfe_u32 v44, v12, 3, 4
	v_lshlrev_b32_e32 v45, 24, v12
	v_ffbh_u32_e32 v42, v118
	v_cmp_eq_u32_e32 vcc_lo, 0, v44
	v_min_u32_e32 v42, 32, v42
	v_subrev_nc_u32_e32 v43, 28, v42
	v_sub_nc_u32_e32 v42, 29, v42
	v_lshlrev_b32_e32 v43, v43, v12
	v_cndmask_b32_e32 v42, v44, v42, vcc_lo
	v_and_b32_e32 v43, 7, v43
	v_lshl_add_u32 v42, v42, 23, 0x3b800000
	v_cndmask_b32_e32 v118, v118, v43, vcc_lo
	v_and_b32_e32 v43, 0x80000000, v45
	v_lshlrev_b32_e32 v118, 20, v118
	v_or3_b32 v118, v43, v42, v118
.LBB2_3035:                             ;   in Loop: Header=BB2_2631 Depth=2
	s_or_b32 exec_lo, exec_lo, s29
	v_add_f32_e32 v118, v114, v118
	v_and_b32_e32 v114, 0x7f800000, v118
	v_cmp_ne_u32_e32 vcc_lo, 0x7f800000, v114
	v_mov_b32_e32 v114, 0x80
	s_and_saveexec_b32 s29, vcc_lo
	s_cbranch_execz .LBB2_3043
; %bb.3036:                             ;   in Loop: Header=BB2_2631 Depth=2
	v_mov_b32_e32 v114, 0
	s_mov_b32 s40, exec_lo
	v_cmpx_ne_u32_e32 0, v118
	s_cbranch_execz .LBB2_3042
; %bb.3037:                             ;   in Loop: Header=BB2_2631 Depth=2
	v_bfe_u32 v114, v118, 23, 8
	v_and_b32_e32 v42, 0x7fffff, v118
	v_sub_nc_u32_e32 v43, 0x78, v114
	v_cmp_gt_u32_e32 vcc_lo, 0x79, v114
	v_or_b32_e32 v44, 0x800000, v42
	v_cndmask_b32_e32 v43, 0, v43, vcc_lo
	v_cmp_eq_u32_e32 vcc_lo, 0, v114
	v_add_nc_u32_e32 v114, 0xffffff89, v114
	v_cndmask_b32_e64 v43, v43, 0x77, vcc_lo
	v_cndmask_b32_e32 v42, v44, v42, vcc_lo
	v_cndmask_b32_e64 v114, v114, 0xffffff8a, vcc_lo
	v_lshl_add_u32 v44, 0x100000, v43, -1
	v_lshrrev_b32_e32 v45, v43, v42
	v_lshlrev_b32_e64 v47, v43, 0x80000
	v_add_nc_u32_e32 v43, v43, v114
	v_and_b32_e32 v42, v44, v42
	v_bfe_u32 v46, v45, 20, 1
	v_cmp_eq_u32_e64 s12, v42, v47
	v_add_nc_u32_e32 v44, -1, v46
	v_cndmask_b32_e64 v42, 0, v44, s12
	v_lshrrev_b32_e32 v44, 23, v45
	s_mov_b32 s12, exec_lo
	v_add_nc_u32_e32 v42, v42, v45
	v_xor_b32_e32 v44, 1, v44
	v_and_b32_e32 v114, 0xfffff, v42
	v_add_nc_u32_e32 v42, v114, v45
                                        ; implicit-def: $vgpr114
	v_cmpx_ne_u32_e64 v43, v44
	s_xor_b32 s12, exec_lo, s12
; %bb.3038:                             ;   in Loop: Header=BB2_2631 Depth=2
	v_cmp_lt_u32_e32 vcc_lo, 0xffffff, v42
	v_sub_nc_u32_e32 v114, v43, v44
	v_cndmask_b32_e64 v43, 0, 1, vcc_lo
	v_add_co_ci_u32_e64 v114, null, 0, v114, vcc_lo
	v_lshrrev_b32_e32 v42, v43, v42
; %bb.3039:                             ;   in Loop: Header=BB2_2631 Depth=2
	s_andn2_saveexec_b32 s12, s12
; %bb.3040:                             ;   in Loop: Header=BB2_2631 Depth=2
	v_bfe_u32 v114, v42, 23, 1
; %bb.3041:                             ;   in Loop: Header=BB2_2631 Depth=2
	s_or_b32 exec_lo, exec_lo, s12
	v_lshrrev_b32_e32 v42, 20, v42
	v_min_i32_e32 v43, 15, v114
	v_cmp_gt_i32_e32 vcc_lo, 16, v114
	v_and_b32_sdwa v118, v118, v80 dst_sel:DWORD dst_unused:UNUSED_PAD src0_sel:BYTE_3 src1_sel:DWORD
	v_lshlrev_b32_e32 v43, 3, v43
	v_cndmask_b32_e32 v42, 7, v42, vcc_lo
	v_and_b32_e32 v43, 0xf8, v43
	v_and_b32_e32 v44, 7, v42
	v_or_b32_e32 v114, v114, v42
	v_or3_b32 v118, v43, v118, v44
	v_cmp_ne_u32_e32 vcc_lo, 0, v114
	v_cndmask_b32_e32 v114, 0, v118, vcc_lo
.LBB2_3042:                             ;   in Loop: Header=BB2_2631 Depth=2
	s_or_b32 exec_lo, exec_lo, s40
.LBB2_3043:                             ;   in Loop: Header=BB2_2631 Depth=2
	s_or_b32 exec_lo, exec_lo, s29
	v_cmp_gt_i16_sdwa s29, v40, v71 src0_sel:BYTE_1 src1_sel:DWORD
	s_mov_b32 s12, 0
	s_and_saveexec_b32 s40, s29
	s_xor_b32 s29, exec_lo, s40
	s_cbranch_execz .LBB2_3249
; %bb.3044:                             ;   in Loop: Header=BB2_2631 Depth=2
	v_cmp_eq_u16_sdwa s41, v40, v80 src0_sel:BYTE_1 src1_sel:DWORD
	s_mov_b32 s12, -1
	s_and_saveexec_b32 s40, s41
; %bb.3045:                             ;   in Loop: Header=BB2_2631 Depth=2
	s_xor_b32 s12, exec_lo, -1
; %bb.3046:                             ;   in Loop: Header=BB2_2631 Depth=2
	s_or_b32 exec_lo, exec_lo, s40
	s_and_b32 s12, s12, exec_lo
	s_or_saveexec_b32 s29, s29
	v_mov_b32_e32 v118, 0x7f800001
	s_xor_b32 exec_lo, exec_lo, s29
	s_cbranch_execnz .LBB2_3250
.LBB2_3047:                             ;   in Loop: Header=BB2_2631 Depth=2
	s_or_b32 exec_lo, exec_lo, s29
	s_and_saveexec_b32 s29, s12
	s_cbranch_execz .LBB2_3049
.LBB2_3048:                             ;   in Loop: Header=BB2_2631 Depth=2
	v_and_b32_sdwa v118, v81, v40 dst_sel:DWORD dst_unused:UNUSED_PAD src0_sel:DWORD src1_sel:BYTE_1
	v_and_b32_e32 v42, 7, v118
	v_bfe_u32 v45, v118, 3, 4
	v_ffbh_u32_e32 v43, v42
	v_cmp_eq_u32_e32 vcc_lo, 0, v45
	v_min_u32_e32 v43, 32, v43
	v_subrev_nc_u32_e32 v44, 28, v43
	v_sub_nc_u32_e32 v43, 29, v43
	v_lshlrev_b32_e32 v118, v44, v118
	v_lshlrev_b32_sdwa v44, v82, v40 dst_sel:DWORD dst_unused:UNUSED_PAD src0_sel:DWORD src1_sel:BYTE_1
	v_cndmask_b32_e32 v43, v45, v43, vcc_lo
	v_and_b32_e32 v118, 7, v118
	v_lshl_add_u32 v43, v43, 23, 0x3b800000
	v_cndmask_b32_e32 v118, v42, v118, vcc_lo
	v_and_b32_e32 v42, 0x80000000, v44
	v_lshlrev_b32_e32 v118, 20, v118
	v_or3_b32 v118, v42, v43, v118
.LBB2_3049:                             ;   in Loop: Header=BB2_2631 Depth=2
	s_or_b32 exec_lo, exec_lo, s29
	v_cmp_gt_i16_sdwa s29, v12, v71 src0_sel:BYTE_1 src1_sel:DWORD
	s_mov_b32 s12, 0
	s_and_saveexec_b32 s40, s29
	s_xor_b32 s29, exec_lo, s40
	s_cbranch_execz .LBB2_3251
; %bb.3050:                             ;   in Loop: Header=BB2_2631 Depth=2
	v_cmp_eq_u16_sdwa s41, v12, v80 src0_sel:BYTE_1 src1_sel:DWORD
	s_mov_b32 s12, -1
	s_and_saveexec_b32 s40, s41
; %bb.3051:                             ;   in Loop: Header=BB2_2631 Depth=2
	s_xor_b32 s12, exec_lo, -1
; %bb.3052:                             ;   in Loop: Header=BB2_2631 Depth=2
	s_or_b32 exec_lo, exec_lo, s40
	s_and_b32 s12, s12, exec_lo
	s_or_saveexec_b32 s29, s29
	v_mov_b32_e32 v42, 0x7f800001
	s_xor_b32 exec_lo, exec_lo, s29
	s_cbranch_execnz .LBB2_3252
.LBB2_3053:                             ;   in Loop: Header=BB2_2631 Depth=2
	s_or_b32 exec_lo, exec_lo, s29
	s_and_saveexec_b32 s29, s12
	s_cbranch_execz .LBB2_3055
.LBB2_3054:                             ;   in Loop: Header=BB2_2631 Depth=2
	v_and_b32_sdwa v42, v81, v12 dst_sel:DWORD dst_unused:UNUSED_PAD src0_sel:DWORD src1_sel:BYTE_1
	v_and_b32_e32 v43, 7, v42
	v_bfe_u32 v46, v42, 3, 4
	v_ffbh_u32_e32 v44, v43
	v_cmp_eq_u32_e32 vcc_lo, 0, v46
	v_min_u32_e32 v44, 32, v44
	v_subrev_nc_u32_e32 v45, 28, v44
	v_sub_nc_u32_e32 v44, 29, v44
	v_lshlrev_b32_e32 v42, v45, v42
	v_lshlrev_b32_sdwa v45, v82, v12 dst_sel:DWORD dst_unused:UNUSED_PAD src0_sel:DWORD src1_sel:BYTE_1
	v_cndmask_b32_e32 v44, v46, v44, vcc_lo
	v_and_b32_e32 v42, 7, v42
	v_lshl_add_u32 v44, v44, 23, 0x3b800000
	v_cndmask_b32_e32 v42, v43, v42, vcc_lo
	v_and_b32_e32 v43, 0x80000000, v45
	v_lshlrev_b32_e32 v42, 20, v42
	v_or3_b32 v42, v43, v44, v42
.LBB2_3055:                             ;   in Loop: Header=BB2_2631 Depth=2
	s_or_b32 exec_lo, exec_lo, s29
	v_add_f32_e32 v42, v118, v42
	v_and_b32_e32 v118, 0x7f800000, v42
	v_cmp_ne_u32_e32 vcc_lo, 0x7f800000, v118
	v_mov_b32_e32 v118, 0x8000
	s_and_saveexec_b32 s29, vcc_lo
	s_cbranch_execz .LBB2_3063
; %bb.3056:                             ;   in Loop: Header=BB2_2631 Depth=2
	v_mov_b32_e32 v118, 0
	s_mov_b32 s40, exec_lo
	v_cmpx_ne_u32_e32 0, v42
	s_cbranch_execz .LBB2_3062
; %bb.3057:                             ;   in Loop: Header=BB2_2631 Depth=2
	v_bfe_u32 v118, v42, 23, 8
	v_and_b32_e32 v43, 0x7fffff, v42
	v_sub_nc_u32_e32 v44, 0x78, v118
	v_cmp_gt_u32_e32 vcc_lo, 0x79, v118
	v_or_b32_e32 v45, 0x800000, v43
	v_cndmask_b32_e32 v44, 0, v44, vcc_lo
	v_cmp_eq_u32_e32 vcc_lo, 0, v118
	v_add_nc_u32_e32 v118, 0xffffff89, v118
	v_cndmask_b32_e64 v44, v44, 0x77, vcc_lo
	v_cndmask_b32_e32 v43, v45, v43, vcc_lo
	v_cndmask_b32_e64 v118, v118, 0xffffff8a, vcc_lo
	v_lshl_add_u32 v45, 0x100000, v44, -1
	v_lshrrev_b32_e32 v46, v44, v43
	v_lshlrev_b32_e64 v56, v44, 0x80000
	v_add_nc_u32_e32 v44, v44, v118
	v_and_b32_e32 v43, v45, v43
	v_bfe_u32 v47, v46, 20, 1
	v_cmp_eq_u32_e64 s12, v43, v56
	v_add_nc_u32_e32 v45, -1, v47
	v_cndmask_b32_e64 v43, 0, v45, s12
	v_lshrrev_b32_e32 v45, 23, v46
	s_mov_b32 s12, exec_lo
	v_add_nc_u32_e32 v43, v43, v46
	v_xor_b32_e32 v45, 1, v45
	v_and_b32_e32 v118, 0xfffff, v43
	v_add_nc_u32_e32 v43, v118, v46
                                        ; implicit-def: $vgpr118
	v_cmpx_ne_u32_e64 v44, v45
	s_xor_b32 s12, exec_lo, s12
; %bb.3058:                             ;   in Loop: Header=BB2_2631 Depth=2
	v_cmp_lt_u32_e32 vcc_lo, 0xffffff, v43
	v_sub_nc_u32_e32 v118, v44, v45
	v_cndmask_b32_e64 v44, 0, 1, vcc_lo
	v_add_co_ci_u32_e64 v118, null, 0, v118, vcc_lo
	v_lshrrev_b32_e32 v43, v44, v43
; %bb.3059:                             ;   in Loop: Header=BB2_2631 Depth=2
	s_andn2_saveexec_b32 s12, s12
; %bb.3060:                             ;   in Loop: Header=BB2_2631 Depth=2
	v_bfe_u32 v118, v43, 23, 1
; %bb.3061:                             ;   in Loop: Header=BB2_2631 Depth=2
	s_or_b32 exec_lo, exec_lo, s12
	v_lshrrev_b32_e32 v43, 20, v43
	v_min_i32_e32 v44, 15, v118
	v_cmp_gt_i32_e32 vcc_lo, 16, v118
	v_and_b32_sdwa v42, v42, v80 dst_sel:DWORD dst_unused:UNUSED_PAD src0_sel:BYTE_3 src1_sel:DWORD
	v_lshlrev_b32_e32 v44, 3, v44
	v_cndmask_b32_e32 v43, 7, v43, vcc_lo
	v_and_b32_e32 v44, 0xf8, v44
	v_and_b32_e32 v45, 7, v43
	v_or_b32_e32 v118, v118, v43
	v_or3_b32 v42, v42, v44, v45
	v_cmp_ne_u32_e32 vcc_lo, 0, v118
	v_lshlrev_b32_e32 v42, 8, v42
	v_cndmask_b32_e32 v118, 0, v42, vcc_lo
.LBB2_3062:                             ;   in Loop: Header=BB2_2631 Depth=2
	s_or_b32 exec_lo, exec_lo, s40
.LBB2_3063:                             ;   in Loop: Header=BB2_2631 Depth=2
	s_or_b32 exec_lo, exec_lo, s29
	v_or_b32_e32 v116, v116, v112
	s_mov_b32 s12, 0
	v_cmp_gt_i16_sdwa s29, v116, v71 src0_sel:BYTE_0 src1_sel:DWORD
	s_and_saveexec_b32 s40, s29
	s_xor_b32 s29, exec_lo, s40
	s_cbranch_execz .LBB2_3253
; %bb.3064:                             ;   in Loop: Header=BB2_2631 Depth=2
	v_cmp_eq_u16_sdwa s41, v116, v80 src0_sel:BYTE_0 src1_sel:DWORD
	s_mov_b32 s12, -1
	s_and_saveexec_b32 s40, s41
; %bb.3065:                             ;   in Loop: Header=BB2_2631 Depth=2
	s_xor_b32 s12, exec_lo, -1
; %bb.3066:                             ;   in Loop: Header=BB2_2631 Depth=2
	s_or_b32 exec_lo, exec_lo, s40
	s_and_b32 s12, s12, exec_lo
	s_or_saveexec_b32 s29, s29
	v_mov_b32_e32 v112, 0x7f800001
	s_xor_b32 exec_lo, exec_lo, s29
	s_cbranch_execnz .LBB2_3254
.LBB2_3067:                             ;   in Loop: Header=BB2_2631 Depth=2
	s_or_b32 exec_lo, exec_lo, s29
	v_lshl_or_b32 v116, v116, 16, v40
	s_and_saveexec_b32 s29, s12
	s_cbranch_execz .LBB2_3069
.LBB2_3068:                             ;   in Loop: Header=BB2_2631 Depth=2
	v_bfe_u32 v112, v116, 16, 3
	v_bfe_u32 v43, v116, 19, 4
	v_lshlrev_b32_e32 v44, 8, v116
	v_ffbh_u32_e32 v40, v112
	v_cmp_eq_u32_e32 vcc_lo, 0, v43
	v_min_u32_e32 v40, 32, v40
	v_subrev_nc_u32_e32 v42, 28, v40
	v_sub_nc_u32_e32 v40, 29, v40
	v_lshlrev_b32_sdwa v42, v42, v116 dst_sel:DWORD dst_unused:UNUSED_PAD src0_sel:DWORD src1_sel:WORD_1
	v_cndmask_b32_e32 v40, v43, v40, vcc_lo
	v_and_b32_e32 v42, 7, v42
	v_lshl_add_u32 v40, v40, 23, 0x3b800000
	v_cndmask_b32_e32 v112, v112, v42, vcc_lo
	v_and_b32_e32 v42, 0x80000000, v44
	v_lshlrev_b32_e32 v112, 20, v112
	v_or3_b32 v112, v42, v40, v112
.LBB2_3069:                             ;   in Loop: Header=BB2_2631 Depth=2
	s_or_b32 exec_lo, exec_lo, s29
	v_and_b32_sdwa v42, v12, v83 dst_sel:DWORD dst_unused:UNUSED_PAD src0_sel:WORD_1 src1_sel:DWORD
	s_mov_b32 s12, 0
	s_mov_b32 s29, exec_lo
	v_cmpx_lt_i16_e32 0x7f, v42
	s_xor_b32 s29, exec_lo, s29
	s_cbranch_execz .LBB2_3255
; %bb.3070:                             ;   in Loop: Header=BB2_2631 Depth=2
	s_mov_b32 s12, -1
	s_mov_b32 s40, exec_lo
	v_cmpx_eq_u16_e32 0x80, v42
; %bb.3071:                             ;   in Loop: Header=BB2_2631 Depth=2
	s_xor_b32 s12, exec_lo, -1
; %bb.3072:                             ;   in Loop: Header=BB2_2631 Depth=2
	s_or_b32 exec_lo, exec_lo, s40
	s_and_b32 s12, s12, exec_lo
                                        ; implicit-def: $vgpr42
	s_or_saveexec_b32 s29, s29
	v_mov_b32_e32 v40, 0x7f800001
	s_xor_b32 exec_lo, exec_lo, s29
	s_cbranch_execnz .LBB2_3256
.LBB2_3073:                             ;   in Loop: Header=BB2_2631 Depth=2
	s_or_b32 exec_lo, exec_lo, s29
	s_and_saveexec_b32 s29, s12
	s_cbranch_execz .LBB2_3075
.LBB2_3074:                             ;   in Loop: Header=BB2_2631 Depth=2
	v_and_b32_sdwa v40, v12, v84 dst_sel:DWORD dst_unused:UNUSED_PAD src0_sel:WORD_1 src1_sel:DWORD
	v_bfe_u32 v44, v12, 19, 4
	v_lshlrev_b32_sdwa v45, v82, v12 dst_sel:DWORD dst_unused:UNUSED_PAD src0_sel:DWORD src1_sel:WORD_1
	v_ffbh_u32_e32 v42, v40
	v_cmp_eq_u32_e32 vcc_lo, 0, v44
	v_min_u32_e32 v42, 32, v42
	v_subrev_nc_u32_e32 v43, 28, v42
	v_sub_nc_u32_e32 v42, 29, v42
	v_lshlrev_b32_sdwa v43, v43, v12 dst_sel:DWORD dst_unused:UNUSED_PAD src0_sel:DWORD src1_sel:WORD_1
	v_cndmask_b32_e32 v42, v44, v42, vcc_lo
	v_and_b32_e32 v43, 7, v43
	v_lshl_add_u32 v42, v42, 23, 0x3b800000
	v_cndmask_b32_e32 v40, v40, v43, vcc_lo
	v_and_b32_e32 v43, 0x80000000, v45
	v_lshlrev_b32_e32 v40, 20, v40
	v_or3_b32 v40, v43, v42, v40
.LBB2_3075:                             ;   in Loop: Header=BB2_2631 Depth=2
	s_or_b32 exec_lo, exec_lo, s29
	v_add_f32_e32 v40, v112, v40
	v_and_b32_e32 v112, 0x7f800000, v40
	v_cmp_ne_u32_e32 vcc_lo, 0x7f800000, v112
	v_mov_b32_e32 v112, 0x80
	s_and_saveexec_b32 s29, vcc_lo
	s_cbranch_execz .LBB2_3083
; %bb.3076:                             ;   in Loop: Header=BB2_2631 Depth=2
	v_mov_b32_e32 v112, 0
	s_mov_b32 s40, exec_lo
	v_cmpx_ne_u32_e32 0, v40
	s_cbranch_execz .LBB2_3082
; %bb.3077:                             ;   in Loop: Header=BB2_2631 Depth=2
	v_bfe_u32 v112, v40, 23, 8
	v_and_b32_e32 v42, 0x7fffff, v40
	v_sub_nc_u32_e32 v43, 0x78, v112
	v_cmp_gt_u32_e32 vcc_lo, 0x79, v112
	v_or_b32_e32 v44, 0x800000, v42
	v_cndmask_b32_e32 v43, 0, v43, vcc_lo
	v_cmp_eq_u32_e32 vcc_lo, 0, v112
	v_add_nc_u32_e32 v112, 0xffffff89, v112
	v_cndmask_b32_e64 v43, v43, 0x77, vcc_lo
	v_cndmask_b32_e32 v42, v44, v42, vcc_lo
	v_cndmask_b32_e64 v112, v112, 0xffffff8a, vcc_lo
	v_lshl_add_u32 v44, 0x100000, v43, -1
	v_lshrrev_b32_e32 v45, v43, v42
	v_lshlrev_b32_e64 v47, v43, 0x80000
	v_add_nc_u32_e32 v43, v43, v112
	v_and_b32_e32 v42, v44, v42
	v_bfe_u32 v46, v45, 20, 1
	v_cmp_eq_u32_e64 s12, v42, v47
	v_add_nc_u32_e32 v44, -1, v46
	v_cndmask_b32_e64 v42, 0, v44, s12
	v_lshrrev_b32_e32 v44, 23, v45
	s_mov_b32 s12, exec_lo
	v_add_nc_u32_e32 v42, v42, v45
	v_xor_b32_e32 v44, 1, v44
	v_and_b32_e32 v112, 0xfffff, v42
	v_add_nc_u32_e32 v42, v112, v45
                                        ; implicit-def: $vgpr112
	v_cmpx_ne_u32_e64 v43, v44
	s_xor_b32 s12, exec_lo, s12
; %bb.3078:                             ;   in Loop: Header=BB2_2631 Depth=2
	v_cmp_lt_u32_e32 vcc_lo, 0xffffff, v42
	v_sub_nc_u32_e32 v112, v43, v44
	v_cndmask_b32_e64 v43, 0, 1, vcc_lo
	v_add_co_ci_u32_e64 v112, null, 0, v112, vcc_lo
	v_lshrrev_b32_e32 v42, v43, v42
; %bb.3079:                             ;   in Loop: Header=BB2_2631 Depth=2
	s_andn2_saveexec_b32 s12, s12
; %bb.3080:                             ;   in Loop: Header=BB2_2631 Depth=2
	v_bfe_u32 v112, v42, 23, 1
; %bb.3081:                             ;   in Loop: Header=BB2_2631 Depth=2
	s_or_b32 exec_lo, exec_lo, s12
	v_lshrrev_b32_e32 v42, 20, v42
	v_min_i32_e32 v43, 15, v112
	v_cmp_gt_i32_e32 vcc_lo, 16, v112
	v_and_b32_sdwa v40, v40, v80 dst_sel:DWORD dst_unused:UNUSED_PAD src0_sel:BYTE_3 src1_sel:DWORD
	v_lshlrev_b32_e32 v43, 3, v43
	v_cndmask_b32_e32 v42, 7, v42, vcc_lo
	v_and_b32_e32 v43, 0xf8, v43
	v_and_b32_e32 v44, 7, v42
	v_or_b32_e32 v112, v112, v42
	v_or3_b32 v40, v43, v40, v44
	v_cmp_ne_u32_e32 vcc_lo, 0, v112
	v_cndmask_b32_e32 v112, 0, v40, vcc_lo
.LBB2_3082:                             ;   in Loop: Header=BB2_2631 Depth=2
	s_or_b32 exec_lo, exec_lo, s40
.LBB2_3083:                             ;   in Loop: Header=BB2_2631 Depth=2
	s_or_b32 exec_lo, exec_lo, s29
	v_cmp_gt_i16_sdwa s29, v116, v71 src0_sel:BYTE_3 src1_sel:DWORD
	s_mov_b32 s12, 0
	s_and_saveexec_b32 s40, s29
	s_xor_b32 s29, exec_lo, s40
	s_cbranch_execz .LBB2_3257
; %bb.3084:                             ;   in Loop: Header=BB2_2631 Depth=2
	v_cmp_eq_u16_sdwa s41, v116, v80 src0_sel:BYTE_3 src1_sel:DWORD
	s_mov_b32 s12, -1
	s_and_saveexec_b32 s40, s41
; %bb.3085:                             ;   in Loop: Header=BB2_2631 Depth=2
	s_xor_b32 s12, exec_lo, -1
; %bb.3086:                             ;   in Loop: Header=BB2_2631 Depth=2
	s_or_b32 exec_lo, exec_lo, s40
	s_and_b32 s12, s12, exec_lo
	s_or_saveexec_b32 s29, s29
	v_mov_b32_e32 v40, 0x7f800001
	s_xor_b32 exec_lo, exec_lo, s29
	s_cbranch_execnz .LBB2_3258
.LBB2_3087:                             ;   in Loop: Header=BB2_2631 Depth=2
	s_or_b32 exec_lo, exec_lo, s29
	s_and_saveexec_b32 s29, s12
	s_cbranch_execz .LBB2_3089
.LBB2_3088:                             ;   in Loop: Header=BB2_2631 Depth=2
	v_bfe_u32 v40, v116, 24, 3
	v_bfe_u32 v44, v116, 27, 4
	v_ffbh_u32_e32 v42, v40
	v_cmp_eq_u32_e32 vcc_lo, 0, v44
	v_min_u32_e32 v42, 32, v42
	v_subrev_nc_u32_e32 v43, 28, v42
	v_sub_nc_u32_e32 v42, 29, v42
	v_lshlrev_b32_sdwa v43, v43, v116 dst_sel:DWORD dst_unused:UNUSED_PAD src0_sel:DWORD src1_sel:BYTE_3
	v_cndmask_b32_e32 v42, v44, v42, vcc_lo
	v_and_b32_e32 v116, 0x80000000, v116
	v_and_b32_e32 v43, 7, v43
	v_lshl_add_u32 v42, v42, 23, 0x3b800000
	v_cndmask_b32_e32 v40, v40, v43, vcc_lo
	v_lshlrev_b32_e32 v40, 20, v40
	v_or3_b32 v40, v116, v42, v40
.LBB2_3089:                             ;   in Loop: Header=BB2_2631 Depth=2
	s_or_b32 exec_lo, exec_lo, s29
	v_cmp_gt_i16_sdwa s29, v12, v71 src0_sel:BYTE_3 src1_sel:DWORD
	s_mov_b32 s12, 0
	s_and_saveexec_b32 s40, s29
	s_xor_b32 s29, exec_lo, s40
	s_cbranch_execz .LBB2_3259
; %bb.3090:                             ;   in Loop: Header=BB2_2631 Depth=2
	v_cmp_eq_u16_sdwa s41, v12, v80 src0_sel:BYTE_3 src1_sel:DWORD
	s_mov_b32 s12, -1
	s_and_saveexec_b32 s40, s41
; %bb.3091:                             ;   in Loop: Header=BB2_2631 Depth=2
	s_xor_b32 s12, exec_lo, -1
; %bb.3092:                             ;   in Loop: Header=BB2_2631 Depth=2
	s_or_b32 exec_lo, exec_lo, s40
	s_and_b32 s12, s12, exec_lo
	s_or_saveexec_b32 s29, s29
	v_mov_b32_e32 v116, 0x7f800001
	s_xor_b32 exec_lo, exec_lo, s29
	s_cbranch_execnz .LBB2_3260
.LBB2_3093:                             ;   in Loop: Header=BB2_2631 Depth=2
	s_or_b32 exec_lo, exec_lo, s29
	s_and_saveexec_b32 s29, s12
	s_cbranch_execz .LBB2_3095
.LBB2_3094:                             ;   in Loop: Header=BB2_2631 Depth=2
	v_and_b32_sdwa v116, v12, v84 dst_sel:DWORD dst_unused:UNUSED_PAD src0_sel:BYTE_3 src1_sel:DWORD
	v_bfe_u32 v44, v12, 27, 4
	v_ffbh_u32_e32 v42, v116
	v_cmp_eq_u32_e32 vcc_lo, 0, v44
	v_min_u32_e32 v42, 32, v42
	v_subrev_nc_u32_e32 v43, 28, v42
	v_sub_nc_u32_e32 v42, 29, v42
	v_lshlrev_b32_sdwa v43, v43, v12 dst_sel:DWORD dst_unused:UNUSED_PAD src0_sel:DWORD src1_sel:BYTE_3
	v_cndmask_b32_e32 v42, v44, v42, vcc_lo
	v_and_b32_e32 v12, 0x80000000, v12
	v_and_b32_e32 v43, 7, v43
	v_lshl_add_u32 v42, v42, 23, 0x3b800000
	v_cndmask_b32_e32 v116, v116, v43, vcc_lo
	v_lshlrev_b32_e32 v116, 20, v116
	v_or3_b32 v116, v12, v42, v116
.LBB2_3095:                             ;   in Loop: Header=BB2_2631 Depth=2
	s_or_b32 exec_lo, exec_lo, s29
	v_add_f32_e32 v116, v40, v116
	v_and_b32_e32 v12, 0x7f800000, v116
	v_cmp_ne_u32_e32 vcc_lo, 0x7f800000, v12
	v_mov_b32_e32 v12, 0x8000
	s_and_saveexec_b32 s29, vcc_lo
	s_cbranch_execz .LBB2_3103
; %bb.3096:                             ;   in Loop: Header=BB2_2631 Depth=2
	v_mov_b32_e32 v12, 0
	s_mov_b32 s40, exec_lo
	v_cmpx_ne_u32_e32 0, v116
	s_cbranch_execz .LBB2_3102
; %bb.3097:                             ;   in Loop: Header=BB2_2631 Depth=2
	v_bfe_u32 v12, v116, 23, 8
	v_and_b32_e32 v40, 0x7fffff, v116
	v_sub_nc_u32_e32 v42, 0x78, v12
	v_cmp_gt_u32_e32 vcc_lo, 0x79, v12
	v_or_b32_e32 v43, 0x800000, v40
	v_cndmask_b32_e32 v42, 0, v42, vcc_lo
	v_cmp_eq_u32_e32 vcc_lo, 0, v12
	v_add_nc_u32_e32 v12, 0xffffff89, v12
	v_cndmask_b32_e64 v42, v42, 0x77, vcc_lo
	v_cndmask_b32_e32 v40, v43, v40, vcc_lo
	v_cndmask_b32_e64 v12, v12, 0xffffff8a, vcc_lo
	v_lshl_add_u32 v43, 0x100000, v42, -1
	v_lshrrev_b32_e32 v44, v42, v40
	v_lshlrev_b32_e64 v46, v42, 0x80000
	v_add_nc_u32_e32 v42, v42, v12
	v_and_b32_e32 v40, v43, v40
	v_bfe_u32 v45, v44, 20, 1
	v_cmp_eq_u32_e64 s12, v40, v46
	v_add_nc_u32_e32 v43, -1, v45
	v_cndmask_b32_e64 v40, 0, v43, s12
	v_lshrrev_b32_e32 v43, 23, v44
	s_mov_b32 s12, exec_lo
	v_add_nc_u32_e32 v40, v40, v44
	v_xor_b32_e32 v43, 1, v43
	v_and_b32_e32 v12, 0xfffff, v40
	v_add_nc_u32_e32 v40, v12, v44
                                        ; implicit-def: $vgpr12
	v_cmpx_ne_u32_e64 v42, v43
	s_xor_b32 s12, exec_lo, s12
; %bb.3098:                             ;   in Loop: Header=BB2_2631 Depth=2
	v_cmp_lt_u32_e32 vcc_lo, 0xffffff, v40
	v_sub_nc_u32_e32 v12, v42, v43
	v_cndmask_b32_e64 v42, 0, 1, vcc_lo
	v_add_co_ci_u32_e64 v12, null, 0, v12, vcc_lo
	v_lshrrev_b32_e32 v40, v42, v40
; %bb.3099:                             ;   in Loop: Header=BB2_2631 Depth=2
	s_andn2_saveexec_b32 s12, s12
; %bb.3100:                             ;   in Loop: Header=BB2_2631 Depth=2
	v_bfe_u32 v12, v40, 23, 1
; %bb.3101:                             ;   in Loop: Header=BB2_2631 Depth=2
	s_or_b32 exec_lo, exec_lo, s12
	v_lshrrev_b32_e32 v40, 20, v40
	v_min_i32_e32 v42, 15, v12
	v_cmp_gt_i32_e32 vcc_lo, 16, v12
	v_and_b32_sdwa v116, v116, v80 dst_sel:DWORD dst_unused:UNUSED_PAD src0_sel:BYTE_3 src1_sel:DWORD
	v_lshlrev_b32_e32 v42, 3, v42
	v_cndmask_b32_e32 v40, 7, v40, vcc_lo
	v_and_b32_e32 v42, 0xf8, v42
	v_and_b32_e32 v43, 7, v40
	v_or_b32_e32 v12, v12, v40
	v_or3_b32 v116, v116, v42, v43
	v_cmp_ne_u32_e32 vcc_lo, 0, v12
	v_lshlrev_b32_e32 v116, 8, v116
	v_cndmask_b32_e32 v12, 0, v116, vcc_lo
.LBB2_3102:                             ;   in Loop: Header=BB2_2631 Depth=2
	s_or_b32 exec_lo, exec_lo, s40
.LBB2_3103:                             ;   in Loop: Header=BB2_2631 Depth=2
	s_or_b32 exec_lo, exec_lo, s29
	v_or_b32_e32 v113, v113, v101
	s_mov_b32 s12, 0
	v_cmp_gt_i16_sdwa s29, v113, v71 src0_sel:BYTE_0 src1_sel:DWORD
	s_and_saveexec_b32 s40, s29
	s_xor_b32 s29, exec_lo, s40
	s_cbranch_execz .LBB2_3261
; %bb.3104:                             ;   in Loop: Header=BB2_2631 Depth=2
	v_cmp_eq_u16_sdwa s41, v113, v80 src0_sel:BYTE_0 src1_sel:DWORD
	s_mov_b32 s12, -1
	s_and_saveexec_b32 s40, s41
; %bb.3105:                             ;   in Loop: Header=BB2_2631 Depth=2
	s_xor_b32 s12, exec_lo, -1
; %bb.3106:                             ;   in Loop: Header=BB2_2631 Depth=2
	s_or_b32 exec_lo, exec_lo, s40
	s_and_b32 s12, s12, exec_lo
	s_or_saveexec_b32 s29, s29
	v_mov_b32_e32 v101, 0x7f800001
	s_xor_b32 exec_lo, exec_lo, s29
	s_cbranch_execnz .LBB2_3262
.LBB2_3107:                             ;   in Loop: Header=BB2_2631 Depth=2
	s_or_b32 exec_lo, exec_lo, s29
	s_and_saveexec_b32 s29, s12
	s_cbranch_execz .LBB2_3109
.LBB2_3108:                             ;   in Loop: Header=BB2_2631 Depth=2
	v_and_b32_e32 v101, 7, v113
	v_bfe_u32 v42, v113, 3, 4
	v_lshlrev_b32_e32 v43, 24, v113
	v_ffbh_u32_e32 v116, v101
	v_cmp_eq_u32_e32 vcc_lo, 0, v42
	v_min_u32_e32 v116, 32, v116
	v_subrev_nc_u32_e32 v40, 28, v116
	v_sub_nc_u32_e32 v116, 29, v116
	v_lshlrev_b32_e32 v40, v40, v113
	v_cndmask_b32_e32 v116, v42, v116, vcc_lo
	v_and_b32_e32 v40, 7, v40
	v_lshl_add_u32 v116, v116, 23, 0x3b800000
	v_cndmask_b32_e32 v101, v101, v40, vcc_lo
	v_and_b32_e32 v40, 0x80000000, v43
	v_lshlrev_b32_e32 v101, 20, v101
	v_or3_b32 v101, v40, v116, v101
.LBB2_3109:                             ;   in Loop: Header=BB2_2631 Depth=2
	s_or_b32 exec_lo, exec_lo, s29
	v_cmp_gt_i16_sdwa s29, v13, v71 src0_sel:BYTE_0 src1_sel:DWORD
	s_mov_b32 s12, 0
	s_and_saveexec_b32 s40, s29
	s_xor_b32 s29, exec_lo, s40
	s_cbranch_execz .LBB2_3263
; %bb.3110:                             ;   in Loop: Header=BB2_2631 Depth=2
	v_cmp_eq_u16_sdwa s41, v13, v80 src0_sel:BYTE_0 src1_sel:DWORD
	s_mov_b32 s12, -1
	s_and_saveexec_b32 s40, s41
; %bb.3111:                             ;   in Loop: Header=BB2_2631 Depth=2
	s_xor_b32 s12, exec_lo, -1
; %bb.3112:                             ;   in Loop: Header=BB2_2631 Depth=2
	s_or_b32 exec_lo, exec_lo, s40
	s_and_b32 s12, s12, exec_lo
	s_or_saveexec_b32 s29, s29
	v_mov_b32_e32 v116, 0x7f800001
	s_xor_b32 exec_lo, exec_lo, s29
	s_cbranch_execnz .LBB2_3264
.LBB2_3113:                             ;   in Loop: Header=BB2_2631 Depth=2
	s_or_b32 exec_lo, exec_lo, s29
	s_and_saveexec_b32 s29, s12
	s_cbranch_execz .LBB2_3115
.LBB2_3114:                             ;   in Loop: Header=BB2_2631 Depth=2
	v_and_b32_e32 v116, 7, v13
	v_bfe_u32 v43, v13, 3, 4
	v_lshlrev_b32_e32 v44, 24, v13
	v_ffbh_u32_e32 v40, v116
	v_cmp_eq_u32_e32 vcc_lo, 0, v43
	v_min_u32_e32 v40, 32, v40
	v_subrev_nc_u32_e32 v42, 28, v40
	v_sub_nc_u32_e32 v40, 29, v40
	v_lshlrev_b32_e32 v42, v42, v13
	v_cndmask_b32_e32 v40, v43, v40, vcc_lo
	v_and_b32_e32 v42, 7, v42
	v_lshl_add_u32 v40, v40, 23, 0x3b800000
	v_cndmask_b32_e32 v116, v116, v42, vcc_lo
	v_and_b32_e32 v42, 0x80000000, v44
	v_lshlrev_b32_e32 v116, 20, v116
	v_or3_b32 v116, v42, v40, v116
.LBB2_3115:                             ;   in Loop: Header=BB2_2631 Depth=2
	s_or_b32 exec_lo, exec_lo, s29
	v_add_f32_e32 v116, v101, v116
	v_and_b32_e32 v101, 0x7f800000, v116
	v_cmp_ne_u32_e32 vcc_lo, 0x7f800000, v101
	v_mov_b32_e32 v101, 0x80
	s_and_saveexec_b32 s29, vcc_lo
	s_cbranch_execz .LBB2_3123
; %bb.3116:                             ;   in Loop: Header=BB2_2631 Depth=2
	v_mov_b32_e32 v101, 0
	s_mov_b32 s40, exec_lo
	v_cmpx_ne_u32_e32 0, v116
	s_cbranch_execz .LBB2_3122
; %bb.3117:                             ;   in Loop: Header=BB2_2631 Depth=2
	v_bfe_u32 v101, v116, 23, 8
	v_and_b32_e32 v40, 0x7fffff, v116
	v_sub_nc_u32_e32 v42, 0x78, v101
	v_cmp_gt_u32_e32 vcc_lo, 0x79, v101
	v_or_b32_e32 v43, 0x800000, v40
	v_cndmask_b32_e32 v42, 0, v42, vcc_lo
	v_cmp_eq_u32_e32 vcc_lo, 0, v101
	v_add_nc_u32_e32 v101, 0xffffff89, v101
	v_cndmask_b32_e64 v42, v42, 0x77, vcc_lo
	v_cndmask_b32_e32 v40, v43, v40, vcc_lo
	v_cndmask_b32_e64 v101, v101, 0xffffff8a, vcc_lo
	v_lshl_add_u32 v43, 0x100000, v42, -1
	v_lshrrev_b32_e32 v44, v42, v40
	v_lshlrev_b32_e64 v46, v42, 0x80000
	v_add_nc_u32_e32 v42, v42, v101
	v_and_b32_e32 v40, v43, v40
	v_bfe_u32 v45, v44, 20, 1
	v_cmp_eq_u32_e64 s12, v40, v46
	v_add_nc_u32_e32 v43, -1, v45
	v_cndmask_b32_e64 v40, 0, v43, s12
	v_lshrrev_b32_e32 v43, 23, v44
	s_mov_b32 s12, exec_lo
	v_add_nc_u32_e32 v40, v40, v44
	v_xor_b32_e32 v43, 1, v43
	v_and_b32_e32 v101, 0xfffff, v40
	v_add_nc_u32_e32 v40, v101, v44
                                        ; implicit-def: $vgpr101
	v_cmpx_ne_u32_e64 v42, v43
	s_xor_b32 s12, exec_lo, s12
; %bb.3118:                             ;   in Loop: Header=BB2_2631 Depth=2
	v_cmp_lt_u32_e32 vcc_lo, 0xffffff, v40
	v_sub_nc_u32_e32 v101, v42, v43
	v_cndmask_b32_e64 v42, 0, 1, vcc_lo
	v_add_co_ci_u32_e64 v101, null, 0, v101, vcc_lo
	v_lshrrev_b32_e32 v40, v42, v40
; %bb.3119:                             ;   in Loop: Header=BB2_2631 Depth=2
	s_andn2_saveexec_b32 s12, s12
; %bb.3120:                             ;   in Loop: Header=BB2_2631 Depth=2
	v_bfe_u32 v101, v40, 23, 1
; %bb.3121:                             ;   in Loop: Header=BB2_2631 Depth=2
	s_or_b32 exec_lo, exec_lo, s12
	v_lshrrev_b32_e32 v40, 20, v40
	v_min_i32_e32 v42, 15, v101
	v_cmp_gt_i32_e32 vcc_lo, 16, v101
	v_and_b32_sdwa v116, v116, v80 dst_sel:DWORD dst_unused:UNUSED_PAD src0_sel:BYTE_3 src1_sel:DWORD
	v_lshlrev_b32_e32 v42, 3, v42
	v_cndmask_b32_e32 v40, 7, v40, vcc_lo
	v_and_b32_e32 v42, 0xf8, v42
	v_and_b32_e32 v43, 7, v40
	v_or_b32_e32 v101, v101, v40
	v_or3_b32 v116, v42, v116, v43
	v_cmp_ne_u32_e32 vcc_lo, 0, v101
	v_cndmask_b32_e32 v101, 0, v116, vcc_lo
.LBB2_3122:                             ;   in Loop: Header=BB2_2631 Depth=2
	s_or_b32 exec_lo, exec_lo, s40
.LBB2_3123:                             ;   in Loop: Header=BB2_2631 Depth=2
	s_or_b32 exec_lo, exec_lo, s29
	v_cmp_gt_i16_sdwa s29, v113, v71 src0_sel:BYTE_1 src1_sel:DWORD
	s_mov_b32 s12, 0
	s_and_saveexec_b32 s40, s29
	s_xor_b32 s29, exec_lo, s40
	s_cbranch_execz .LBB2_3265
; %bb.3124:                             ;   in Loop: Header=BB2_2631 Depth=2
	v_cmp_eq_u16_sdwa s41, v113, v80 src0_sel:BYTE_1 src1_sel:DWORD
	s_mov_b32 s12, -1
	s_and_saveexec_b32 s40, s41
; %bb.3125:                             ;   in Loop: Header=BB2_2631 Depth=2
	s_xor_b32 s12, exec_lo, -1
; %bb.3126:                             ;   in Loop: Header=BB2_2631 Depth=2
	s_or_b32 exec_lo, exec_lo, s40
	s_and_b32 s12, s12, exec_lo
	s_or_saveexec_b32 s29, s29
	v_mov_b32_e32 v116, 0x7f800001
	s_xor_b32 exec_lo, exec_lo, s29
	s_cbranch_execnz .LBB2_3266
.LBB2_3127:                             ;   in Loop: Header=BB2_2631 Depth=2
	s_or_b32 exec_lo, exec_lo, s29
	s_and_saveexec_b32 s29, s12
	s_cbranch_execz .LBB2_3129
.LBB2_3128:                             ;   in Loop: Header=BB2_2631 Depth=2
	v_and_b32_sdwa v116, v81, v113 dst_sel:DWORD dst_unused:UNUSED_PAD src0_sel:DWORD src1_sel:BYTE_1
	v_and_b32_e32 v40, 7, v116
	v_bfe_u32 v44, v116, 3, 4
	v_ffbh_u32_e32 v42, v40
	v_cmp_eq_u32_e32 vcc_lo, 0, v44
	v_min_u32_e32 v42, 32, v42
	v_subrev_nc_u32_e32 v43, 28, v42
	v_sub_nc_u32_e32 v42, 29, v42
	v_lshlrev_b32_e32 v116, v43, v116
	v_lshlrev_b32_sdwa v43, v82, v113 dst_sel:DWORD dst_unused:UNUSED_PAD src0_sel:DWORD src1_sel:BYTE_1
	v_cndmask_b32_e32 v42, v44, v42, vcc_lo
	v_and_b32_e32 v116, 7, v116
	v_lshl_add_u32 v42, v42, 23, 0x3b800000
	v_cndmask_b32_e32 v116, v40, v116, vcc_lo
	v_and_b32_e32 v40, 0x80000000, v43
	v_lshlrev_b32_e32 v116, 20, v116
	v_or3_b32 v116, v40, v42, v116
.LBB2_3129:                             ;   in Loop: Header=BB2_2631 Depth=2
	s_or_b32 exec_lo, exec_lo, s29
	v_cmp_gt_i16_sdwa s29, v13, v71 src0_sel:BYTE_1 src1_sel:DWORD
	s_mov_b32 s12, 0
	s_and_saveexec_b32 s40, s29
	s_xor_b32 s29, exec_lo, s40
	s_cbranch_execz .LBB2_3267
; %bb.3130:                             ;   in Loop: Header=BB2_2631 Depth=2
	v_cmp_eq_u16_sdwa s41, v13, v80 src0_sel:BYTE_1 src1_sel:DWORD
	s_mov_b32 s12, -1
	s_and_saveexec_b32 s40, s41
; %bb.3131:                             ;   in Loop: Header=BB2_2631 Depth=2
	s_xor_b32 s12, exec_lo, -1
; %bb.3132:                             ;   in Loop: Header=BB2_2631 Depth=2
	s_or_b32 exec_lo, exec_lo, s40
	s_and_b32 s12, s12, exec_lo
	s_or_saveexec_b32 s29, s29
	v_mov_b32_e32 v40, 0x7f800001
	s_xor_b32 exec_lo, exec_lo, s29
	s_cbranch_execnz .LBB2_3268
.LBB2_3133:                             ;   in Loop: Header=BB2_2631 Depth=2
	s_or_b32 exec_lo, exec_lo, s29
	s_and_saveexec_b32 s29, s12
	s_cbranch_execz .LBB2_3135
.LBB2_3134:                             ;   in Loop: Header=BB2_2631 Depth=2
	v_and_b32_sdwa v40, v81, v13 dst_sel:DWORD dst_unused:UNUSED_PAD src0_sel:DWORD src1_sel:BYTE_1
	v_and_b32_e32 v42, 7, v40
	v_bfe_u32 v45, v40, 3, 4
	v_ffbh_u32_e32 v43, v42
	v_cmp_eq_u32_e32 vcc_lo, 0, v45
	v_min_u32_e32 v43, 32, v43
	v_subrev_nc_u32_e32 v44, 28, v43
	v_sub_nc_u32_e32 v43, 29, v43
	v_lshlrev_b32_e32 v40, v44, v40
	v_lshlrev_b32_sdwa v44, v82, v13 dst_sel:DWORD dst_unused:UNUSED_PAD src0_sel:DWORD src1_sel:BYTE_1
	v_cndmask_b32_e32 v43, v45, v43, vcc_lo
	v_and_b32_e32 v40, 7, v40
	v_lshl_add_u32 v43, v43, 23, 0x3b800000
	v_cndmask_b32_e32 v40, v42, v40, vcc_lo
	v_and_b32_e32 v42, 0x80000000, v44
	v_lshlrev_b32_e32 v40, 20, v40
	v_or3_b32 v40, v42, v43, v40
.LBB2_3135:                             ;   in Loop: Header=BB2_2631 Depth=2
	s_or_b32 exec_lo, exec_lo, s29
	v_add_f32_e32 v40, v116, v40
	v_and_b32_e32 v116, 0x7f800000, v40
	v_cmp_ne_u32_e32 vcc_lo, 0x7f800000, v116
	v_mov_b32_e32 v116, 0x8000
	s_and_saveexec_b32 s29, vcc_lo
	s_cbranch_execz .LBB2_3143
; %bb.3136:                             ;   in Loop: Header=BB2_2631 Depth=2
	v_mov_b32_e32 v116, 0
	s_mov_b32 s40, exec_lo
	v_cmpx_ne_u32_e32 0, v40
	s_cbranch_execz .LBB2_3142
; %bb.3137:                             ;   in Loop: Header=BB2_2631 Depth=2
	v_bfe_u32 v116, v40, 23, 8
	v_and_b32_e32 v42, 0x7fffff, v40
	v_sub_nc_u32_e32 v43, 0x78, v116
	v_cmp_gt_u32_e32 vcc_lo, 0x79, v116
	v_or_b32_e32 v44, 0x800000, v42
	v_cndmask_b32_e32 v43, 0, v43, vcc_lo
	v_cmp_eq_u32_e32 vcc_lo, 0, v116
	v_add_nc_u32_e32 v116, 0xffffff89, v116
	v_cndmask_b32_e64 v43, v43, 0x77, vcc_lo
	v_cndmask_b32_e32 v42, v44, v42, vcc_lo
	v_cndmask_b32_e64 v116, v116, 0xffffff8a, vcc_lo
	v_lshl_add_u32 v44, 0x100000, v43, -1
	v_lshrrev_b32_e32 v45, v43, v42
	v_lshlrev_b32_e64 v47, v43, 0x80000
	v_add_nc_u32_e32 v43, v43, v116
	v_and_b32_e32 v42, v44, v42
	v_bfe_u32 v46, v45, 20, 1
	v_cmp_eq_u32_e64 s12, v42, v47
	v_add_nc_u32_e32 v44, -1, v46
	v_cndmask_b32_e64 v42, 0, v44, s12
	v_lshrrev_b32_e32 v44, 23, v45
	s_mov_b32 s12, exec_lo
	v_add_nc_u32_e32 v42, v42, v45
	v_xor_b32_e32 v44, 1, v44
	v_and_b32_e32 v116, 0xfffff, v42
	v_add_nc_u32_e32 v42, v116, v45
                                        ; implicit-def: $vgpr116
	v_cmpx_ne_u32_e64 v43, v44
	s_xor_b32 s12, exec_lo, s12
; %bb.3138:                             ;   in Loop: Header=BB2_2631 Depth=2
	v_cmp_lt_u32_e32 vcc_lo, 0xffffff, v42
	v_sub_nc_u32_e32 v116, v43, v44
	v_cndmask_b32_e64 v43, 0, 1, vcc_lo
	v_add_co_ci_u32_e64 v116, null, 0, v116, vcc_lo
	v_lshrrev_b32_e32 v42, v43, v42
; %bb.3139:                             ;   in Loop: Header=BB2_2631 Depth=2
	s_andn2_saveexec_b32 s12, s12
; %bb.3140:                             ;   in Loop: Header=BB2_2631 Depth=2
	v_bfe_u32 v116, v42, 23, 1
; %bb.3141:                             ;   in Loop: Header=BB2_2631 Depth=2
	s_or_b32 exec_lo, exec_lo, s12
	v_lshrrev_b32_e32 v42, 20, v42
	v_min_i32_e32 v43, 15, v116
	v_cmp_gt_i32_e32 vcc_lo, 16, v116
	v_and_b32_sdwa v40, v40, v80 dst_sel:DWORD dst_unused:UNUSED_PAD src0_sel:BYTE_3 src1_sel:DWORD
	v_lshlrev_b32_e32 v43, 3, v43
	v_cndmask_b32_e32 v42, 7, v42, vcc_lo
	v_and_b32_e32 v43, 0xf8, v43
	v_and_b32_e32 v44, 7, v42
	v_or_b32_e32 v116, v116, v42
	v_or3_b32 v40, v40, v43, v44
	v_cmp_ne_u32_e32 vcc_lo, 0, v116
	v_lshlrev_b32_e32 v40, 8, v40
	v_cndmask_b32_e32 v116, 0, v40, vcc_lo
.LBB2_3142:                             ;   in Loop: Header=BB2_2631 Depth=2
	s_or_b32 exec_lo, exec_lo, s40
.LBB2_3143:                             ;   in Loop: Header=BB2_2631 Depth=2
	s_or_b32 exec_lo, exec_lo, s29
	v_or_b32_e32 v103, v103, v100
	s_mov_b32 s12, 0
	v_cmp_gt_i16_sdwa s29, v103, v71 src0_sel:BYTE_0 src1_sel:DWORD
	s_and_saveexec_b32 s40, s29
	s_xor_b32 s29, exec_lo, s40
	s_cbranch_execz .LBB2_3269
; %bb.3144:                             ;   in Loop: Header=BB2_2631 Depth=2
	v_cmp_eq_u16_sdwa s41, v103, v80 src0_sel:BYTE_0 src1_sel:DWORD
	s_mov_b32 s12, -1
	s_and_saveexec_b32 s40, s41
; %bb.3145:                             ;   in Loop: Header=BB2_2631 Depth=2
	s_xor_b32 s12, exec_lo, -1
; %bb.3146:                             ;   in Loop: Header=BB2_2631 Depth=2
	s_or_b32 exec_lo, exec_lo, s40
	s_and_b32 s12, s12, exec_lo
	s_or_saveexec_b32 s29, s29
	v_mov_b32_e32 v100, 0x7f800001
	s_xor_b32 exec_lo, exec_lo, s29
	s_cbranch_execnz .LBB2_3270
.LBB2_3147:                             ;   in Loop: Header=BB2_2631 Depth=2
	s_or_b32 exec_lo, exec_lo, s29
	v_lshl_or_b32 v103, v103, 16, v113
	s_and_saveexec_b32 s29, s12
	s_cbranch_execz .LBB2_3149
.LBB2_3148:                             ;   in Loop: Header=BB2_2631 Depth=2
	v_bfe_u32 v100, v103, 16, 3
	v_bfe_u32 v42, v103, 19, 4
	v_lshlrev_b32_e32 v43, 8, v103
	v_ffbh_u32_e32 v113, v100
	v_cmp_eq_u32_e32 vcc_lo, 0, v42
	v_min_u32_e32 v113, 32, v113
	v_subrev_nc_u32_e32 v40, 28, v113
	v_sub_nc_u32_e32 v113, 29, v113
	v_lshlrev_b32_sdwa v40, v40, v103 dst_sel:DWORD dst_unused:UNUSED_PAD src0_sel:DWORD src1_sel:WORD_1
	v_cndmask_b32_e32 v113, v42, v113, vcc_lo
	v_and_b32_e32 v40, 7, v40
	v_lshl_add_u32 v113, v113, 23, 0x3b800000
	v_cndmask_b32_e32 v100, v100, v40, vcc_lo
	v_and_b32_e32 v40, 0x80000000, v43
	v_lshlrev_b32_e32 v100, 20, v100
	v_or3_b32 v100, v40, v113, v100
.LBB2_3149:                             ;   in Loop: Header=BB2_2631 Depth=2
	s_or_b32 exec_lo, exec_lo, s29
	v_and_b32_sdwa v40, v13, v83 dst_sel:DWORD dst_unused:UNUSED_PAD src0_sel:WORD_1 src1_sel:DWORD
	s_mov_b32 s12, 0
	s_mov_b32 s29, exec_lo
	v_cmpx_lt_i16_e32 0x7f, v40
	s_xor_b32 s29, exec_lo, s29
	s_cbranch_execz .LBB2_3271
; %bb.3150:                             ;   in Loop: Header=BB2_2631 Depth=2
	s_mov_b32 s12, -1
	s_mov_b32 s40, exec_lo
	v_cmpx_eq_u16_e32 0x80, v40
; %bb.3151:                             ;   in Loop: Header=BB2_2631 Depth=2
	s_xor_b32 s12, exec_lo, -1
; %bb.3152:                             ;   in Loop: Header=BB2_2631 Depth=2
	s_or_b32 exec_lo, exec_lo, s40
	s_and_b32 s12, s12, exec_lo
                                        ; implicit-def: $vgpr40
	s_or_saveexec_b32 s29, s29
	v_mov_b32_e32 v113, 0x7f800001
	s_xor_b32 exec_lo, exec_lo, s29
	s_cbranch_execnz .LBB2_3272
.LBB2_3153:                             ;   in Loop: Header=BB2_2631 Depth=2
	s_or_b32 exec_lo, exec_lo, s29
	s_and_saveexec_b32 s29, s12
	s_cbranch_execz .LBB2_3155
.LBB2_3154:                             ;   in Loop: Header=BB2_2631 Depth=2
	v_and_b32_sdwa v113, v13, v84 dst_sel:DWORD dst_unused:UNUSED_PAD src0_sel:WORD_1 src1_sel:DWORD
	v_bfe_u32 v43, v13, 19, 4
	v_lshlrev_b32_sdwa v44, v82, v13 dst_sel:DWORD dst_unused:UNUSED_PAD src0_sel:DWORD src1_sel:WORD_1
	v_ffbh_u32_e32 v40, v113
	v_cmp_eq_u32_e32 vcc_lo, 0, v43
	v_min_u32_e32 v40, 32, v40
	v_subrev_nc_u32_e32 v42, 28, v40
	v_sub_nc_u32_e32 v40, 29, v40
	v_lshlrev_b32_sdwa v42, v42, v13 dst_sel:DWORD dst_unused:UNUSED_PAD src0_sel:DWORD src1_sel:WORD_1
	v_cndmask_b32_e32 v40, v43, v40, vcc_lo
	v_and_b32_e32 v42, 7, v42
	v_lshl_add_u32 v40, v40, 23, 0x3b800000
	v_cndmask_b32_e32 v113, v113, v42, vcc_lo
	v_and_b32_e32 v42, 0x80000000, v44
	v_lshlrev_b32_e32 v113, 20, v113
	v_or3_b32 v113, v42, v40, v113
.LBB2_3155:                             ;   in Loop: Header=BB2_2631 Depth=2
	s_or_b32 exec_lo, exec_lo, s29
	v_add_f32_e32 v113, v100, v113
	v_and_b32_e32 v100, 0x7f800000, v113
	v_cmp_ne_u32_e32 vcc_lo, 0x7f800000, v100
	v_mov_b32_e32 v100, 0x80
	s_and_saveexec_b32 s29, vcc_lo
	s_cbranch_execz .LBB2_3163
; %bb.3156:                             ;   in Loop: Header=BB2_2631 Depth=2
	v_mov_b32_e32 v100, 0
	s_mov_b32 s40, exec_lo
	v_cmpx_ne_u32_e32 0, v113
	s_cbranch_execz .LBB2_3162
; %bb.3157:                             ;   in Loop: Header=BB2_2631 Depth=2
	v_bfe_u32 v100, v113, 23, 8
	v_and_b32_e32 v40, 0x7fffff, v113
	v_sub_nc_u32_e32 v42, 0x78, v100
	v_cmp_gt_u32_e32 vcc_lo, 0x79, v100
	v_or_b32_e32 v43, 0x800000, v40
	v_cndmask_b32_e32 v42, 0, v42, vcc_lo
	v_cmp_eq_u32_e32 vcc_lo, 0, v100
	v_add_nc_u32_e32 v100, 0xffffff89, v100
	v_cndmask_b32_e64 v42, v42, 0x77, vcc_lo
	v_cndmask_b32_e32 v40, v43, v40, vcc_lo
	v_cndmask_b32_e64 v100, v100, 0xffffff8a, vcc_lo
	v_lshl_add_u32 v43, 0x100000, v42, -1
	v_lshrrev_b32_e32 v44, v42, v40
	v_lshlrev_b32_e64 v46, v42, 0x80000
	v_add_nc_u32_e32 v42, v42, v100
	v_and_b32_e32 v40, v43, v40
	v_bfe_u32 v45, v44, 20, 1
	v_cmp_eq_u32_e64 s12, v40, v46
	v_add_nc_u32_e32 v43, -1, v45
	v_cndmask_b32_e64 v40, 0, v43, s12
	v_lshrrev_b32_e32 v43, 23, v44
	s_mov_b32 s12, exec_lo
	v_add_nc_u32_e32 v40, v40, v44
	v_xor_b32_e32 v43, 1, v43
	v_and_b32_e32 v100, 0xfffff, v40
	v_add_nc_u32_e32 v40, v100, v44
                                        ; implicit-def: $vgpr100
	v_cmpx_ne_u32_e64 v42, v43
	s_xor_b32 s12, exec_lo, s12
; %bb.3158:                             ;   in Loop: Header=BB2_2631 Depth=2
	v_cmp_lt_u32_e32 vcc_lo, 0xffffff, v40
	v_sub_nc_u32_e32 v100, v42, v43
	v_cndmask_b32_e64 v42, 0, 1, vcc_lo
	v_add_co_ci_u32_e64 v100, null, 0, v100, vcc_lo
	v_lshrrev_b32_e32 v40, v42, v40
; %bb.3159:                             ;   in Loop: Header=BB2_2631 Depth=2
	s_andn2_saveexec_b32 s12, s12
; %bb.3160:                             ;   in Loop: Header=BB2_2631 Depth=2
	v_bfe_u32 v100, v40, 23, 1
; %bb.3161:                             ;   in Loop: Header=BB2_2631 Depth=2
	s_or_b32 exec_lo, exec_lo, s12
	v_lshrrev_b32_e32 v40, 20, v40
	v_min_i32_e32 v42, 15, v100
	v_cmp_gt_i32_e32 vcc_lo, 16, v100
	v_and_b32_sdwa v113, v113, v80 dst_sel:DWORD dst_unused:UNUSED_PAD src0_sel:BYTE_3 src1_sel:DWORD
	v_lshlrev_b32_e32 v42, 3, v42
	v_cndmask_b32_e32 v40, 7, v40, vcc_lo
	v_and_b32_e32 v42, 0xf8, v42
	v_and_b32_e32 v43, 7, v40
	v_or_b32_e32 v100, v100, v40
	v_or3_b32 v113, v42, v113, v43
	v_cmp_ne_u32_e32 vcc_lo, 0, v100
	v_cndmask_b32_e32 v100, 0, v113, vcc_lo
.LBB2_3162:                             ;   in Loop: Header=BB2_2631 Depth=2
	s_or_b32 exec_lo, exec_lo, s40
.LBB2_3163:                             ;   in Loop: Header=BB2_2631 Depth=2
	s_or_b32 exec_lo, exec_lo, s29
	v_cmp_gt_i16_sdwa s29, v103, v71 src0_sel:BYTE_3 src1_sel:DWORD
	s_mov_b32 s12, 0
	s_and_saveexec_b32 s40, s29
	s_xor_b32 s29, exec_lo, s40
	s_cbranch_execz .LBB2_3273
; %bb.3164:                             ;   in Loop: Header=BB2_2631 Depth=2
	v_cmp_eq_u16_sdwa s41, v103, v80 src0_sel:BYTE_3 src1_sel:DWORD
	s_mov_b32 s12, -1
	s_and_saveexec_b32 s40, s41
; %bb.3165:                             ;   in Loop: Header=BB2_2631 Depth=2
	s_xor_b32 s12, exec_lo, -1
; %bb.3166:                             ;   in Loop: Header=BB2_2631 Depth=2
	s_or_b32 exec_lo, exec_lo, s40
	s_and_b32 s12, s12, exec_lo
	s_or_saveexec_b32 s29, s29
	v_mov_b32_e32 v113, 0x7f800001
	s_xor_b32 exec_lo, exec_lo, s29
	s_cbranch_execnz .LBB2_3274
.LBB2_3167:                             ;   in Loop: Header=BB2_2631 Depth=2
	s_or_b32 exec_lo, exec_lo, s29
	s_and_saveexec_b32 s29, s12
	s_cbranch_execz .LBB2_3169
.LBB2_3168:                             ;   in Loop: Header=BB2_2631 Depth=2
	v_bfe_u32 v113, v103, 24, 3
	v_bfe_u32 v43, v103, 27, 4
	v_ffbh_u32_e32 v40, v113
	v_cmp_eq_u32_e32 vcc_lo, 0, v43
	v_min_u32_e32 v40, 32, v40
	v_subrev_nc_u32_e32 v42, 28, v40
	v_sub_nc_u32_e32 v40, 29, v40
	v_lshlrev_b32_sdwa v42, v42, v103 dst_sel:DWORD dst_unused:UNUSED_PAD src0_sel:DWORD src1_sel:BYTE_3
	v_cndmask_b32_e32 v40, v43, v40, vcc_lo
	v_and_b32_e32 v103, 0x80000000, v103
	v_and_b32_e32 v42, 7, v42
	v_lshl_add_u32 v40, v40, 23, 0x3b800000
	v_cndmask_b32_e32 v113, v113, v42, vcc_lo
	v_lshlrev_b32_e32 v113, 20, v113
	v_or3_b32 v113, v103, v40, v113
.LBB2_3169:                             ;   in Loop: Header=BB2_2631 Depth=2
	s_or_b32 exec_lo, exec_lo, s29
	v_cmp_gt_i16_sdwa s29, v13, v71 src0_sel:BYTE_3 src1_sel:DWORD
	s_mov_b32 s12, 0
	s_and_saveexec_b32 s40, s29
	s_xor_b32 s29, exec_lo, s40
	s_cbranch_execz .LBB2_3275
; %bb.3170:                             ;   in Loop: Header=BB2_2631 Depth=2
	v_cmp_eq_u16_sdwa s41, v13, v80 src0_sel:BYTE_3 src1_sel:DWORD
	s_mov_b32 s12, -1
	s_and_saveexec_b32 s40, s41
; %bb.3171:                             ;   in Loop: Header=BB2_2631 Depth=2
	s_xor_b32 s12, exec_lo, -1
; %bb.3172:                             ;   in Loop: Header=BB2_2631 Depth=2
	s_or_b32 exec_lo, exec_lo, s40
	s_and_b32 s12, s12, exec_lo
	s_or_saveexec_b32 s29, s29
	v_mov_b32_e32 v103, 0x7f800001
	s_xor_b32 exec_lo, exec_lo, s29
	s_cbranch_execnz .LBB2_3276
.LBB2_3173:                             ;   in Loop: Header=BB2_2631 Depth=2
	s_or_b32 exec_lo, exec_lo, s29
	s_and_saveexec_b32 s29, s12
	s_cbranch_execz .LBB2_3175
.LBB2_3174:                             ;   in Loop: Header=BB2_2631 Depth=2
	v_and_b32_sdwa v103, v13, v84 dst_sel:DWORD dst_unused:UNUSED_PAD src0_sel:BYTE_3 src1_sel:DWORD
	v_bfe_u32 v43, v13, 27, 4
	v_ffbh_u32_e32 v40, v103
	v_cmp_eq_u32_e32 vcc_lo, 0, v43
	v_min_u32_e32 v40, 32, v40
	v_subrev_nc_u32_e32 v42, 28, v40
	v_sub_nc_u32_e32 v40, 29, v40
	v_lshlrev_b32_sdwa v42, v42, v13 dst_sel:DWORD dst_unused:UNUSED_PAD src0_sel:DWORD src1_sel:BYTE_3
	v_cndmask_b32_e32 v40, v43, v40, vcc_lo
	v_and_b32_e32 v13, 0x80000000, v13
	v_and_b32_e32 v42, 7, v42
	v_lshl_add_u32 v40, v40, 23, 0x3b800000
	v_cndmask_b32_e32 v103, v103, v42, vcc_lo
	v_lshlrev_b32_e32 v103, 20, v103
	v_or3_b32 v103, v13, v40, v103
.LBB2_3175:                             ;   in Loop: Header=BB2_2631 Depth=2
	s_or_b32 exec_lo, exec_lo, s29
	v_add_f32_e32 v13, v113, v103
	v_and_b32_e32 v103, 0x7f800000, v13
	v_cmp_ne_u32_e32 vcc_lo, 0x7f800000, v103
	v_mov_b32_e32 v103, 0x8000
	s_and_saveexec_b32 s29, vcc_lo
	s_cbranch_execz .LBB2_2630
; %bb.3176:                             ;   in Loop: Header=BB2_2631 Depth=2
	v_mov_b32_e32 v103, 0
	s_mov_b32 s40, exec_lo
	v_cmpx_ne_u32_e32 0, v13
	s_cbranch_execz .LBB2_2629
; %bb.3177:                             ;   in Loop: Header=BB2_2631 Depth=2
	v_bfe_u32 v103, v13, 23, 8
	v_and_b32_e32 v113, 0x7fffff, v13
	v_sub_nc_u32_e32 v40, 0x78, v103
	v_cmp_gt_u32_e32 vcc_lo, 0x79, v103
	v_or_b32_e32 v42, 0x800000, v113
	v_cndmask_b32_e32 v40, 0, v40, vcc_lo
	v_cmp_eq_u32_e32 vcc_lo, 0, v103
	v_add_nc_u32_e32 v103, 0xffffff89, v103
	v_cndmask_b32_e64 v40, v40, 0x77, vcc_lo
	v_cndmask_b32_e32 v113, v42, v113, vcc_lo
	v_cndmask_b32_e64 v103, v103, 0xffffff8a, vcc_lo
	v_lshl_add_u32 v42, 0x100000, v40, -1
	v_lshrrev_b32_e32 v43, v40, v113
	v_lshlrev_b32_e64 v45, v40, 0x80000
	v_add_nc_u32_e32 v40, v40, v103
	v_and_b32_e32 v113, v42, v113
	v_bfe_u32 v44, v43, 20, 1
	v_cmp_eq_u32_e64 s12, v113, v45
	v_add_nc_u32_e32 v42, -1, v44
	v_cndmask_b32_e64 v113, 0, v42, s12
	v_lshrrev_b32_e32 v42, 23, v43
	s_mov_b32 s12, exec_lo
	v_add_nc_u32_e32 v113, v113, v43
	v_xor_b32_e32 v42, 1, v42
	v_and_b32_e32 v103, 0xfffff, v113
	v_add_nc_u32_e32 v113, v103, v43
                                        ; implicit-def: $vgpr103
	v_cmpx_ne_u32_e64 v40, v42
	s_xor_b32 s12, exec_lo, s12
; %bb.3178:                             ;   in Loop: Header=BB2_2631 Depth=2
	v_cmp_lt_u32_e32 vcc_lo, 0xffffff, v113
	v_sub_nc_u32_e32 v103, v40, v42
	v_cndmask_b32_e64 v40, 0, 1, vcc_lo
	v_add_co_ci_u32_e64 v103, null, 0, v103, vcc_lo
	v_lshrrev_b32_e32 v113, v40, v113
; %bb.3179:                             ;   in Loop: Header=BB2_2631 Depth=2
	s_andn2_saveexec_b32 s12, s12
	s_cbranch_execz .LBB2_2628
; %bb.3180:                             ;   in Loop: Header=BB2_2631 Depth=2
	v_bfe_u32 v103, v113, 23, 1
	s_branch .LBB2_2628
.LBB2_3181:                             ;   in Loop: Header=BB2_2631 Depth=2
	s_or_saveexec_b32 s40, s40
	v_mov_b32_e32 v99, 0x7f800001
	s_xor_b32 exec_lo, exec_lo, s40
	s_cbranch_execz .LBB2_2643
.LBB2_3182:                             ;   in Loop: Header=BB2_2631 Depth=2
	v_cmp_ne_u16_sdwa s41, v10, v29 src0_sel:BYTE_0 src1_sel:DWORD
	v_mov_b32_e32 v99, 0
	s_andn2_b32 s12, s12, exec_lo
	s_and_b32 s41, s41, exec_lo
	s_or_b32 s12, s12, s41
	s_or_b32 exec_lo, exec_lo, s40
	s_and_saveexec_b32 s40, s12
	s_cbranch_execnz .LBB2_2644
	s_branch .LBB2_2645
.LBB2_3183:                             ;   in Loop: Header=BB2_2631 Depth=2
	s_or_saveexec_b32 s40, s40
	v_mov_b32_e32 v100, 0x7f800001
	s_xor_b32 exec_lo, exec_lo, s40
	s_cbranch_execz .LBB2_2657
.LBB2_3184:                             ;   in Loop: Header=BB2_2631 Depth=2
	v_cmp_ne_u16_sdwa s41, v10, v29 src0_sel:BYTE_1 src1_sel:DWORD
	v_mov_b32_e32 v100, 0
	s_andn2_b32 s12, s12, exec_lo
	s_and_b32 s41, s41, exec_lo
	s_or_b32 s12, s12, s41
	s_or_b32 exec_lo, exec_lo, s40
	s_and_saveexec_b32 s40, s12
	s_cbranch_execnz .LBB2_2658
	s_branch .LBB2_2659
.LBB2_3185:                             ;   in Loop: Header=BB2_2631 Depth=2
	s_or_saveexec_b32 s40, s40
	v_mov_b32_e32 v100, 0x7f800001
	s_xor_b32 exec_lo, exec_lo, s40
	s_cbranch_execz .LBB2_2671
.LBB2_3186:                             ;   in Loop: Header=BB2_2631 Depth=2
	v_cmp_ne_u16_e32 vcc_lo, 0, v101
	v_mov_b32_e32 v100, 0
	s_andn2_b32 s12, s12, exec_lo
	s_and_b32 s41, vcc_lo, exec_lo
	s_or_b32 s12, s12, s41
	s_or_b32 exec_lo, exec_lo, s40
	s_and_saveexec_b32 s40, s12
	s_cbranch_execnz .LBB2_2672
	s_branch .LBB2_2673
.LBB2_3187:                             ;   in Loop: Header=BB2_2631 Depth=2
	s_or_saveexec_b32 s40, s40
	v_mov_b32_e32 v100, 0x7f800001
	s_xor_b32 exec_lo, exec_lo, s40
	s_cbranch_execz .LBB2_2685
.LBB2_3188:                             ;   in Loop: Header=BB2_2631 Depth=2
	v_cmp_ne_u16_sdwa s41, v10, v29 src0_sel:BYTE_3 src1_sel:DWORD
	v_mov_b32_e32 v100, 0
	s_andn2_b32 s12, s12, exec_lo
	s_and_b32 s41, s41, exec_lo
	s_or_b32 s12, s12, s41
	s_or_b32 exec_lo, exec_lo, s40
	s_and_saveexec_b32 s40, s12
	s_cbranch_execnz .LBB2_2686
	s_branch .LBB2_2687
.LBB2_3189:                             ;   in Loop: Header=BB2_2631 Depth=2
	s_or_saveexec_b32 s40, s40
	v_mov_b32_e32 v10, 0x7f800001
	s_xor_b32 exec_lo, exec_lo, s40
	s_cbranch_execz .LBB2_2699
.LBB2_3190:                             ;   in Loop: Header=BB2_2631 Depth=2
	v_cmp_ne_u16_sdwa s41, v11, v29 src0_sel:BYTE_0 src1_sel:DWORD
	v_mov_b32_e32 v10, 0
	s_andn2_b32 s12, s12, exec_lo
	s_and_b32 s41, s41, exec_lo
	s_or_b32 s12, s12, s41
	s_or_b32 exec_lo, exec_lo, s40
	s_and_saveexec_b32 s40, s12
	s_cbranch_execnz .LBB2_2700
	s_branch .LBB2_2701
.LBB2_3191:                             ;   in Loop: Header=BB2_2631 Depth=2
	s_or_saveexec_b32 s40, s40
	v_mov_b32_e32 v10, 0x7f800001
	s_xor_b32 exec_lo, exec_lo, s40
	s_cbranch_execz .LBB2_2713
.LBB2_3192:                             ;   in Loop: Header=BB2_2631 Depth=2
	v_cmp_ne_u16_sdwa s41, v11, v29 src0_sel:BYTE_1 src1_sel:DWORD
	v_mov_b32_e32 v10, 0
	s_andn2_b32 s12, s12, exec_lo
	s_and_b32 s41, s41, exec_lo
	s_or_b32 s12, s12, s41
	s_or_b32 exec_lo, exec_lo, s40
	s_and_saveexec_b32 s40, s12
	s_cbranch_execnz .LBB2_2714
	s_branch .LBB2_2715
.LBB2_3193:                             ;   in Loop: Header=BB2_2631 Depth=2
	s_or_saveexec_b32 s40, s40
	v_mov_b32_e32 v10, 0x7f800001
	s_xor_b32 exec_lo, exec_lo, s40
	s_cbranch_execz .LBB2_2727
.LBB2_3194:                             ;   in Loop: Header=BB2_2631 Depth=2
	v_cmp_ne_u16_e32 vcc_lo, 0, v100
	v_mov_b32_e32 v10, 0
	s_andn2_b32 s12, s12, exec_lo
	s_and_b32 s41, vcc_lo, exec_lo
	s_or_b32 s12, s12, s41
	s_or_b32 exec_lo, exec_lo, s40
	s_and_saveexec_b32 s40, s12
	s_cbranch_execnz .LBB2_2728
	s_branch .LBB2_2729
.LBB2_3195:                             ;   in Loop: Header=BB2_2631 Depth=2
	s_or_saveexec_b32 s40, s40
	v_mov_b32_e32 v10, 0x7f800001
	s_xor_b32 exec_lo, exec_lo, s40
	s_cbranch_execz .LBB2_2741
.LBB2_3196:                             ;   in Loop: Header=BB2_2631 Depth=2
	v_cmp_ne_u16_sdwa s41, v11, v29 src0_sel:BYTE_3 src1_sel:DWORD
	v_mov_b32_e32 v10, 0
	s_andn2_b32 s12, s12, exec_lo
	s_and_b32 s41, s41, exec_lo
	s_or_b32 s12, s12, s41
	s_or_b32 exec_lo, exec_lo, s40
	s_and_saveexec_b32 s40, s12
	s_cbranch_execnz .LBB2_2742
	s_branch .LBB2_2743
.LBB2_3197:                             ;   in Loop: Header=BB2_2631 Depth=2
	s_or_saveexec_b32 s40, s40
	v_mov_b32_e32 v10, 0x7f800001
	s_xor_b32 exec_lo, exec_lo, s40
	s_cbranch_execz .LBB2_2755
.LBB2_3198:                             ;   in Loop: Header=BB2_2631 Depth=2
	v_cmp_ne_u16_sdwa s41, v12, v29 src0_sel:BYTE_0 src1_sel:DWORD
	v_mov_b32_e32 v10, 0
	s_andn2_b32 s12, s12, exec_lo
	s_and_b32 s41, s41, exec_lo
	s_or_b32 s12, s12, s41
	s_or_b32 exec_lo, exec_lo, s40
	s_and_saveexec_b32 s40, s12
	s_cbranch_execnz .LBB2_2756
	s_branch .LBB2_2757
.LBB2_3199:                             ;   in Loop: Header=BB2_2631 Depth=2
	s_or_saveexec_b32 s40, s40
	v_mov_b32_e32 v10, 0x7f800001
	s_xor_b32 exec_lo, exec_lo, s40
	s_cbranch_execz .LBB2_2769
.LBB2_3200:                             ;   in Loop: Header=BB2_2631 Depth=2
	v_cmp_ne_u16_sdwa s41, v12, v29 src0_sel:BYTE_1 src1_sel:DWORD
	v_mov_b32_e32 v10, 0
	s_andn2_b32 s12, s12, exec_lo
	s_and_b32 s41, s41, exec_lo
	s_or_b32 s12, s12, s41
	s_or_b32 exec_lo, exec_lo, s40
	s_and_saveexec_b32 s40, s12
	s_cbranch_execnz .LBB2_2770
	s_branch .LBB2_2771
.LBB2_3201:                             ;   in Loop: Header=BB2_2631 Depth=2
	s_or_saveexec_b32 s40, s40
	v_mov_b32_e32 v10, 0x7f800001
	s_xor_b32 exec_lo, exec_lo, s40
	s_cbranch_execz .LBB2_2783
.LBB2_3202:                             ;   in Loop: Header=BB2_2631 Depth=2
	v_cmp_ne_u16_e32 vcc_lo, 0, v11
	v_mov_b32_e32 v10, 0
	s_andn2_b32 s12, s12, exec_lo
	s_and_b32 s41, vcc_lo, exec_lo
	s_or_b32 s12, s12, s41
	s_or_b32 exec_lo, exec_lo, s40
	s_and_saveexec_b32 s40, s12
	s_cbranch_execnz .LBB2_2784
	s_branch .LBB2_2785
.LBB2_3203:                             ;   in Loop: Header=BB2_2631 Depth=2
	s_or_saveexec_b32 s40, s40
	v_mov_b32_e32 v10, 0x7f800001
	s_xor_b32 exec_lo, exec_lo, s40
	s_cbranch_execz .LBB2_2797
.LBB2_3204:                             ;   in Loop: Header=BB2_2631 Depth=2
	v_cmp_ne_u16_sdwa s41, v12, v29 src0_sel:BYTE_3 src1_sel:DWORD
	v_mov_b32_e32 v10, 0
	s_andn2_b32 s12, s12, exec_lo
	s_and_b32 s41, s41, exec_lo
	s_or_b32 s12, s12, s41
	s_or_b32 exec_lo, exec_lo, s40
	s_and_saveexec_b32 s40, s12
	s_cbranch_execnz .LBB2_2798
	s_branch .LBB2_2799
.LBB2_3205:                             ;   in Loop: Header=BB2_2631 Depth=2
	s_or_saveexec_b32 s40, s40
	v_mov_b32_e32 v10, 0x7f800001
	s_xor_b32 exec_lo, exec_lo, s40
	s_cbranch_execz .LBB2_2811
.LBB2_3206:                             ;   in Loop: Header=BB2_2631 Depth=2
	v_cmp_ne_u16_sdwa s41, v13, v29 src0_sel:BYTE_0 src1_sel:DWORD
	v_mov_b32_e32 v10, 0
	s_andn2_b32 s12, s12, exec_lo
	s_and_b32 s41, s41, exec_lo
	s_or_b32 s12, s12, s41
	s_or_b32 exec_lo, exec_lo, s40
	s_and_saveexec_b32 s40, s12
	s_cbranch_execnz .LBB2_2812
	s_branch .LBB2_2813
.LBB2_3207:                             ;   in Loop: Header=BB2_2631 Depth=2
	s_or_saveexec_b32 s40, s40
	v_mov_b32_e32 v10, 0x7f800001
	s_xor_b32 exec_lo, exec_lo, s40
	s_cbranch_execz .LBB2_2825
.LBB2_3208:                             ;   in Loop: Header=BB2_2631 Depth=2
	v_cmp_ne_u16_sdwa s41, v13, v29 src0_sel:BYTE_1 src1_sel:DWORD
	v_mov_b32_e32 v10, 0
	s_andn2_b32 s12, s12, exec_lo
	s_and_b32 s41, s41, exec_lo
	s_or_b32 s12, s12, s41
	s_or_b32 exec_lo, exec_lo, s40
	s_and_saveexec_b32 s40, s12
	s_cbranch_execnz .LBB2_2826
	s_branch .LBB2_2827
.LBB2_3209:                             ;   in Loop: Header=BB2_2631 Depth=2
	s_or_saveexec_b32 s40, s40
	v_mov_b32_e32 v10, 0x7f800001
	s_xor_b32 exec_lo, exec_lo, s40
	s_cbranch_execz .LBB2_2839
.LBB2_3210:                             ;   in Loop: Header=BB2_2631 Depth=2
	v_cmp_ne_u16_e32 vcc_lo, 0, v11
	v_mov_b32_e32 v10, 0
	s_andn2_b32 s12, s12, exec_lo
	s_and_b32 s41, vcc_lo, exec_lo
	s_or_b32 s12, s12, s41
	s_or_b32 exec_lo, exec_lo, s40
	s_and_saveexec_b32 s40, s12
	s_cbranch_execnz .LBB2_2840
	s_branch .LBB2_2841
.LBB2_3211:                             ;   in Loop: Header=BB2_2631 Depth=2
	s_or_saveexec_b32 s40, s40
	v_mov_b32_e32 v10, 0x7f800001
	s_xor_b32 exec_lo, exec_lo, s40
	s_cbranch_execz .LBB2_2853
.LBB2_3212:                             ;   in Loop: Header=BB2_2631 Depth=2
	v_cmp_ne_u16_sdwa s41, v13, v29 src0_sel:BYTE_3 src1_sel:DWORD
	v_mov_b32_e32 v10, 0
	s_andn2_b32 s12, s12, exec_lo
	s_and_b32 s41, s41, exec_lo
	s_or_b32 s12, s12, s41
	s_or_b32 exec_lo, exec_lo, s40
	s_and_saveexec_b32 s40, s12
	s_cbranch_execnz .LBB2_2854
	s_branch .LBB2_2855
.LBB2_3213:                             ;   in Loop: Header=BB2_2631 Depth=2
	s_or_saveexec_b32 s29, s29
	v_mov_b32_e32 v99, 0x7f800001
	s_xor_b32 exec_lo, exec_lo, s29
	s_cbranch_execz .LBB2_2867
.LBB2_3214:                             ;   in Loop: Header=BB2_2631 Depth=2
	v_cmp_ne_u16_sdwa s40, v43, v29 src0_sel:BYTE_0 src1_sel:DWORD
	v_mov_b32_e32 v99, 0
	s_andn2_b32 s12, s12, exec_lo
	s_and_b32 s40, s40, exec_lo
	s_or_b32 s12, s12, s40
	s_or_b32 exec_lo, exec_lo, s29
	s_and_saveexec_b32 s29, s12
	s_cbranch_execnz .LBB2_2868
	s_branch .LBB2_2869
.LBB2_3215:                             ;   in Loop: Header=BB2_2631 Depth=2
	s_or_saveexec_b32 s29, s29
	v_mov_b32_e32 v102, 0x7f800001
	s_xor_b32 exec_lo, exec_lo, s29
	s_cbranch_execz .LBB2_2873
.LBB2_3216:                             ;   in Loop: Header=BB2_2631 Depth=2
	v_cmp_ne_u16_sdwa s40, v10, v29 src0_sel:BYTE_0 src1_sel:DWORD
	v_mov_b32_e32 v102, 0
	s_andn2_b32 s12, s12, exec_lo
	s_and_b32 s40, s40, exec_lo
	s_or_b32 s12, s12, s40
	s_or_b32 exec_lo, exec_lo, s29
	s_and_saveexec_b32 s29, s12
	s_cbranch_execnz .LBB2_2874
	s_branch .LBB2_2875
.LBB2_3217:                             ;   in Loop: Header=BB2_2631 Depth=2
	s_or_saveexec_b32 s29, s29
	v_mov_b32_e32 v102, 0x7f800001
	s_xor_b32 exec_lo, exec_lo, s29
	s_cbranch_execz .LBB2_2887
.LBB2_3218:                             ;   in Loop: Header=BB2_2631 Depth=2
	v_cmp_ne_u16_sdwa s40, v43, v29 src0_sel:BYTE_1 src1_sel:DWORD
	v_mov_b32_e32 v102, 0
	s_andn2_b32 s12, s12, exec_lo
	s_and_b32 s40, s40, exec_lo
	s_or_b32 s12, s12, s40
	s_or_b32 exec_lo, exec_lo, s29
	s_and_saveexec_b32 s29, s12
	s_cbranch_execnz .LBB2_2888
	s_branch .LBB2_2889
.LBB2_3219:                             ;   in Loop: Header=BB2_2631 Depth=2
	s_or_saveexec_b32 s29, s29
	v_mov_b32_e32 v44, 0x7f800001
	s_xor_b32 exec_lo, exec_lo, s29
	s_cbranch_execz .LBB2_2893
.LBB2_3220:                             ;   in Loop: Header=BB2_2631 Depth=2
	v_cmp_ne_u16_sdwa s40, v10, v29 src0_sel:BYTE_1 src1_sel:DWORD
	v_mov_b32_e32 v44, 0
	s_andn2_b32 s12, s12, exec_lo
	s_and_b32 s40, s40, exec_lo
	s_or_b32 s12, s12, s40
	s_or_b32 exec_lo, exec_lo, s29
	s_and_saveexec_b32 s29, s12
	s_cbranch_execnz .LBB2_2894
	s_branch .LBB2_2895
.LBB2_3221:                             ;   in Loop: Header=BB2_2631 Depth=2
	s_or_saveexec_b32 s29, s29
	v_mov_b32_e32 v115, 0x7f800001
	s_xor_b32 exec_lo, exec_lo, s29
	s_cbranch_execz .LBB2_2907
.LBB2_3222:                             ;   in Loop: Header=BB2_2631 Depth=2
	v_cmp_ne_u16_sdwa s40, v42, v29 src0_sel:BYTE_0 src1_sel:DWORD
	v_mov_b32_e32 v115, 0
	s_andn2_b32 s12, s12, exec_lo
	s_and_b32 s40, s40, exec_lo
	s_or_b32 s12, s12, s40
	s_or_b32 exec_lo, exec_lo, s29
	v_lshl_or_b32 v42, v42, 16, v43
	s_and_saveexec_b32 s29, s12
	s_cbranch_execnz .LBB2_2908
	s_branch .LBB2_2909
.LBB2_3223:                             ;   in Loop: Header=BB2_2631 Depth=2
	s_or_saveexec_b32 s29, s29
	v_mov_b32_e32 v43, 0x7f800001
	s_xor_b32 exec_lo, exec_lo, s29
	s_cbranch_execz .LBB2_2913
.LBB2_3224:                             ;   in Loop: Header=BB2_2631 Depth=2
	v_cmp_ne_u16_e32 vcc_lo, 0, v44
	v_mov_b32_e32 v43, 0
	s_andn2_b32 s12, s12, exec_lo
	s_and_b32 s40, vcc_lo, exec_lo
	s_or_b32 s12, s12, s40
	s_or_b32 exec_lo, exec_lo, s29
	s_and_saveexec_b32 s29, s12
	s_cbranch_execnz .LBB2_2914
	s_branch .LBB2_2915
.LBB2_3225:                             ;   in Loop: Header=BB2_2631 Depth=2
	s_or_saveexec_b32 s29, s29
	v_mov_b32_e32 v43, 0x7f800001
	s_xor_b32 exec_lo, exec_lo, s29
	s_cbranch_execz .LBB2_2927
.LBB2_3226:                             ;   in Loop: Header=BB2_2631 Depth=2
	v_cmp_ne_u16_sdwa s40, v42, v29 src0_sel:BYTE_3 src1_sel:DWORD
	v_mov_b32_e32 v43, 0
	s_andn2_b32 s12, s12, exec_lo
	s_and_b32 s40, s40, exec_lo
	s_or_b32 s12, s12, s40
	s_or_b32 exec_lo, exec_lo, s29
	s_and_saveexec_b32 s29, s12
	s_cbranch_execnz .LBB2_2928
	s_branch .LBB2_2929
.LBB2_3227:                             ;   in Loop: Header=BB2_2631 Depth=2
	s_or_saveexec_b32 s29, s29
	v_mov_b32_e32 v42, 0x7f800001
	s_xor_b32 exec_lo, exec_lo, s29
	s_cbranch_execz .LBB2_2933
.LBB2_3228:                             ;   in Loop: Header=BB2_2631 Depth=2
	v_cmp_ne_u16_sdwa s40, v10, v29 src0_sel:BYTE_3 src1_sel:DWORD
	v_mov_b32_e32 v42, 0
	s_andn2_b32 s12, s12, exec_lo
	s_and_b32 s40, s40, exec_lo
	s_or_b32 s12, s12, s40
	s_or_b32 exec_lo, exec_lo, s29
	s_and_saveexec_b32 s29, s12
	s_cbranch_execnz .LBB2_2934
	s_branch .LBB2_2935
.LBB2_3229:                             ;   in Loop: Header=BB2_2631 Depth=2
	s_or_saveexec_b32 s29, s29
	v_mov_b32_e32 v119, 0x7f800001
	s_xor_b32 exec_lo, exec_lo, s29
	s_cbranch_execz .LBB2_2947
.LBB2_3230:                             ;   in Loop: Header=BB2_2631 Depth=2
	v_cmp_ne_u16_sdwa s40, v42, v29 src0_sel:BYTE_0 src1_sel:DWORD
	v_mov_b32_e32 v119, 0
	s_andn2_b32 s12, s12, exec_lo
	s_and_b32 s40, s40, exec_lo
	s_or_b32 s12, s12, s40
	s_or_b32 exec_lo, exec_lo, s29
	s_and_saveexec_b32 s29, s12
	s_cbranch_execnz .LBB2_2948
	s_branch .LBB2_2949
.LBB2_3231:                             ;   in Loop: Header=BB2_2631 Depth=2
	s_or_saveexec_b32 s29, s29
	v_mov_b32_e32 v41, 0x7f800001
	s_xor_b32 exec_lo, exec_lo, s29
	s_cbranch_execz .LBB2_2953
.LBB2_3232:                             ;   in Loop: Header=BB2_2631 Depth=2
	v_cmp_ne_u16_sdwa s40, v11, v29 src0_sel:BYTE_0 src1_sel:DWORD
	v_mov_b32_e32 v41, 0
	s_andn2_b32 s12, s12, exec_lo
	s_and_b32 s40, s40, exec_lo
	s_or_b32 s12, s12, s40
	s_or_b32 exec_lo, exec_lo, s29
	s_and_saveexec_b32 s29, s12
	s_cbranch_execnz .LBB2_2954
	s_branch .LBB2_2955
.LBB2_3233:                             ;   in Loop: Header=BB2_2631 Depth=2
	s_or_saveexec_b32 s29, s29
	v_mov_b32_e32 v41, 0x7f800001
	s_xor_b32 exec_lo, exec_lo, s29
	s_cbranch_execz .LBB2_2967
.LBB2_3234:                             ;   in Loop: Header=BB2_2631 Depth=2
	v_cmp_ne_u16_sdwa s40, v42, v29 src0_sel:BYTE_1 src1_sel:DWORD
	v_mov_b32_e32 v41, 0
	s_andn2_b32 s12, s12, exec_lo
	s_and_b32 s40, s40, exec_lo
	s_or_b32 s12, s12, s40
	s_or_b32 exec_lo, exec_lo, s29
	s_and_saveexec_b32 s29, s12
	s_cbranch_execnz .LBB2_2968
	s_branch .LBB2_2969
.LBB2_3235:                             ;   in Loop: Header=BB2_2631 Depth=2
	s_or_saveexec_b32 s29, s29
	v_mov_b32_e32 v43, 0x7f800001
	s_xor_b32 exec_lo, exec_lo, s29
	s_cbranch_execz .LBB2_2973
.LBB2_3236:                             ;   in Loop: Header=BB2_2631 Depth=2
	v_cmp_ne_u16_sdwa s40, v11, v29 src0_sel:BYTE_1 src1_sel:DWORD
	v_mov_b32_e32 v43, 0
	s_andn2_b32 s12, s12, exec_lo
	s_and_b32 s40, s40, exec_lo
	s_or_b32 s12, s12, s40
	s_or_b32 exec_lo, exec_lo, s29
	s_and_saveexec_b32 s29, s12
	s_cbranch_execnz .LBB2_2974
	s_branch .LBB2_2975
.LBB2_3237:                             ;   in Loop: Header=BB2_2631 Depth=2
	s_or_saveexec_b32 s29, s29
	v_mov_b32_e32 v117, 0x7f800001
	s_xor_b32 exec_lo, exec_lo, s29
	s_cbranch_execz .LBB2_2987
.LBB2_3238:                             ;   in Loop: Header=BB2_2631 Depth=2
	v_cmp_ne_u16_sdwa s40, v40, v29 src0_sel:BYTE_0 src1_sel:DWORD
	v_mov_b32_e32 v117, 0
	s_andn2_b32 s12, s12, exec_lo
	s_and_b32 s40, s40, exec_lo
	s_or_b32 s12, s12, s40
	s_or_b32 exec_lo, exec_lo, s29
	v_lshl_or_b32 v40, v40, 16, v42
	s_and_saveexec_b32 s29, s12
	s_cbranch_execnz .LBB2_2988
	s_branch .LBB2_2989
.LBB2_3239:                             ;   in Loop: Header=BB2_2631 Depth=2
	s_or_saveexec_b32 s29, s29
	v_mov_b32_e32 v42, 0x7f800001
	s_xor_b32 exec_lo, exec_lo, s29
	s_cbranch_execz .LBB2_2993
.LBB2_3240:                             ;   in Loop: Header=BB2_2631 Depth=2
	v_cmp_ne_u16_e32 vcc_lo, 0, v43
	v_mov_b32_e32 v42, 0
	s_andn2_b32 s12, s12, exec_lo
	s_and_b32 s40, vcc_lo, exec_lo
	s_or_b32 s12, s12, s40
	s_or_b32 exec_lo, exec_lo, s29
	s_and_saveexec_b32 s29, s12
	s_cbranch_execnz .LBB2_2994
	s_branch .LBB2_2995
.LBB2_3241:                             ;   in Loop: Header=BB2_2631 Depth=2
	s_or_saveexec_b32 s29, s29
	v_mov_b32_e32 v42, 0x7f800001
	s_xor_b32 exec_lo, exec_lo, s29
	s_cbranch_execz .LBB2_3007
.LBB2_3242:                             ;   in Loop: Header=BB2_2631 Depth=2
	v_cmp_ne_u16_sdwa s40, v40, v29 src0_sel:BYTE_3 src1_sel:DWORD
	v_mov_b32_e32 v42, 0
	s_andn2_b32 s12, s12, exec_lo
	s_and_b32 s40, s40, exec_lo
	s_or_b32 s12, s12, s40
	s_or_b32 exec_lo, exec_lo, s29
	s_and_saveexec_b32 s29, s12
	s_cbranch_execnz .LBB2_3008
	s_branch .LBB2_3009
.LBB2_3243:                             ;   in Loop: Header=BB2_2631 Depth=2
	s_or_saveexec_b32 s29, s29
	v_mov_b32_e32 v40, 0x7f800001
	s_xor_b32 exec_lo, exec_lo, s29
	s_cbranch_execz .LBB2_3013
.LBB2_3244:                             ;   in Loop: Header=BB2_2631 Depth=2
	v_cmp_ne_u16_sdwa s40, v11, v29 src0_sel:BYTE_3 src1_sel:DWORD
	v_mov_b32_e32 v40, 0
	s_andn2_b32 s12, s12, exec_lo
	s_and_b32 s40, s40, exec_lo
	s_or_b32 s12, s12, s40
	s_or_b32 exec_lo, exec_lo, s29
	s_and_saveexec_b32 s29, s12
	s_cbranch_execnz .LBB2_3014
	s_branch .LBB2_3015
.LBB2_3245:                             ;   in Loop: Header=BB2_2631 Depth=2
	s_or_saveexec_b32 s29, s29
	v_mov_b32_e32 v114, 0x7f800001
	s_xor_b32 exec_lo, exec_lo, s29
	s_cbranch_execz .LBB2_3027
.LBB2_3246:                             ;   in Loop: Header=BB2_2631 Depth=2
	v_cmp_ne_u16_sdwa s40, v40, v29 src0_sel:BYTE_0 src1_sel:DWORD
	v_mov_b32_e32 v114, 0
	s_andn2_b32 s12, s12, exec_lo
	s_and_b32 s40, s40, exec_lo
	s_or_b32 s12, s12, s40
	s_or_b32 exec_lo, exec_lo, s29
	s_and_saveexec_b32 s29, s12
	s_cbranch_execnz .LBB2_3028
	s_branch .LBB2_3029
.LBB2_3247:                             ;   in Loop: Header=BB2_2631 Depth=2
	s_or_saveexec_b32 s29, s29
	v_mov_b32_e32 v118, 0x7f800001
	s_xor_b32 exec_lo, exec_lo, s29
	s_cbranch_execz .LBB2_3033
.LBB2_3248:                             ;   in Loop: Header=BB2_2631 Depth=2
	v_cmp_ne_u16_sdwa s40, v12, v29 src0_sel:BYTE_0 src1_sel:DWORD
	v_mov_b32_e32 v118, 0
	s_andn2_b32 s12, s12, exec_lo
	s_and_b32 s40, s40, exec_lo
	s_or_b32 s12, s12, s40
	s_or_b32 exec_lo, exec_lo, s29
	s_and_saveexec_b32 s29, s12
	s_cbranch_execnz .LBB2_3034
	s_branch .LBB2_3035
.LBB2_3249:                             ;   in Loop: Header=BB2_2631 Depth=2
	s_or_saveexec_b32 s29, s29
	v_mov_b32_e32 v118, 0x7f800001
	s_xor_b32 exec_lo, exec_lo, s29
	s_cbranch_execz .LBB2_3047
.LBB2_3250:                             ;   in Loop: Header=BB2_2631 Depth=2
	v_cmp_ne_u16_sdwa s40, v40, v29 src0_sel:BYTE_1 src1_sel:DWORD
	v_mov_b32_e32 v118, 0
	s_andn2_b32 s12, s12, exec_lo
	s_and_b32 s40, s40, exec_lo
	s_or_b32 s12, s12, s40
	s_or_b32 exec_lo, exec_lo, s29
	s_and_saveexec_b32 s29, s12
	s_cbranch_execnz .LBB2_3048
	s_branch .LBB2_3049
.LBB2_3251:                             ;   in Loop: Header=BB2_2631 Depth=2
	s_or_saveexec_b32 s29, s29
	v_mov_b32_e32 v42, 0x7f800001
	s_xor_b32 exec_lo, exec_lo, s29
	s_cbranch_execz .LBB2_3053
.LBB2_3252:                             ;   in Loop: Header=BB2_2631 Depth=2
	v_cmp_ne_u16_sdwa s40, v12, v29 src0_sel:BYTE_1 src1_sel:DWORD
	v_mov_b32_e32 v42, 0
	s_andn2_b32 s12, s12, exec_lo
	s_and_b32 s40, s40, exec_lo
	s_or_b32 s12, s12, s40
	s_or_b32 exec_lo, exec_lo, s29
	s_and_saveexec_b32 s29, s12
	s_cbranch_execnz .LBB2_3054
	s_branch .LBB2_3055
.LBB2_3253:                             ;   in Loop: Header=BB2_2631 Depth=2
	s_or_saveexec_b32 s29, s29
	v_mov_b32_e32 v112, 0x7f800001
	s_xor_b32 exec_lo, exec_lo, s29
	s_cbranch_execz .LBB2_3067
.LBB2_3254:                             ;   in Loop: Header=BB2_2631 Depth=2
	v_cmp_ne_u16_sdwa s40, v116, v29 src0_sel:BYTE_0 src1_sel:DWORD
	v_mov_b32_e32 v112, 0
	s_andn2_b32 s12, s12, exec_lo
	s_and_b32 s40, s40, exec_lo
	s_or_b32 s12, s12, s40
	s_or_b32 exec_lo, exec_lo, s29
	v_lshl_or_b32 v116, v116, 16, v40
	s_and_saveexec_b32 s29, s12
	s_cbranch_execnz .LBB2_3068
	s_branch .LBB2_3069
.LBB2_3255:                             ;   in Loop: Header=BB2_2631 Depth=2
	s_or_saveexec_b32 s29, s29
	v_mov_b32_e32 v40, 0x7f800001
	s_xor_b32 exec_lo, exec_lo, s29
	s_cbranch_execz .LBB2_3073
.LBB2_3256:                             ;   in Loop: Header=BB2_2631 Depth=2
	v_cmp_ne_u16_e32 vcc_lo, 0, v42
	v_mov_b32_e32 v40, 0
	s_andn2_b32 s12, s12, exec_lo
	s_and_b32 s40, vcc_lo, exec_lo
	s_or_b32 s12, s12, s40
	s_or_b32 exec_lo, exec_lo, s29
	s_and_saveexec_b32 s29, s12
	s_cbranch_execnz .LBB2_3074
	s_branch .LBB2_3075
.LBB2_3257:                             ;   in Loop: Header=BB2_2631 Depth=2
	s_or_saveexec_b32 s29, s29
	v_mov_b32_e32 v40, 0x7f800001
	s_xor_b32 exec_lo, exec_lo, s29
	s_cbranch_execz .LBB2_3087
.LBB2_3258:                             ;   in Loop: Header=BB2_2631 Depth=2
	v_cmp_ne_u16_sdwa s40, v116, v29 src0_sel:BYTE_3 src1_sel:DWORD
	v_mov_b32_e32 v40, 0
	s_andn2_b32 s12, s12, exec_lo
	s_and_b32 s40, s40, exec_lo
	s_or_b32 s12, s12, s40
	s_or_b32 exec_lo, exec_lo, s29
	s_and_saveexec_b32 s29, s12
	s_cbranch_execnz .LBB2_3088
	s_branch .LBB2_3089
.LBB2_3259:                             ;   in Loop: Header=BB2_2631 Depth=2
	s_or_saveexec_b32 s29, s29
	v_mov_b32_e32 v116, 0x7f800001
	s_xor_b32 exec_lo, exec_lo, s29
	s_cbranch_execz .LBB2_3093
.LBB2_3260:                             ;   in Loop: Header=BB2_2631 Depth=2
	v_cmp_ne_u16_sdwa s40, v12, v29 src0_sel:BYTE_3 src1_sel:DWORD
	v_mov_b32_e32 v116, 0
	s_andn2_b32 s12, s12, exec_lo
	s_and_b32 s40, s40, exec_lo
	s_or_b32 s12, s12, s40
	s_or_b32 exec_lo, exec_lo, s29
	s_and_saveexec_b32 s29, s12
	s_cbranch_execnz .LBB2_3094
	s_branch .LBB2_3095
.LBB2_3261:                             ;   in Loop: Header=BB2_2631 Depth=2
	s_or_saveexec_b32 s29, s29
	v_mov_b32_e32 v101, 0x7f800001
	s_xor_b32 exec_lo, exec_lo, s29
	s_cbranch_execz .LBB2_3107
.LBB2_3262:                             ;   in Loop: Header=BB2_2631 Depth=2
	v_cmp_ne_u16_sdwa s40, v113, v29 src0_sel:BYTE_0 src1_sel:DWORD
	v_mov_b32_e32 v101, 0
	s_andn2_b32 s12, s12, exec_lo
	s_and_b32 s40, s40, exec_lo
	s_or_b32 s12, s12, s40
	s_or_b32 exec_lo, exec_lo, s29
	s_and_saveexec_b32 s29, s12
	s_cbranch_execnz .LBB2_3108
	s_branch .LBB2_3109
.LBB2_3263:                             ;   in Loop: Header=BB2_2631 Depth=2
	s_or_saveexec_b32 s29, s29
	v_mov_b32_e32 v116, 0x7f800001
	s_xor_b32 exec_lo, exec_lo, s29
	s_cbranch_execz .LBB2_3113
.LBB2_3264:                             ;   in Loop: Header=BB2_2631 Depth=2
	v_cmp_ne_u16_sdwa s40, v13, v29 src0_sel:BYTE_0 src1_sel:DWORD
	v_mov_b32_e32 v116, 0
	s_andn2_b32 s12, s12, exec_lo
	s_and_b32 s40, s40, exec_lo
	s_or_b32 s12, s12, s40
	s_or_b32 exec_lo, exec_lo, s29
	s_and_saveexec_b32 s29, s12
	s_cbranch_execnz .LBB2_3114
	s_branch .LBB2_3115
.LBB2_3265:                             ;   in Loop: Header=BB2_2631 Depth=2
	s_or_saveexec_b32 s29, s29
	v_mov_b32_e32 v116, 0x7f800001
	s_xor_b32 exec_lo, exec_lo, s29
	s_cbranch_execz .LBB2_3127
.LBB2_3266:                             ;   in Loop: Header=BB2_2631 Depth=2
	v_cmp_ne_u16_sdwa s40, v113, v29 src0_sel:BYTE_1 src1_sel:DWORD
	v_mov_b32_e32 v116, 0
	s_andn2_b32 s12, s12, exec_lo
	s_and_b32 s40, s40, exec_lo
	s_or_b32 s12, s12, s40
	s_or_b32 exec_lo, exec_lo, s29
	s_and_saveexec_b32 s29, s12
	s_cbranch_execnz .LBB2_3128
	s_branch .LBB2_3129
.LBB2_3267:                             ;   in Loop: Header=BB2_2631 Depth=2
	s_or_saveexec_b32 s29, s29
	v_mov_b32_e32 v40, 0x7f800001
	s_xor_b32 exec_lo, exec_lo, s29
	s_cbranch_execz .LBB2_3133
.LBB2_3268:                             ;   in Loop: Header=BB2_2631 Depth=2
	v_cmp_ne_u16_sdwa s40, v13, v29 src0_sel:BYTE_1 src1_sel:DWORD
	v_mov_b32_e32 v40, 0
	s_andn2_b32 s12, s12, exec_lo
	s_and_b32 s40, s40, exec_lo
	s_or_b32 s12, s12, s40
	s_or_b32 exec_lo, exec_lo, s29
	s_and_saveexec_b32 s29, s12
	s_cbranch_execnz .LBB2_3134
	s_branch .LBB2_3135
.LBB2_3269:                             ;   in Loop: Header=BB2_2631 Depth=2
	s_or_saveexec_b32 s29, s29
	v_mov_b32_e32 v100, 0x7f800001
	s_xor_b32 exec_lo, exec_lo, s29
	s_cbranch_execz .LBB2_3147
.LBB2_3270:                             ;   in Loop: Header=BB2_2631 Depth=2
	v_cmp_ne_u16_sdwa s40, v103, v29 src0_sel:BYTE_0 src1_sel:DWORD
	v_mov_b32_e32 v100, 0
	s_andn2_b32 s12, s12, exec_lo
	s_and_b32 s40, s40, exec_lo
	s_or_b32 s12, s12, s40
	s_or_b32 exec_lo, exec_lo, s29
	v_lshl_or_b32 v103, v103, 16, v113
	s_and_saveexec_b32 s29, s12
	s_cbranch_execnz .LBB2_3148
	s_branch .LBB2_3149
.LBB2_3271:                             ;   in Loop: Header=BB2_2631 Depth=2
	s_or_saveexec_b32 s29, s29
	v_mov_b32_e32 v113, 0x7f800001
	s_xor_b32 exec_lo, exec_lo, s29
	s_cbranch_execz .LBB2_3153
.LBB2_3272:                             ;   in Loop: Header=BB2_2631 Depth=2
	v_cmp_ne_u16_e32 vcc_lo, 0, v40
	v_mov_b32_e32 v113, 0
	s_andn2_b32 s12, s12, exec_lo
	s_and_b32 s40, vcc_lo, exec_lo
	s_or_b32 s12, s12, s40
	s_or_b32 exec_lo, exec_lo, s29
	s_and_saveexec_b32 s29, s12
	s_cbranch_execnz .LBB2_3154
	s_branch .LBB2_3155
.LBB2_3273:                             ;   in Loop: Header=BB2_2631 Depth=2
	s_or_saveexec_b32 s29, s29
	v_mov_b32_e32 v113, 0x7f800001
	s_xor_b32 exec_lo, exec_lo, s29
	s_cbranch_execz .LBB2_3167
.LBB2_3274:                             ;   in Loop: Header=BB2_2631 Depth=2
	v_cmp_ne_u16_sdwa s40, v103, v29 src0_sel:BYTE_3 src1_sel:DWORD
	v_mov_b32_e32 v113, 0
	s_andn2_b32 s12, s12, exec_lo
	s_and_b32 s40, s40, exec_lo
	s_or_b32 s12, s12, s40
	s_or_b32 exec_lo, exec_lo, s29
	s_and_saveexec_b32 s29, s12
	s_cbranch_execnz .LBB2_3168
	s_branch .LBB2_3169
.LBB2_3275:                             ;   in Loop: Header=BB2_2631 Depth=2
	s_or_saveexec_b32 s29, s29
	v_mov_b32_e32 v103, 0x7f800001
	s_xor_b32 exec_lo, exec_lo, s29
	s_cbranch_execz .LBB2_3173
.LBB2_3276:                             ;   in Loop: Header=BB2_2631 Depth=2
	v_cmp_ne_u16_sdwa s40, v13, v29 src0_sel:BYTE_3 src1_sel:DWORD
	v_mov_b32_e32 v103, 0
	s_andn2_b32 s12, s12, exec_lo
	s_and_b32 s40, s40, exec_lo
	s_or_b32 s12, s12, s40
	s_or_b32 exec_lo, exec_lo, s29
	s_and_saveexec_b32 s29, s12
	s_cbranch_execnz .LBB2_3174
	s_branch .LBB2_3175
.LBB2_3277:                             ;   in Loop: Header=BB2_1901 Depth=1
	s_or_b32 exec_lo, exec_lo, s26
.LBB2_3278:                             ;   in Loop: Header=BB2_1901 Depth=1
	s_or_b32 exec_lo, exec_lo, s25
	v_cmp_lt_i32_e32 vcc_lo, 0, v97
	s_mov_b32 s25, exec_lo
	v_cndmask_b32_e32 v10, 0, v54, vcc_lo
	v_sub_nc_u32_e32 v10, v10, v97
	v_lshl_add_u32 v48, v10, 5, v96
.LBB2_3279:                             ;   in Loop: Header=BB2_1901 Depth=1
	s_or_b32 exec_lo, exec_lo, s13
	s_and_saveexec_b32 s13, s25
	s_cbranch_execz .LBB2_3664
.LBB2_3280:                             ;   in Loop: Header=BB2_1901 Depth=1
	v_ashrrev_i32_e32 v10, 31, v48
	v_lshrrev_b32_e32 v11, 8, v87
	s_mov_b32 s25, exec_lo
	v_lshrrev_b32_e32 v10, 27, v10
	v_add_nc_u32_e32 v10, v48, v10
	v_ashrrev_i32_e32 v49, 5, v10
	v_sub_nc_u32_e32 v50, v11, v49
	v_cmpx_lt_i32_e32 0, v50
	s_cbranch_execz .LBB2_3612
; %bb.3281:                             ;   in Loop: Header=BB2_1901 Depth=1
	v_and_b32_e32 v10, 0xffffffe0, v10
	s_trap 2
	ds_read_b64 v[12:13], v0
	v_lshlrev_b32_e32 v11, 8, v49
	v_add_co_u32 v37, vcc_lo, 0xe0, v37
	v_sub_nc_u32_e32 v10, v48, v10
	v_add_co_ci_u32_e64 v38, null, 0, v38, vcc_lo
	s_mov_b32 s26, 0
	v_add3_u32 v51, v86, v10, v11
	v_ashrrev_i32_e32 v52, 31, v51
	v_add_co_u32 v10, vcc_lo, v51, v35
	v_add_co_ci_u32_e64 v11, null, v52, v36, vcc_lo
	s_waitcnt lgkmcnt(0)
	v_add_co_u32 v12, vcc_lo, v12, v51
	v_add_co_ci_u32_e64 v13, null, v13, v52, vcc_lo
	v_add_co_u32 v35, vcc_lo, v37, v51
	v_add_co_ci_u32_e64 v36, null, v38, v52, vcc_lo
	s_branch .LBB2_3285
.LBB2_3282:                             ;   in Loop: Header=BB2_3285 Depth=2
	s_or_b32 exec_lo, exec_lo, s12
	v_lshrrev_b32_e32 v96, 20, v96
	v_cmp_gt_i32_e32 vcc_lo, 16, v38
	v_min_i32_e32 v101, 15, v38
	v_and_b32_sdwa v37, v37, v80 dst_sel:DWORD dst_unused:UNUSED_PAD src0_sel:BYTE_3 src1_sel:DWORD
	v_cndmask_b32_e32 v96, 7, v96, vcc_lo
	v_lshlrev_b32_e32 v101, 3, v101
	v_and_b32_e32 v102, 7, v96
	v_or_b32_e32 v38, v38, v96
	v_or3_b32 v37, v101, v37, v102
	v_cmp_ne_u32_e32 vcc_lo, 0, v38
	v_cndmask_b32_e32 v38, 0, v37, vcc_lo
.LBB2_3283:                             ;   in Loop: Header=BB2_3285 Depth=2
	s_or_b32 exec_lo, exec_lo, s28
.LBB2_3284:                             ;   in Loop: Header=BB2_3285 Depth=2
	s_or_b32 exec_lo, exec_lo, s27
	v_add_co_u32 v101, vcc_lo, 0xffffff20, v35
	v_add_co_ci_u32_e64 v102, null, -1, v36, vcc_lo
	v_add_co_u32 v112, vcc_lo, 0xffffff40, v35
	v_add_co_ci_u32_e64 v113, null, -1, v36, vcc_lo
	flat_store_byte v[101:102], v51 glc slc
	flat_store_byte v[112:113], v99 glc slc
	v_add_co_u32 v101, vcc_lo, 0xffffff60, v35
	v_add_co_ci_u32_e64 v102, null, -1, v36, vcc_lo
	v_add_co_u32 v112, vcc_lo, 0xffffff80, v35
	v_add_co_ci_u32_e64 v113, null, -1, v36, vcc_lo
	v_add_co_u32 v114, vcc_lo, 0xffffffa0, v35
	v_add_co_ci_u32_e64 v115, null, -1, v36, vcc_lo
	v_add_co_u32 v116, vcc_lo, 0xffffffc0, v35
	v_add_co_ci_u32_e64 v117, null, -1, v36, vcc_lo
	v_add_co_u32 v118, vcc_lo, 0xffffffe0, v35
	v_sub_nc_u32_e32 v50, v50, v54
	v_add_co_ci_u32_e64 v119, null, -1, v36, vcc_lo
	v_add_co_u32 v10, vcc_lo, v10, v68
	v_add_co_ci_u32_e64 v11, null, 0, v11, vcc_lo
	v_add_co_u32 v12, vcc_lo, v12, v68
	flat_store_byte v[101:102], v100 glc slc
	flat_store_byte v[112:113], v98 glc slc
	;; [unrolled: 1-line block ×6, first 2 shown]
	v_add_co_ci_u32_e64 v13, null, 0, v13, vcc_lo
	v_cmp_gt_i32_e32 vcc_lo, 1, v50
	v_add_co_u32 v35, s12, v35, v68
	v_add_co_ci_u32_e64 v36, null, 0, v36, s12
	s_or_b32 s26, vcc_lo, s26
	s_andn2_b32 exec_lo, exec_lo, s26
	s_cbranch_execz .LBB2_3611
.LBB2_3285:                             ;   Parent Loop BB2_1901 Depth=1
                                        ; =>  This Inner Loop Header: Depth=2
	s_trap 2
	ds_read_b64 v[37:38], v0
	s_waitcnt lgkmcnt(0)
	v_readfirstlane_b32 s12, v37
	s_and_b32 s27, s12, 0xff
	s_cmpk_lt_i32 s27, 0x80
	s_cbranch_scc1 .LBB2_3289
; %bb.3286:                             ;   in Loop: Header=BB2_3285 Depth=2
	s_and_b32 s28, 0xffff, s27
	s_cmpk_eq_i32 s28, 0x80
	s_mov_b32 s28, -1
	s_cbranch_scc0 .LBB2_3288
; %bb.3287:                             ;   in Loop: Header=BB2_3285 Depth=2
	s_mov_b32 s28, 0
.LBB2_3288:                             ;   in Loop: Header=BB2_3285 Depth=2
	s_mov_b32 s29, 0x7f800001
	s_branch .LBB2_3291
.LBB2_3289:                             ;   in Loop: Header=BB2_3285 Depth=2
	s_mov_b32 s28, 0
	s_mov_b32 s29, 0x7f800001
	s_cbranch_execz .LBB2_3291
; %bb.3290:                             ;   in Loop: Header=BB2_3285 Depth=2
	s_and_b32 s27, 0xffff, s27
	s_mov_b32 s29, 0
	s_cmp_lg_u32 s27, 0
	s_cselect_b32 s28, -1, 0
.LBB2_3291:                             ;   in Loop: Header=BB2_3285 Depth=2
	v_mov_b32_e32 v38, s29
	s_andn2_b32 vcc_lo, exec_lo, s28
	s_cbranch_vccnz .LBB2_3293
; %bb.3292:                             ;   in Loop: Header=BB2_3285 Depth=2
	s_and_b32 s27, s12, 7
	s_bfe_u32 s29, s12, 0x40003
	s_flbit_i32_b32 s28, s27
	v_lshlrev_b32_e32 v37, 24, v37
	s_min_u32 s28, s28, 32
	s_sub_i32 s40, s28, 28
	s_sub_i32 s28, 29, s28
	s_lshl_b32 s12, s12, s40
	v_and_b32_e32 v37, 0x80000000, v37
	s_and_b32 s12, s12, 7
	s_cmp_eq_u32 s29, 0
	s_cselect_b32 s28, s28, s29
	s_cselect_b32 s12, s12, s27
	s_lshl_b32 s27, s28, 23
	s_lshl_b32 s12, s12, 20
	s_add_i32 s27, s27, 0x3b800000
	v_or_b32_e32 v37, s27, v37
	v_or_b32_e32 v38, s12, v37
.LBB2_3293:                             ;   in Loop: Header=BB2_3285 Depth=2
	flat_load_ubyte v37, v[10:11] slc
	s_mov_b32 s12, 0
	s_mov_b32 s27, exec_lo
	s_waitcnt vmcnt(0) lgkmcnt(0)
	v_cmpx_lt_i16_e32 0x7f, v37
	s_xor_b32 s27, exec_lo, s27
	s_cbranch_execz .LBB2_3563
; %bb.3294:                             ;   in Loop: Header=BB2_3285 Depth=2
	s_mov_b32 s12, -1
	s_mov_b32 s28, exec_lo
	v_cmpx_eq_u16_e32 0x80, v37
; %bb.3295:                             ;   in Loop: Header=BB2_3285 Depth=2
	s_xor_b32 s12, exec_lo, -1
; %bb.3296:                             ;   in Loop: Header=BB2_3285 Depth=2
	s_or_b32 exec_lo, exec_lo, s28
	s_and_b32 s12, s12, exec_lo
	s_or_saveexec_b32 s27, s27
	v_mov_b32_e32 v51, 0x7f800001
	s_xor_b32 exec_lo, exec_lo, s27
	s_cbranch_execnz .LBB2_3564
.LBB2_3297:                             ;   in Loop: Header=BB2_3285 Depth=2
	s_or_b32 exec_lo, exec_lo, s27
	s_and_saveexec_b32 s27, s12
	s_cbranch_execz .LBB2_3299
.LBB2_3298:                             ;   in Loop: Header=BB2_3285 Depth=2
	v_and_b32_e32 v51, 0xffff, v37
	v_lshlrev_b32_e32 v37, 24, v37
	v_and_b32_e32 v52, 7, v51
	v_bfe_u32 v97, v51, 3, 4
	v_and_b32_e32 v37, 0x80000000, v37
	v_ffbh_u32_e32 v53, v52
	v_cmp_eq_u32_e32 vcc_lo, 0, v97
	v_min_u32_e32 v53, 32, v53
	v_subrev_nc_u32_e32 v96, 28, v53
	v_sub_nc_u32_e32 v53, 29, v53
	v_lshlrev_b32_e32 v51, v96, v51
	v_cndmask_b32_e32 v53, v97, v53, vcc_lo
	v_and_b32_e32 v51, 7, v51
	v_cndmask_b32_e32 v51, v52, v51, vcc_lo
	v_lshl_add_u32 v52, v53, 23, 0x3b800000
	v_lshlrev_b32_e32 v51, 20, v51
	v_or3_b32 v51, v37, v52, v51
.LBB2_3299:                             ;   in Loop: Header=BB2_3285 Depth=2
	s_or_b32 exec_lo, exec_lo, s27
	v_mul_f32_e32 v37, v38, v51
	v_and_b32_e32 v51, 0x7f800000, v37
	v_cmp_ne_u32_e32 vcc_lo, 0x7f800000, v51
	v_mov_b32_e32 v51, 0x80
	s_and_saveexec_b32 s27, vcc_lo
	s_cbranch_execz .LBB2_3307
; %bb.3300:                             ;   in Loop: Header=BB2_3285 Depth=2
	v_mov_b32_e32 v51, 0
	s_mov_b32 s28, exec_lo
	v_cmpx_ne_u32_e32 0, v37
	s_cbranch_execz .LBB2_3306
; %bb.3301:                             ;   in Loop: Header=BB2_3285 Depth=2
	v_bfe_u32 v51, v37, 23, 8
	v_and_b32_e32 v52, 0x7fffff, v37
	v_sub_nc_u32_e32 v53, 0x78, v51
	v_cmp_gt_u32_e32 vcc_lo, 0x79, v51
	v_or_b32_e32 v96, 0x800000, v52
	v_cndmask_b32_e32 v53, 0, v53, vcc_lo
	v_cmp_eq_u32_e32 vcc_lo, 0, v51
	v_add_nc_u32_e32 v51, 0xffffff89, v51
	v_cndmask_b32_e64 v53, v53, 0x77, vcc_lo
	v_cndmask_b32_e32 v52, v96, v52, vcc_lo
	v_cndmask_b32_e64 v51, v51, 0xffffff8a, vcc_lo
	v_lshl_add_u32 v96, 0x100000, v53, -1
	v_lshrrev_b32_e32 v97, v53, v52
	v_lshlrev_b32_e64 v99, v53, 0x80000
	v_add_nc_u32_e32 v53, v53, v51
	v_and_b32_e32 v52, v96, v52
	v_bfe_u32 v98, v97, 20, 1
	v_cmp_eq_u32_e64 s12, v52, v99
	v_add_nc_u32_e32 v96, -1, v98
	v_cndmask_b32_e64 v52, 0, v96, s12
	v_lshrrev_b32_e32 v96, 23, v97
	s_mov_b32 s12, exec_lo
	v_add_nc_u32_e32 v52, v52, v97
	v_xor_b32_e32 v96, 1, v96
	v_and_b32_e32 v51, 0xfffff, v52
	v_add_nc_u32_e32 v52, v51, v97
                                        ; implicit-def: $vgpr51
	v_cmpx_ne_u32_e64 v53, v96
	s_xor_b32 s12, exec_lo, s12
; %bb.3302:                             ;   in Loop: Header=BB2_3285 Depth=2
	v_cmp_lt_u32_e32 vcc_lo, 0xffffff, v52
	v_sub_nc_u32_e32 v51, v53, v96
	v_cndmask_b32_e64 v53, 0, 1, vcc_lo
	v_add_co_ci_u32_e64 v51, null, 0, v51, vcc_lo
	v_lshrrev_b32_e32 v52, v53, v52
; %bb.3303:                             ;   in Loop: Header=BB2_3285 Depth=2
	s_andn2_saveexec_b32 s12, s12
; %bb.3304:                             ;   in Loop: Header=BB2_3285 Depth=2
	v_bfe_u32 v51, v52, 23, 1
; %bb.3305:                             ;   in Loop: Header=BB2_3285 Depth=2
	s_or_b32 exec_lo, exec_lo, s12
	v_lshrrev_b32_e32 v52, 20, v52
	v_cmp_gt_i32_e32 vcc_lo, 16, v51
	v_min_i32_e32 v53, 15, v51
	v_and_b32_sdwa v37, v37, v80 dst_sel:DWORD dst_unused:UNUSED_PAD src0_sel:BYTE_3 src1_sel:DWORD
	v_cndmask_b32_e32 v52, 7, v52, vcc_lo
	v_lshlrev_b32_e32 v53, 3, v53
	v_and_b32_e32 v96, 7, v52
	v_or_b32_e32 v51, v51, v52
	v_or3_b32 v37, v53, v37, v96
	v_cmp_ne_u32_e32 vcc_lo, 0, v51
	v_cndmask_b32_e32 v51, 0, v37, vcc_lo
.LBB2_3306:                             ;   in Loop: Header=BB2_3285 Depth=2
	s_or_b32 exec_lo, exec_lo, s28
.LBB2_3307:                             ;   in Loop: Header=BB2_3285 Depth=2
	s_or_b32 exec_lo, exec_lo, s27
	flat_load_ubyte v37, v[10:11] offset:32 slc
	s_mov_b32 s12, 0
	s_mov_b32 s27, exec_lo
	s_waitcnt vmcnt(0) lgkmcnt(0)
	v_cmpx_lt_i16_e32 0x7f, v37
	s_xor_b32 s27, exec_lo, s27
	s_cbranch_execz .LBB2_3565
; %bb.3308:                             ;   in Loop: Header=BB2_3285 Depth=2
	s_mov_b32 s12, -1
	s_mov_b32 s28, exec_lo
	v_cmpx_eq_u16_e32 0x80, v37
; %bb.3309:                             ;   in Loop: Header=BB2_3285 Depth=2
	s_xor_b32 s12, exec_lo, -1
; %bb.3310:                             ;   in Loop: Header=BB2_3285 Depth=2
	s_or_b32 exec_lo, exec_lo, s28
	s_and_b32 s12, s12, exec_lo
	s_or_saveexec_b32 s27, s27
	v_mov_b32_e32 v52, 0x7f800001
	s_xor_b32 exec_lo, exec_lo, s27
	s_cbranch_execnz .LBB2_3566
.LBB2_3311:                             ;   in Loop: Header=BB2_3285 Depth=2
	s_or_b32 exec_lo, exec_lo, s27
	s_and_saveexec_b32 s27, s12
	s_cbranch_execz .LBB2_3313
.LBB2_3312:                             ;   in Loop: Header=BB2_3285 Depth=2
	v_and_b32_e32 v52, 0xffff, v37
	v_lshlrev_b32_e32 v37, 24, v37
	v_and_b32_e32 v53, 7, v52
	v_bfe_u32 v98, v52, 3, 4
	v_and_b32_e32 v37, 0x80000000, v37
	v_ffbh_u32_e32 v96, v53
	v_cmp_eq_u32_e32 vcc_lo, 0, v98
	v_min_u32_e32 v96, 32, v96
	v_subrev_nc_u32_e32 v97, 28, v96
	v_sub_nc_u32_e32 v96, 29, v96
	v_lshlrev_b32_e32 v52, v97, v52
	v_cndmask_b32_e32 v96, v98, v96, vcc_lo
	v_and_b32_e32 v52, 7, v52
	v_cndmask_b32_e32 v52, v53, v52, vcc_lo
	v_lshl_add_u32 v53, v96, 23, 0x3b800000
	v_lshlrev_b32_e32 v52, 20, v52
	v_or3_b32 v52, v37, v53, v52
.LBB2_3313:                             ;   in Loop: Header=BB2_3285 Depth=2
	s_or_b32 exec_lo, exec_lo, s27
	v_mul_f32_e32 v37, v38, v52
	v_mov_b32_e32 v99, 0x80
	s_mov_b32 s27, exec_lo
	v_and_b32_e32 v52, 0x7f800000, v37
	v_cmpx_ne_u32_e32 0x7f800000, v52
	s_cbranch_execz .LBB2_3321
; %bb.3314:                             ;   in Loop: Header=BB2_3285 Depth=2
	v_mov_b32_e32 v99, 0
	s_mov_b32 s28, exec_lo
	v_cmpx_ne_u32_e32 0, v37
	s_cbranch_execz .LBB2_3320
; %bb.3315:                             ;   in Loop: Header=BB2_3285 Depth=2
	v_bfe_u32 v52, v37, 23, 8
	v_and_b32_e32 v53, 0x7fffff, v37
	v_sub_nc_u32_e32 v96, 0x78, v52
	v_cmp_gt_u32_e32 vcc_lo, 0x79, v52
	v_or_b32_e32 v97, 0x800000, v53
	v_cndmask_b32_e32 v96, 0, v96, vcc_lo
	v_cmp_eq_u32_e32 vcc_lo, 0, v52
	v_add_nc_u32_e32 v52, 0xffffff89, v52
	v_cndmask_b32_e64 v96, v96, 0x77, vcc_lo
	v_cndmask_b32_e32 v53, v97, v53, vcc_lo
	v_cndmask_b32_e64 v52, v52, 0xffffff8a, vcc_lo
	v_lshl_add_u32 v97, 0x100000, v96, -1
	v_lshrrev_b32_e32 v98, v96, v53
	v_lshlrev_b32_e64 v100, v96, 0x80000
	v_add_nc_u32_e32 v96, v96, v52
	v_and_b32_e32 v53, v97, v53
	v_bfe_u32 v99, v98, 20, 1
	v_cmp_eq_u32_e64 s12, v53, v100
	v_add_nc_u32_e32 v97, -1, v99
	v_cndmask_b32_e64 v53, 0, v97, s12
	v_lshrrev_b32_e32 v97, 23, v98
	s_mov_b32 s12, exec_lo
	v_add_nc_u32_e32 v53, v53, v98
	v_xor_b32_e32 v97, 1, v97
	v_and_b32_e32 v52, 0xfffff, v53
	v_add_nc_u32_e32 v53, v52, v98
                                        ; implicit-def: $vgpr52
	v_cmpx_ne_u32_e64 v96, v97
	s_xor_b32 s12, exec_lo, s12
; %bb.3316:                             ;   in Loop: Header=BB2_3285 Depth=2
	v_cmp_lt_u32_e32 vcc_lo, 0xffffff, v53
	v_sub_nc_u32_e32 v52, v96, v97
	v_cndmask_b32_e64 v96, 0, 1, vcc_lo
	v_add_co_ci_u32_e64 v52, null, 0, v52, vcc_lo
	v_lshrrev_b32_e32 v53, v96, v53
; %bb.3317:                             ;   in Loop: Header=BB2_3285 Depth=2
	s_andn2_saveexec_b32 s12, s12
; %bb.3318:                             ;   in Loop: Header=BB2_3285 Depth=2
	v_bfe_u32 v52, v53, 23, 1
; %bb.3319:                             ;   in Loop: Header=BB2_3285 Depth=2
	s_or_b32 exec_lo, exec_lo, s12
	v_lshrrev_b32_e32 v53, 20, v53
	v_cmp_gt_i32_e32 vcc_lo, 16, v52
	v_min_i32_e32 v96, 15, v52
	v_and_b32_sdwa v37, v37, v80 dst_sel:DWORD dst_unused:UNUSED_PAD src0_sel:BYTE_3 src1_sel:DWORD
	v_cndmask_b32_e32 v53, 7, v53, vcc_lo
	v_lshlrev_b32_e32 v96, 3, v96
	v_and_b32_e32 v97, 7, v53
	v_or_b32_e32 v52, v52, v53
	v_or3_b32 v37, v96, v37, v97
	v_cmp_ne_u32_e32 vcc_lo, 0, v52
	v_cndmask_b32_e32 v99, 0, v37, vcc_lo
.LBB2_3320:                             ;   in Loop: Header=BB2_3285 Depth=2
	s_or_b32 exec_lo, exec_lo, s28
.LBB2_3321:                             ;   in Loop: Header=BB2_3285 Depth=2
	s_or_b32 exec_lo, exec_lo, s27
	flat_load_ubyte v37, v[10:11] offset:64 slc
	s_mov_b32 s12, 0
	s_mov_b32 s27, exec_lo
	s_waitcnt vmcnt(0) lgkmcnt(0)
	v_cmpx_lt_i16_e32 0x7f, v37
	s_xor_b32 s27, exec_lo, s27
	s_cbranch_execz .LBB2_3567
; %bb.3322:                             ;   in Loop: Header=BB2_3285 Depth=2
	s_mov_b32 s12, -1
	s_mov_b32 s28, exec_lo
	v_cmpx_eq_u16_e32 0x80, v37
; %bb.3323:                             ;   in Loop: Header=BB2_3285 Depth=2
	s_xor_b32 s12, exec_lo, -1
; %bb.3324:                             ;   in Loop: Header=BB2_3285 Depth=2
	s_or_b32 exec_lo, exec_lo, s28
	s_and_b32 s12, s12, exec_lo
	s_or_saveexec_b32 s27, s27
	v_mov_b32_e32 v52, 0x7f800001
	s_xor_b32 exec_lo, exec_lo, s27
	s_cbranch_execnz .LBB2_3568
.LBB2_3325:                             ;   in Loop: Header=BB2_3285 Depth=2
	s_or_b32 exec_lo, exec_lo, s27
	s_and_saveexec_b32 s27, s12
	s_cbranch_execz .LBB2_3327
.LBB2_3326:                             ;   in Loop: Header=BB2_3285 Depth=2
	v_and_b32_e32 v52, 0xffff, v37
	v_lshlrev_b32_e32 v37, 24, v37
	v_and_b32_e32 v53, 7, v52
	v_bfe_u32 v98, v52, 3, 4
	v_and_b32_e32 v37, 0x80000000, v37
	v_ffbh_u32_e32 v96, v53
	v_cmp_eq_u32_e32 vcc_lo, 0, v98
	v_min_u32_e32 v96, 32, v96
	v_subrev_nc_u32_e32 v97, 28, v96
	v_sub_nc_u32_e32 v96, 29, v96
	v_lshlrev_b32_e32 v52, v97, v52
	v_cndmask_b32_e32 v96, v98, v96, vcc_lo
	v_and_b32_e32 v52, 7, v52
	v_cndmask_b32_e32 v52, v53, v52, vcc_lo
	v_lshl_add_u32 v53, v96, 23, 0x3b800000
	v_lshlrev_b32_e32 v52, 20, v52
	v_or3_b32 v52, v37, v53, v52
.LBB2_3327:                             ;   in Loop: Header=BB2_3285 Depth=2
	s_or_b32 exec_lo, exec_lo, s27
	v_mul_f32_e32 v37, v38, v52
	v_mov_b32_e32 v100, 0x80
	s_mov_b32 s27, exec_lo
	v_and_b32_e32 v52, 0x7f800000, v37
	v_cmpx_ne_u32_e32 0x7f800000, v52
	s_cbranch_execz .LBB2_3335
; %bb.3328:                             ;   in Loop: Header=BB2_3285 Depth=2
	v_mov_b32_e32 v100, 0
	s_mov_b32 s28, exec_lo
	v_cmpx_ne_u32_e32 0, v37
	s_cbranch_execz .LBB2_3334
; %bb.3329:                             ;   in Loop: Header=BB2_3285 Depth=2
	v_bfe_u32 v52, v37, 23, 8
	v_and_b32_e32 v53, 0x7fffff, v37
	v_sub_nc_u32_e32 v96, 0x78, v52
	v_cmp_gt_u32_e32 vcc_lo, 0x79, v52
	v_or_b32_e32 v97, 0x800000, v53
	v_cndmask_b32_e32 v96, 0, v96, vcc_lo
	v_cmp_eq_u32_e32 vcc_lo, 0, v52
	v_add_nc_u32_e32 v52, 0xffffff89, v52
	v_cndmask_b32_e64 v96, v96, 0x77, vcc_lo
	v_cndmask_b32_e32 v53, v97, v53, vcc_lo
	v_cndmask_b32_e64 v52, v52, 0xffffff8a, vcc_lo
	v_lshl_add_u32 v97, 0x100000, v96, -1
	v_lshrrev_b32_e32 v98, v96, v53
	v_lshlrev_b32_e64 v101, v96, 0x80000
	v_add_nc_u32_e32 v96, v96, v52
	v_and_b32_e32 v53, v97, v53
	v_bfe_u32 v100, v98, 20, 1
	v_cmp_eq_u32_e64 s12, v53, v101
	v_add_nc_u32_e32 v97, -1, v100
	v_cndmask_b32_e64 v53, 0, v97, s12
	v_lshrrev_b32_e32 v97, 23, v98
	s_mov_b32 s12, exec_lo
	v_add_nc_u32_e32 v53, v53, v98
	v_xor_b32_e32 v97, 1, v97
	v_and_b32_e32 v52, 0xfffff, v53
	v_add_nc_u32_e32 v53, v52, v98
                                        ; implicit-def: $vgpr52
	v_cmpx_ne_u32_e64 v96, v97
	s_xor_b32 s12, exec_lo, s12
; %bb.3330:                             ;   in Loop: Header=BB2_3285 Depth=2
	v_cmp_lt_u32_e32 vcc_lo, 0xffffff, v53
	v_sub_nc_u32_e32 v52, v96, v97
	v_cndmask_b32_e64 v96, 0, 1, vcc_lo
	v_add_co_ci_u32_e64 v52, null, 0, v52, vcc_lo
	v_lshrrev_b32_e32 v53, v96, v53
; %bb.3331:                             ;   in Loop: Header=BB2_3285 Depth=2
	s_andn2_saveexec_b32 s12, s12
; %bb.3332:                             ;   in Loop: Header=BB2_3285 Depth=2
	v_bfe_u32 v52, v53, 23, 1
; %bb.3333:                             ;   in Loop: Header=BB2_3285 Depth=2
	s_or_b32 exec_lo, exec_lo, s12
	v_lshrrev_b32_e32 v53, 20, v53
	v_cmp_gt_i32_e32 vcc_lo, 16, v52
	v_min_i32_e32 v96, 15, v52
	v_and_b32_sdwa v37, v37, v80 dst_sel:DWORD dst_unused:UNUSED_PAD src0_sel:BYTE_3 src1_sel:DWORD
	v_cndmask_b32_e32 v53, 7, v53, vcc_lo
	v_lshlrev_b32_e32 v96, 3, v96
	v_and_b32_e32 v97, 7, v53
	v_or_b32_e32 v52, v52, v53
	v_or3_b32 v37, v96, v37, v97
	v_cmp_ne_u32_e32 vcc_lo, 0, v52
	v_cndmask_b32_e32 v100, 0, v37, vcc_lo
.LBB2_3334:                             ;   in Loop: Header=BB2_3285 Depth=2
	s_or_b32 exec_lo, exec_lo, s28
.LBB2_3335:                             ;   in Loop: Header=BB2_3285 Depth=2
	s_or_b32 exec_lo, exec_lo, s27
	flat_load_ubyte v37, v[10:11] offset:96 slc
	s_mov_b32 s12, 0
	s_mov_b32 s27, exec_lo
	s_waitcnt vmcnt(0) lgkmcnt(0)
	v_cmpx_lt_i16_e32 0x7f, v37
	s_xor_b32 s27, exec_lo, s27
	s_cbranch_execz .LBB2_3569
; %bb.3336:                             ;   in Loop: Header=BB2_3285 Depth=2
	s_mov_b32 s12, -1
	s_mov_b32 s28, exec_lo
	v_cmpx_eq_u16_e32 0x80, v37
; %bb.3337:                             ;   in Loop: Header=BB2_3285 Depth=2
	s_xor_b32 s12, exec_lo, -1
; %bb.3338:                             ;   in Loop: Header=BB2_3285 Depth=2
	s_or_b32 exec_lo, exec_lo, s28
	s_and_b32 s12, s12, exec_lo
	s_or_saveexec_b32 s27, s27
	v_mov_b32_e32 v52, 0x7f800001
	s_xor_b32 exec_lo, exec_lo, s27
	s_cbranch_execnz .LBB2_3570
.LBB2_3339:                             ;   in Loop: Header=BB2_3285 Depth=2
	s_or_b32 exec_lo, exec_lo, s27
	s_and_saveexec_b32 s27, s12
	s_cbranch_execz .LBB2_3341
.LBB2_3340:                             ;   in Loop: Header=BB2_3285 Depth=2
	v_and_b32_e32 v52, 0xffff, v37
	v_lshlrev_b32_e32 v37, 24, v37
	v_and_b32_e32 v53, 7, v52
	v_bfe_u32 v98, v52, 3, 4
	v_and_b32_e32 v37, 0x80000000, v37
	v_ffbh_u32_e32 v96, v53
	v_cmp_eq_u32_e32 vcc_lo, 0, v98
	v_min_u32_e32 v96, 32, v96
	v_subrev_nc_u32_e32 v97, 28, v96
	v_sub_nc_u32_e32 v96, 29, v96
	v_lshlrev_b32_e32 v52, v97, v52
	v_cndmask_b32_e32 v96, v98, v96, vcc_lo
	v_and_b32_e32 v52, 7, v52
	v_cndmask_b32_e32 v52, v53, v52, vcc_lo
	v_lshl_add_u32 v53, v96, 23, 0x3b800000
	v_lshlrev_b32_e32 v52, 20, v52
	v_or3_b32 v52, v37, v53, v52
.LBB2_3341:                             ;   in Loop: Header=BB2_3285 Depth=2
	s_or_b32 exec_lo, exec_lo, s27
	v_mul_f32_e32 v37, v38, v52
	v_mov_b32_e32 v98, 0x80
	s_mov_b32 s27, exec_lo
	v_and_b32_e32 v52, 0x7f800000, v37
	v_cmpx_ne_u32_e32 0x7f800000, v52
	s_cbranch_execz .LBB2_3349
; %bb.3342:                             ;   in Loop: Header=BB2_3285 Depth=2
	v_mov_b32_e32 v98, 0
	s_mov_b32 s28, exec_lo
	v_cmpx_ne_u32_e32 0, v37
	s_cbranch_execz .LBB2_3348
; %bb.3343:                             ;   in Loop: Header=BB2_3285 Depth=2
	v_bfe_u32 v52, v37, 23, 8
	v_and_b32_e32 v53, 0x7fffff, v37
	v_sub_nc_u32_e32 v96, 0x78, v52
	v_cmp_gt_u32_e32 vcc_lo, 0x79, v52
	v_or_b32_e32 v97, 0x800000, v53
	v_cndmask_b32_e32 v96, 0, v96, vcc_lo
	v_cmp_eq_u32_e32 vcc_lo, 0, v52
	v_add_nc_u32_e32 v52, 0xffffff89, v52
	v_cndmask_b32_e64 v96, v96, 0x77, vcc_lo
	v_cndmask_b32_e32 v53, v97, v53, vcc_lo
	v_cndmask_b32_e64 v52, v52, 0xffffff8a, vcc_lo
	v_lshl_add_u32 v97, 0x100000, v96, -1
	v_lshrrev_b32_e32 v98, v96, v53
	v_lshlrev_b32_e64 v102, v96, 0x80000
	v_add_nc_u32_e32 v96, v96, v52
	v_and_b32_e32 v53, v97, v53
	v_bfe_u32 v101, v98, 20, 1
	v_cmp_eq_u32_e64 s12, v53, v102
	v_add_nc_u32_e32 v97, -1, v101
	v_cndmask_b32_e64 v53, 0, v97, s12
	v_lshrrev_b32_e32 v97, 23, v98
	s_mov_b32 s12, exec_lo
	v_add_nc_u32_e32 v53, v53, v98
	v_xor_b32_e32 v97, 1, v97
	v_and_b32_e32 v52, 0xfffff, v53
	v_add_nc_u32_e32 v53, v52, v98
                                        ; implicit-def: $vgpr52
	v_cmpx_ne_u32_e64 v96, v97
	s_xor_b32 s12, exec_lo, s12
; %bb.3344:                             ;   in Loop: Header=BB2_3285 Depth=2
	v_cmp_lt_u32_e32 vcc_lo, 0xffffff, v53
	v_sub_nc_u32_e32 v52, v96, v97
	v_cndmask_b32_e64 v96, 0, 1, vcc_lo
	v_add_co_ci_u32_e64 v52, null, 0, v52, vcc_lo
	v_lshrrev_b32_e32 v53, v96, v53
; %bb.3345:                             ;   in Loop: Header=BB2_3285 Depth=2
	s_andn2_saveexec_b32 s12, s12
; %bb.3346:                             ;   in Loop: Header=BB2_3285 Depth=2
	v_bfe_u32 v52, v53, 23, 1
; %bb.3347:                             ;   in Loop: Header=BB2_3285 Depth=2
	s_or_b32 exec_lo, exec_lo, s12
	v_lshrrev_b32_e32 v53, 20, v53
	v_cmp_gt_i32_e32 vcc_lo, 16, v52
	v_min_i32_e32 v96, 15, v52
	v_and_b32_sdwa v37, v37, v80 dst_sel:DWORD dst_unused:UNUSED_PAD src0_sel:BYTE_3 src1_sel:DWORD
	v_cndmask_b32_e32 v53, 7, v53, vcc_lo
	v_lshlrev_b32_e32 v96, 3, v96
	v_and_b32_e32 v97, 7, v53
	v_or_b32_e32 v52, v52, v53
	v_or3_b32 v37, v96, v37, v97
	v_cmp_ne_u32_e32 vcc_lo, 0, v52
	v_cndmask_b32_e32 v98, 0, v37, vcc_lo
.LBB2_3348:                             ;   in Loop: Header=BB2_3285 Depth=2
	s_or_b32 exec_lo, exec_lo, s28
.LBB2_3349:                             ;   in Loop: Header=BB2_3285 Depth=2
	s_or_b32 exec_lo, exec_lo, s27
	flat_load_ubyte v37, v[10:11] offset:128 slc
	s_mov_b32 s12, 0
	s_mov_b32 s27, exec_lo
	s_waitcnt vmcnt(0) lgkmcnt(0)
	v_cmpx_lt_i16_e32 0x7f, v37
	s_xor_b32 s27, exec_lo, s27
	s_cbranch_execz .LBB2_3571
; %bb.3350:                             ;   in Loop: Header=BB2_3285 Depth=2
	s_mov_b32 s12, -1
	s_mov_b32 s28, exec_lo
	v_cmpx_eq_u16_e32 0x80, v37
; %bb.3351:                             ;   in Loop: Header=BB2_3285 Depth=2
	s_xor_b32 s12, exec_lo, -1
; %bb.3352:                             ;   in Loop: Header=BB2_3285 Depth=2
	s_or_b32 exec_lo, exec_lo, s28
	s_and_b32 s12, s12, exec_lo
	s_or_saveexec_b32 s27, s27
	v_mov_b32_e32 v52, 0x7f800001
	s_xor_b32 exec_lo, exec_lo, s27
	s_cbranch_execnz .LBB2_3572
.LBB2_3353:                             ;   in Loop: Header=BB2_3285 Depth=2
	s_or_b32 exec_lo, exec_lo, s27
	s_and_saveexec_b32 s27, s12
	s_cbranch_execz .LBB2_3355
.LBB2_3354:                             ;   in Loop: Header=BB2_3285 Depth=2
	v_and_b32_e32 v52, 0xffff, v37
	v_lshlrev_b32_e32 v37, 24, v37
	v_and_b32_e32 v53, 7, v52
	v_bfe_u32 v101, v52, 3, 4
	v_and_b32_e32 v37, 0x80000000, v37
	v_ffbh_u32_e32 v96, v53
	v_cmp_eq_u32_e32 vcc_lo, 0, v101
	v_min_u32_e32 v96, 32, v96
	v_subrev_nc_u32_e32 v97, 28, v96
	v_sub_nc_u32_e32 v96, 29, v96
	v_lshlrev_b32_e32 v52, v97, v52
	v_cndmask_b32_e32 v96, v101, v96, vcc_lo
	v_and_b32_e32 v52, 7, v52
	v_cndmask_b32_e32 v52, v53, v52, vcc_lo
	v_lshl_add_u32 v53, v96, 23, 0x3b800000
	v_lshlrev_b32_e32 v52, 20, v52
	v_or3_b32 v52, v37, v53, v52
.LBB2_3355:                             ;   in Loop: Header=BB2_3285 Depth=2
	s_or_b32 exec_lo, exec_lo, s27
	v_mul_f32_e32 v37, v38, v52
	v_mov_b32_e32 v97, 0x80
	s_mov_b32 s27, exec_lo
	v_and_b32_e32 v52, 0x7f800000, v37
	v_cmpx_ne_u32_e32 0x7f800000, v52
	s_cbranch_execz .LBB2_3363
; %bb.3356:                             ;   in Loop: Header=BB2_3285 Depth=2
	v_mov_b32_e32 v97, 0
	s_mov_b32 s28, exec_lo
	v_cmpx_ne_u32_e32 0, v37
	s_cbranch_execz .LBB2_3362
; %bb.3357:                             ;   in Loop: Header=BB2_3285 Depth=2
	v_bfe_u32 v52, v37, 23, 8
	v_and_b32_e32 v53, 0x7fffff, v37
	v_sub_nc_u32_e32 v96, 0x78, v52
	v_cmp_gt_u32_e32 vcc_lo, 0x79, v52
	v_or_b32_e32 v97, 0x800000, v53
	v_cndmask_b32_e32 v96, 0, v96, vcc_lo
	v_cmp_eq_u32_e32 vcc_lo, 0, v52
	v_add_nc_u32_e32 v52, 0xffffff89, v52
	v_cndmask_b32_e64 v96, v96, 0x77, vcc_lo
	v_cndmask_b32_e32 v53, v97, v53, vcc_lo
	v_cndmask_b32_e64 v52, v52, 0xffffff8a, vcc_lo
	v_lshl_add_u32 v97, 0x100000, v96, -1
	v_lshrrev_b32_e32 v101, v96, v53
	v_lshlrev_b32_e64 v103, v96, 0x80000
	v_add_nc_u32_e32 v96, v96, v52
	v_and_b32_e32 v53, v97, v53
	v_bfe_u32 v102, v101, 20, 1
	v_cmp_eq_u32_e64 s12, v53, v103
	v_add_nc_u32_e32 v97, -1, v102
	v_cndmask_b32_e64 v53, 0, v97, s12
	v_lshrrev_b32_e32 v97, 23, v101
	s_mov_b32 s12, exec_lo
	v_add_nc_u32_e32 v53, v53, v101
	v_xor_b32_e32 v97, 1, v97
	v_and_b32_e32 v52, 0xfffff, v53
	v_add_nc_u32_e32 v53, v52, v101
                                        ; implicit-def: $vgpr52
	v_cmpx_ne_u32_e64 v96, v97
	s_xor_b32 s12, exec_lo, s12
; %bb.3358:                             ;   in Loop: Header=BB2_3285 Depth=2
	v_cmp_lt_u32_e32 vcc_lo, 0xffffff, v53
	v_sub_nc_u32_e32 v52, v96, v97
	v_cndmask_b32_e64 v96, 0, 1, vcc_lo
	v_add_co_ci_u32_e64 v52, null, 0, v52, vcc_lo
	v_lshrrev_b32_e32 v53, v96, v53
; %bb.3359:                             ;   in Loop: Header=BB2_3285 Depth=2
	s_andn2_saveexec_b32 s12, s12
; %bb.3360:                             ;   in Loop: Header=BB2_3285 Depth=2
	v_bfe_u32 v52, v53, 23, 1
; %bb.3361:                             ;   in Loop: Header=BB2_3285 Depth=2
	s_or_b32 exec_lo, exec_lo, s12
	v_lshrrev_b32_e32 v53, 20, v53
	v_cmp_gt_i32_e32 vcc_lo, 16, v52
	v_min_i32_e32 v96, 15, v52
	v_and_b32_sdwa v37, v37, v80 dst_sel:DWORD dst_unused:UNUSED_PAD src0_sel:BYTE_3 src1_sel:DWORD
	v_cndmask_b32_e32 v53, 7, v53, vcc_lo
	v_lshlrev_b32_e32 v96, 3, v96
	v_and_b32_e32 v97, 7, v53
	v_or_b32_e32 v52, v52, v53
	v_or3_b32 v37, v96, v37, v97
	v_cmp_ne_u32_e32 vcc_lo, 0, v52
	v_cndmask_b32_e32 v97, 0, v37, vcc_lo
.LBB2_3362:                             ;   in Loop: Header=BB2_3285 Depth=2
	s_or_b32 exec_lo, exec_lo, s28
.LBB2_3363:                             ;   in Loop: Header=BB2_3285 Depth=2
	s_or_b32 exec_lo, exec_lo, s27
	flat_load_ubyte v37, v[10:11] offset:160 slc
	s_mov_b32 s12, 0
	s_mov_b32 s27, exec_lo
	s_waitcnt vmcnt(0) lgkmcnt(0)
	v_cmpx_lt_i16_e32 0x7f, v37
	s_xor_b32 s27, exec_lo, s27
	s_cbranch_execz .LBB2_3573
; %bb.3364:                             ;   in Loop: Header=BB2_3285 Depth=2
	s_mov_b32 s12, -1
	s_mov_b32 s28, exec_lo
	v_cmpx_eq_u16_e32 0x80, v37
; %bb.3365:                             ;   in Loop: Header=BB2_3285 Depth=2
	s_xor_b32 s12, exec_lo, -1
; %bb.3366:                             ;   in Loop: Header=BB2_3285 Depth=2
	s_or_b32 exec_lo, exec_lo, s28
	s_and_b32 s12, s12, exec_lo
	s_or_saveexec_b32 s27, s27
	v_mov_b32_e32 v52, 0x7f800001
	s_xor_b32 exec_lo, exec_lo, s27
	s_cbranch_execnz .LBB2_3574
.LBB2_3367:                             ;   in Loop: Header=BB2_3285 Depth=2
	s_or_b32 exec_lo, exec_lo, s27
	s_and_saveexec_b32 s27, s12
	s_cbranch_execz .LBB2_3369
.LBB2_3368:                             ;   in Loop: Header=BB2_3285 Depth=2
	v_and_b32_e32 v52, 0xffff, v37
	v_lshlrev_b32_e32 v37, 24, v37
	v_and_b32_e32 v53, 7, v52
	v_bfe_u32 v102, v52, 3, 4
	v_and_b32_e32 v37, 0x80000000, v37
	v_ffbh_u32_e32 v96, v53
	v_cmp_eq_u32_e32 vcc_lo, 0, v102
	v_min_u32_e32 v96, 32, v96
	v_subrev_nc_u32_e32 v101, 28, v96
	v_sub_nc_u32_e32 v96, 29, v96
	v_lshlrev_b32_e32 v52, v101, v52
	v_cndmask_b32_e32 v96, v102, v96, vcc_lo
	v_and_b32_e32 v52, 7, v52
	v_cndmask_b32_e32 v52, v53, v52, vcc_lo
	v_lshl_add_u32 v53, v96, 23, 0x3b800000
	v_lshlrev_b32_e32 v52, 20, v52
	v_or3_b32 v52, v37, v53, v52
.LBB2_3369:                             ;   in Loop: Header=BB2_3285 Depth=2
	s_or_b32 exec_lo, exec_lo, s27
	v_mul_f32_e32 v37, v38, v52
	v_mov_b32_e32 v53, 0x80
	s_mov_b32 s27, exec_lo
	v_and_b32_e32 v52, 0x7f800000, v37
	v_cmpx_ne_u32_e32 0x7f800000, v52
	s_cbranch_execz .LBB2_3377
; %bb.3370:                             ;   in Loop: Header=BB2_3285 Depth=2
	v_mov_b32_e32 v53, 0
	s_mov_b32 s28, exec_lo
	v_cmpx_ne_u32_e32 0, v37
	s_cbranch_execz .LBB2_3376
; %bb.3371:                             ;   in Loop: Header=BB2_3285 Depth=2
	v_bfe_u32 v52, v37, 23, 8
	v_and_b32_e32 v53, 0x7fffff, v37
	v_sub_nc_u32_e32 v96, 0x78, v52
	v_cmp_gt_u32_e32 vcc_lo, 0x79, v52
	v_or_b32_e32 v101, 0x800000, v53
	v_cndmask_b32_e32 v96, 0, v96, vcc_lo
	v_cmp_eq_u32_e32 vcc_lo, 0, v52
	v_add_nc_u32_e32 v52, 0xffffff89, v52
	v_cndmask_b32_e64 v96, v96, 0x77, vcc_lo
	v_cndmask_b32_e32 v53, v101, v53, vcc_lo
	v_cndmask_b32_e64 v52, v52, 0xffffff8a, vcc_lo
	v_lshl_add_u32 v101, 0x100000, v96, -1
	v_lshrrev_b32_e32 v102, v96, v53
	v_lshlrev_b32_e64 v112, v96, 0x80000
	v_add_nc_u32_e32 v96, v96, v52
	v_and_b32_e32 v53, v101, v53
	v_bfe_u32 v103, v102, 20, 1
	v_cmp_eq_u32_e64 s12, v53, v112
	v_add_nc_u32_e32 v101, -1, v103
	v_cndmask_b32_e64 v53, 0, v101, s12
	v_lshrrev_b32_e32 v101, 23, v102
	s_mov_b32 s12, exec_lo
	v_add_nc_u32_e32 v53, v53, v102
	v_xor_b32_e32 v101, 1, v101
	v_and_b32_e32 v52, 0xfffff, v53
	v_add_nc_u32_e32 v53, v52, v102
                                        ; implicit-def: $vgpr52
	v_cmpx_ne_u32_e64 v96, v101
	s_xor_b32 s12, exec_lo, s12
; %bb.3372:                             ;   in Loop: Header=BB2_3285 Depth=2
	v_cmp_lt_u32_e32 vcc_lo, 0xffffff, v53
	v_sub_nc_u32_e32 v52, v96, v101
	v_cndmask_b32_e64 v96, 0, 1, vcc_lo
	v_add_co_ci_u32_e64 v52, null, 0, v52, vcc_lo
	v_lshrrev_b32_e32 v53, v96, v53
; %bb.3373:                             ;   in Loop: Header=BB2_3285 Depth=2
	s_andn2_saveexec_b32 s12, s12
; %bb.3374:                             ;   in Loop: Header=BB2_3285 Depth=2
	v_bfe_u32 v52, v53, 23, 1
; %bb.3375:                             ;   in Loop: Header=BB2_3285 Depth=2
	s_or_b32 exec_lo, exec_lo, s12
	v_lshrrev_b32_e32 v53, 20, v53
	v_cmp_gt_i32_e32 vcc_lo, 16, v52
	v_min_i32_e32 v96, 15, v52
	v_and_b32_sdwa v37, v37, v80 dst_sel:DWORD dst_unused:UNUSED_PAD src0_sel:BYTE_3 src1_sel:DWORD
	v_cndmask_b32_e32 v53, 7, v53, vcc_lo
	v_lshlrev_b32_e32 v96, 3, v96
	v_and_b32_e32 v101, 7, v53
	v_or_b32_e32 v52, v52, v53
	v_or3_b32 v37, v96, v37, v101
	v_cmp_ne_u32_e32 vcc_lo, 0, v52
	v_cndmask_b32_e32 v53, 0, v37, vcc_lo
.LBB2_3376:                             ;   in Loop: Header=BB2_3285 Depth=2
	s_or_b32 exec_lo, exec_lo, s28
.LBB2_3377:                             ;   in Loop: Header=BB2_3285 Depth=2
	s_or_b32 exec_lo, exec_lo, s27
	flat_load_ubyte v37, v[10:11] offset:192 slc
	s_mov_b32 s12, 0
	s_mov_b32 s27, exec_lo
	s_waitcnt vmcnt(0) lgkmcnt(0)
	v_cmpx_lt_i16_e32 0x7f, v37
	s_xor_b32 s27, exec_lo, s27
	s_cbranch_execz .LBB2_3575
; %bb.3378:                             ;   in Loop: Header=BB2_3285 Depth=2
	s_mov_b32 s12, -1
	s_mov_b32 s28, exec_lo
	v_cmpx_eq_u16_e32 0x80, v37
; %bb.3379:                             ;   in Loop: Header=BB2_3285 Depth=2
	s_xor_b32 s12, exec_lo, -1
; %bb.3380:                             ;   in Loop: Header=BB2_3285 Depth=2
	s_or_b32 exec_lo, exec_lo, s28
	s_and_b32 s12, s12, exec_lo
	s_or_saveexec_b32 s27, s27
	v_mov_b32_e32 v52, 0x7f800001
	s_xor_b32 exec_lo, exec_lo, s27
	s_cbranch_execnz .LBB2_3576
.LBB2_3381:                             ;   in Loop: Header=BB2_3285 Depth=2
	s_or_b32 exec_lo, exec_lo, s27
	s_and_saveexec_b32 s27, s12
	s_cbranch_execz .LBB2_3383
.LBB2_3382:                             ;   in Loop: Header=BB2_3285 Depth=2
	v_and_b32_e32 v52, 0xffff, v37
	v_lshlrev_b32_e32 v37, 24, v37
	v_and_b32_e32 v96, 7, v52
	v_bfe_u32 v103, v52, 3, 4
	v_and_b32_e32 v37, 0x80000000, v37
	v_ffbh_u32_e32 v101, v96
	v_cmp_eq_u32_e32 vcc_lo, 0, v103
	v_min_u32_e32 v101, 32, v101
	v_subrev_nc_u32_e32 v102, 28, v101
	v_sub_nc_u32_e32 v101, 29, v101
	v_lshlrev_b32_e32 v52, v102, v52
	v_cndmask_b32_e32 v101, v103, v101, vcc_lo
	v_and_b32_e32 v52, 7, v52
	v_cndmask_b32_e32 v52, v96, v52, vcc_lo
	v_lshl_add_u32 v96, v101, 23, 0x3b800000
	v_lshlrev_b32_e32 v52, 20, v52
	v_or3_b32 v52, v37, v96, v52
.LBB2_3383:                             ;   in Loop: Header=BB2_3285 Depth=2
	s_or_b32 exec_lo, exec_lo, s27
	v_mul_f32_e32 v37, v38, v52
	v_and_b32_e32 v52, 0x7f800000, v37
	v_cmp_ne_u32_e32 vcc_lo, 0x7f800000, v52
	v_mov_b32_e32 v52, 0x80
	s_and_saveexec_b32 s27, vcc_lo
	s_cbranch_execz .LBB2_3391
; %bb.3384:                             ;   in Loop: Header=BB2_3285 Depth=2
	v_mov_b32_e32 v52, 0
	s_mov_b32 s28, exec_lo
	v_cmpx_ne_u32_e32 0, v37
	s_cbranch_execz .LBB2_3390
; %bb.3385:                             ;   in Loop: Header=BB2_3285 Depth=2
	v_bfe_u32 v52, v37, 23, 8
	v_and_b32_e32 v96, 0x7fffff, v37
	v_sub_nc_u32_e32 v101, 0x78, v52
	v_cmp_gt_u32_e32 vcc_lo, 0x79, v52
	v_or_b32_e32 v102, 0x800000, v96
	v_cndmask_b32_e32 v101, 0, v101, vcc_lo
	v_cmp_eq_u32_e32 vcc_lo, 0, v52
	v_add_nc_u32_e32 v52, 0xffffff89, v52
	v_cndmask_b32_e64 v101, v101, 0x77, vcc_lo
	v_cndmask_b32_e32 v96, v102, v96, vcc_lo
	v_cndmask_b32_e64 v52, v52, 0xffffff8a, vcc_lo
	v_lshl_add_u32 v102, 0x100000, v101, -1
	v_lshrrev_b32_e32 v103, v101, v96
	v_lshlrev_b32_e64 v113, v101, 0x80000
	v_add_nc_u32_e32 v101, v101, v52
	v_and_b32_e32 v96, v102, v96
	v_bfe_u32 v112, v103, 20, 1
	v_cmp_eq_u32_e64 s12, v96, v113
	v_add_nc_u32_e32 v102, -1, v112
	v_cndmask_b32_e64 v96, 0, v102, s12
	v_lshrrev_b32_e32 v102, 23, v103
	s_mov_b32 s12, exec_lo
	v_add_nc_u32_e32 v96, v96, v103
	v_xor_b32_e32 v102, 1, v102
	v_and_b32_e32 v52, 0xfffff, v96
	v_add_nc_u32_e32 v96, v52, v103
                                        ; implicit-def: $vgpr52
	v_cmpx_ne_u32_e64 v101, v102
	s_xor_b32 s12, exec_lo, s12
; %bb.3386:                             ;   in Loop: Header=BB2_3285 Depth=2
	v_cmp_lt_u32_e32 vcc_lo, 0xffffff, v96
	v_sub_nc_u32_e32 v52, v101, v102
	v_cndmask_b32_e64 v101, 0, 1, vcc_lo
	v_add_co_ci_u32_e64 v52, null, 0, v52, vcc_lo
	v_lshrrev_b32_e32 v96, v101, v96
; %bb.3387:                             ;   in Loop: Header=BB2_3285 Depth=2
	s_andn2_saveexec_b32 s12, s12
; %bb.3388:                             ;   in Loop: Header=BB2_3285 Depth=2
	v_bfe_u32 v52, v96, 23, 1
; %bb.3389:                             ;   in Loop: Header=BB2_3285 Depth=2
	s_or_b32 exec_lo, exec_lo, s12
	v_lshrrev_b32_e32 v96, 20, v96
	v_cmp_gt_i32_e32 vcc_lo, 16, v52
	v_min_i32_e32 v101, 15, v52
	v_and_b32_sdwa v37, v37, v80 dst_sel:DWORD dst_unused:UNUSED_PAD src0_sel:BYTE_3 src1_sel:DWORD
	v_cndmask_b32_e32 v96, 7, v96, vcc_lo
	v_lshlrev_b32_e32 v101, 3, v101
	v_and_b32_e32 v102, 7, v96
	v_or_b32_e32 v52, v52, v96
	v_or3_b32 v37, v101, v37, v102
	v_cmp_ne_u32_e32 vcc_lo, 0, v52
	v_cndmask_b32_e32 v52, 0, v37, vcc_lo
.LBB2_3390:                             ;   in Loop: Header=BB2_3285 Depth=2
	s_or_b32 exec_lo, exec_lo, s28
.LBB2_3391:                             ;   in Loop: Header=BB2_3285 Depth=2
	s_or_b32 exec_lo, exec_lo, s27
	flat_load_ubyte v37, v[10:11] offset:224 slc
	s_mov_b32 s12, 0
	s_mov_b32 s27, exec_lo
	s_waitcnt vmcnt(0) lgkmcnt(0)
	v_cmpx_lt_i16_e32 0x7f, v37
	s_xor_b32 s27, exec_lo, s27
	s_cbranch_execz .LBB2_3577
; %bb.3392:                             ;   in Loop: Header=BB2_3285 Depth=2
	s_mov_b32 s12, -1
	s_mov_b32 s28, exec_lo
	v_cmpx_eq_u16_e32 0x80, v37
; %bb.3393:                             ;   in Loop: Header=BB2_3285 Depth=2
	s_xor_b32 s12, exec_lo, -1
; %bb.3394:                             ;   in Loop: Header=BB2_3285 Depth=2
	s_or_b32 exec_lo, exec_lo, s28
	s_and_b32 s12, s12, exec_lo
	s_or_saveexec_b32 s27, s27
	v_mov_b32_e32 v96, 0x7f800001
	s_xor_b32 exec_lo, exec_lo, s27
	s_cbranch_execnz .LBB2_3578
.LBB2_3395:                             ;   in Loop: Header=BB2_3285 Depth=2
	s_or_b32 exec_lo, exec_lo, s27
	s_and_saveexec_b32 s27, s12
	s_cbranch_execz .LBB2_3397
.LBB2_3396:                             ;   in Loop: Header=BB2_3285 Depth=2
	v_and_b32_e32 v96, 0xffff, v37
	v_lshlrev_b32_e32 v37, 24, v37
	v_and_b32_e32 v101, 7, v96
	v_bfe_u32 v112, v96, 3, 4
	v_and_b32_e32 v37, 0x80000000, v37
	v_ffbh_u32_e32 v102, v101
	v_cmp_eq_u32_e32 vcc_lo, 0, v112
	v_min_u32_e32 v102, 32, v102
	v_subrev_nc_u32_e32 v103, 28, v102
	v_sub_nc_u32_e32 v102, 29, v102
	v_lshlrev_b32_e32 v96, v103, v96
	v_cndmask_b32_e32 v102, v112, v102, vcc_lo
	v_and_b32_e32 v96, 7, v96
	v_cndmask_b32_e32 v96, v101, v96, vcc_lo
	v_lshl_add_u32 v101, v102, 23, 0x3b800000
	v_lshlrev_b32_e32 v96, 20, v96
	v_or3_b32 v96, v37, v101, v96
.LBB2_3397:                             ;   in Loop: Header=BB2_3285 Depth=2
	s_or_b32 exec_lo, exec_lo, s27
	v_mul_f32_e32 v37, v38, v96
	v_and_b32_e32 v38, 0x7f800000, v37
	v_cmp_ne_u32_e32 vcc_lo, 0x7f800000, v38
	v_mov_b32_e32 v38, 0x80
	s_and_saveexec_b32 s27, vcc_lo
	s_cbranch_execz .LBB2_3405
; %bb.3398:                             ;   in Loop: Header=BB2_3285 Depth=2
	v_mov_b32_e32 v38, 0
	s_mov_b32 s28, exec_lo
	v_cmpx_ne_u32_e32 0, v37
	s_cbranch_execz .LBB2_3404
; %bb.3399:                             ;   in Loop: Header=BB2_3285 Depth=2
	v_bfe_u32 v38, v37, 23, 8
	v_and_b32_e32 v96, 0x7fffff, v37
	v_sub_nc_u32_e32 v101, 0x78, v38
	v_cmp_gt_u32_e32 vcc_lo, 0x79, v38
	v_or_b32_e32 v102, 0x800000, v96
	v_cndmask_b32_e32 v101, 0, v101, vcc_lo
	v_cmp_eq_u32_e32 vcc_lo, 0, v38
	v_add_nc_u32_e32 v38, 0xffffff89, v38
	v_cndmask_b32_e64 v101, v101, 0x77, vcc_lo
	v_cndmask_b32_e32 v96, v102, v96, vcc_lo
	v_cndmask_b32_e64 v38, v38, 0xffffff8a, vcc_lo
	v_lshl_add_u32 v102, 0x100000, v101, -1
	v_lshrrev_b32_e32 v103, v101, v96
	v_lshlrev_b32_e64 v113, v101, 0x80000
	v_add_nc_u32_e32 v101, v101, v38
	v_and_b32_e32 v96, v102, v96
	v_bfe_u32 v112, v103, 20, 1
	v_cmp_eq_u32_e64 s12, v96, v113
	v_add_nc_u32_e32 v102, -1, v112
	v_cndmask_b32_e64 v96, 0, v102, s12
	v_lshrrev_b32_e32 v102, 23, v103
	s_mov_b32 s12, exec_lo
	v_add_nc_u32_e32 v96, v96, v103
	v_xor_b32_e32 v102, 1, v102
	v_and_b32_e32 v38, 0xfffff, v96
	v_add_nc_u32_e32 v96, v38, v103
                                        ; implicit-def: $vgpr38
	v_cmpx_ne_u32_e64 v101, v102
	s_xor_b32 s12, exec_lo, s12
; %bb.3400:                             ;   in Loop: Header=BB2_3285 Depth=2
	v_cmp_lt_u32_e32 vcc_lo, 0xffffff, v96
	v_sub_nc_u32_e32 v38, v101, v102
	v_cndmask_b32_e64 v101, 0, 1, vcc_lo
	v_add_co_ci_u32_e64 v38, null, 0, v38, vcc_lo
	v_lshrrev_b32_e32 v96, v101, v96
; %bb.3401:                             ;   in Loop: Header=BB2_3285 Depth=2
	s_andn2_saveexec_b32 s12, s12
; %bb.3402:                             ;   in Loop: Header=BB2_3285 Depth=2
	v_bfe_u32 v38, v96, 23, 1
; %bb.3403:                             ;   in Loop: Header=BB2_3285 Depth=2
	s_or_b32 exec_lo, exec_lo, s12
	v_lshrrev_b32_e32 v96, 20, v96
	v_cmp_gt_i32_e32 vcc_lo, 16, v38
	v_min_i32_e32 v101, 15, v38
	v_and_b32_sdwa v37, v37, v80 dst_sel:DWORD dst_unused:UNUSED_PAD src0_sel:BYTE_3 src1_sel:DWORD
	v_cndmask_b32_e32 v96, 7, v96, vcc_lo
	v_lshlrev_b32_e32 v101, 3, v101
	v_and_b32_e32 v102, 7, v96
	v_or_b32_e32 v38, v38, v96
	v_or3_b32 v37, v101, v37, v102
	v_cmp_ne_u32_e32 vcc_lo, 0, v38
	v_cndmask_b32_e32 v38, 0, v37, vcc_lo
.LBB2_3404:                             ;   in Loop: Header=BB2_3285 Depth=2
	s_or_b32 exec_lo, exec_lo, s28
.LBB2_3405:                             ;   in Loop: Header=BB2_3285 Depth=2
	s_or_b32 exec_lo, exec_lo, s27
	s_clause 0x7
	flat_load_ubyte v114, v[12:13] slc
	flat_load_ubyte v113, v[12:13] offset:32 slc
	flat_load_ubyte v112, v[12:13] offset:64 slc
	flat_load_ubyte v103, v[12:13] offset:96 slc
	flat_load_ubyte v102, v[12:13] offset:128 slc
	flat_load_ubyte v101, v[12:13] offset:160 slc
	flat_load_ubyte v96, v[12:13] offset:192 slc
	flat_load_ubyte v37, v[12:13] offset:224 slc
	v_cmp_gt_i16_sdwa s27, v51, v71 src0_sel:BYTE_0 src1_sel:DWORD
	s_mov_b32 s12, 0
	s_and_saveexec_b32 s28, s27
	s_xor_b32 s27, exec_lo, s28
	s_cbranch_execz .LBB2_3579
; %bb.3406:                             ;   in Loop: Header=BB2_3285 Depth=2
	v_cmp_eq_u16_sdwa s29, v51, v80 src0_sel:BYTE_0 src1_sel:DWORD
	s_mov_b32 s12, -1
	s_and_saveexec_b32 s28, s29
; %bb.3407:                             ;   in Loop: Header=BB2_3285 Depth=2
	s_xor_b32 s12, exec_lo, -1
; %bb.3408:                             ;   in Loop: Header=BB2_3285 Depth=2
	s_or_b32 exec_lo, exec_lo, s28
	s_and_b32 s12, s12, exec_lo
	s_or_saveexec_b32 s27, s27
	v_mov_b32_e32 v115, 0x7f800001
	s_xor_b32 exec_lo, exec_lo, s27
	s_cbranch_execnz .LBB2_3580
.LBB2_3409:                             ;   in Loop: Header=BB2_3285 Depth=2
	s_or_b32 exec_lo, exec_lo, s27
	s_and_saveexec_b32 s27, s12
	s_cbranch_execz .LBB2_3411
.LBB2_3410:                             ;   in Loop: Header=BB2_3285 Depth=2
	v_and_b32_e32 v115, 7, v51
	v_lshrrev_b16 v117, 3, v51
	v_ffbh_u32_e32 v116, v115
	v_and_b32_e32 v117, 15, v117
	v_min_u32_e32 v116, 32, v116
	v_cmp_eq_u32_e32 vcc_lo, 0, v117
	v_subrev_nc_u32_e32 v118, 28, v116
	v_sub_nc_u32_e32 v116, 29, v116
	v_lshlrev_b32_e32 v118, v118, v51
	v_lshlrev_b32_e32 v51, 24, v51
	v_cndmask_b32_e32 v116, v117, v116, vcc_lo
	v_and_b32_e32 v118, 7, v118
	v_and_b32_e32 v51, 0x80000000, v51
	v_lshl_add_u32 v116, v116, 23, 0x3b800000
	v_cndmask_b32_e32 v115, v115, v118, vcc_lo
	v_lshlrev_b32_e32 v115, 20, v115
	v_or3_b32 v115, v51, v116, v115
.LBB2_3411:                             ;   in Loop: Header=BB2_3285 Depth=2
	s_or_b32 exec_lo, exec_lo, s27
	s_waitcnt vmcnt(7) lgkmcnt(7)
	v_cmp_gt_i16_sdwa s27, v114, v71 src0_sel:BYTE_0 src1_sel:DWORD
	s_mov_b32 s12, 0
	s_and_saveexec_b32 s28, s27
	s_xor_b32 s27, exec_lo, s28
	s_cbranch_execz .LBB2_3581
; %bb.3412:                             ;   in Loop: Header=BB2_3285 Depth=2
	v_cmp_eq_u16_sdwa s29, v114, v80 src0_sel:BYTE_0 src1_sel:DWORD
	s_mov_b32 s12, -1
	s_and_saveexec_b32 s28, s29
; %bb.3413:                             ;   in Loop: Header=BB2_3285 Depth=2
	s_xor_b32 s12, exec_lo, -1
; %bb.3414:                             ;   in Loop: Header=BB2_3285 Depth=2
	s_or_b32 exec_lo, exec_lo, s28
	s_and_b32 s12, s12, exec_lo
	s_or_saveexec_b32 s27, s27
	v_mov_b32_e32 v51, 0x7f800001
	s_xor_b32 exec_lo, exec_lo, s27
	s_cbranch_execnz .LBB2_3582
.LBB2_3415:                             ;   in Loop: Header=BB2_3285 Depth=2
	s_or_b32 exec_lo, exec_lo, s27
	s_and_saveexec_b32 s27, s12
	s_cbranch_execz .LBB2_3417
.LBB2_3416:                             ;   in Loop: Header=BB2_3285 Depth=2
	v_and_b32_e32 v51, 7, v114
	v_lshrrev_b16 v117, 3, v114
	v_ffbh_u32_e32 v116, v51
	v_and_b32_e32 v117, 15, v117
	v_min_u32_e32 v116, 32, v116
	v_cmp_eq_u32_e32 vcc_lo, 0, v117
	v_subrev_nc_u32_e32 v118, 28, v116
	v_sub_nc_u32_e32 v116, 29, v116
	v_lshlrev_b32_e32 v118, v118, v114
	v_lshlrev_b32_e32 v114, 24, v114
	v_cndmask_b32_e32 v116, v117, v116, vcc_lo
	v_and_b32_e32 v118, 7, v118
	v_and_b32_e32 v114, 0x80000000, v114
	v_lshl_add_u32 v116, v116, 23, 0x3b800000
	v_cndmask_b32_e32 v51, v51, v118, vcc_lo
	v_lshlrev_b32_e32 v51, 20, v51
	v_or3_b32 v51, v114, v116, v51
.LBB2_3417:                             ;   in Loop: Header=BB2_3285 Depth=2
	s_or_b32 exec_lo, exec_lo, s27
	v_add_f32_e32 v114, v115, v51
	v_and_b32_e32 v51, 0x7f800000, v114
	v_cmp_ne_u32_e32 vcc_lo, 0x7f800000, v51
	v_mov_b32_e32 v51, 0x80
	s_and_saveexec_b32 s27, vcc_lo
	s_cbranch_execz .LBB2_3425
; %bb.3418:                             ;   in Loop: Header=BB2_3285 Depth=2
	v_mov_b32_e32 v51, 0
	s_mov_b32 s28, exec_lo
	v_cmpx_ne_u32_e32 0, v114
	s_cbranch_execz .LBB2_3424
; %bb.3419:                             ;   in Loop: Header=BB2_3285 Depth=2
	v_bfe_u32 v51, v114, 23, 8
	v_and_b32_e32 v115, 0x7fffff, v114
	v_sub_nc_u32_e32 v116, 0x78, v51
	v_cmp_gt_u32_e32 vcc_lo, 0x79, v51
	v_or_b32_e32 v117, 0x800000, v115
	v_cndmask_b32_e32 v116, 0, v116, vcc_lo
	v_cmp_eq_u32_e32 vcc_lo, 0, v51
	v_add_nc_u32_e32 v51, 0xffffff89, v51
	v_cndmask_b32_e64 v116, v116, 0x77, vcc_lo
	v_cndmask_b32_e32 v115, v117, v115, vcc_lo
	v_cndmask_b32_e64 v51, v51, 0xffffff8a, vcc_lo
	v_lshl_add_u32 v117, 0x100000, v116, -1
	v_lshrrev_b32_e32 v118, v116, v115
	v_lshlrev_b32_e64 v40, v116, 0x80000
	v_add_nc_u32_e32 v116, v116, v51
	v_and_b32_e32 v115, v117, v115
	v_bfe_u32 v119, v118, 20, 1
	v_cmp_eq_u32_e64 s12, v115, v40
	v_add_nc_u32_e32 v117, -1, v119
	v_cndmask_b32_e64 v115, 0, v117, s12
	v_lshrrev_b32_e32 v117, 23, v118
	s_mov_b32 s12, exec_lo
	v_add_nc_u32_e32 v115, v115, v118
	v_xor_b32_e32 v117, 1, v117
	v_and_b32_e32 v51, 0xfffff, v115
	v_add_nc_u32_e32 v115, v51, v118
                                        ; implicit-def: $vgpr51
	v_cmpx_ne_u32_e64 v116, v117
	s_xor_b32 s12, exec_lo, s12
; %bb.3420:                             ;   in Loop: Header=BB2_3285 Depth=2
	v_cmp_lt_u32_e32 vcc_lo, 0xffffff, v115
	v_sub_nc_u32_e32 v51, v116, v117
	v_cndmask_b32_e64 v116, 0, 1, vcc_lo
	v_add_co_ci_u32_e64 v51, null, 0, v51, vcc_lo
	v_lshrrev_b32_e32 v115, v116, v115
; %bb.3421:                             ;   in Loop: Header=BB2_3285 Depth=2
	s_andn2_saveexec_b32 s12, s12
; %bb.3422:                             ;   in Loop: Header=BB2_3285 Depth=2
	v_bfe_u32 v51, v115, 23, 1
; %bb.3423:                             ;   in Loop: Header=BB2_3285 Depth=2
	s_or_b32 exec_lo, exec_lo, s12
	v_lshrrev_b32_e32 v115, 20, v115
	v_cmp_gt_i32_e32 vcc_lo, 16, v51
	v_min_i32_e32 v116, 15, v51
	v_and_b32_sdwa v114, v114, v80 dst_sel:DWORD dst_unused:UNUSED_PAD src0_sel:BYTE_3 src1_sel:DWORD
	v_cndmask_b32_e32 v115, 7, v115, vcc_lo
	v_lshlrev_b32_e32 v116, 3, v116
	v_and_b32_e32 v117, 7, v115
	v_or_b32_e32 v51, v51, v115
	v_or3_b32 v114, v116, v114, v117
	v_cmp_ne_u32_e32 vcc_lo, 0, v51
	v_cndmask_b32_e32 v51, 0, v114, vcc_lo
.LBB2_3424:                             ;   in Loop: Header=BB2_3285 Depth=2
	s_or_b32 exec_lo, exec_lo, s28
.LBB2_3425:                             ;   in Loop: Header=BB2_3285 Depth=2
	s_or_b32 exec_lo, exec_lo, s27
	v_cmp_gt_i16_sdwa s27, v99, v71 src0_sel:BYTE_0 src1_sel:DWORD
	s_mov_b32 s12, 0
	s_and_saveexec_b32 s28, s27
	s_xor_b32 s27, exec_lo, s28
	s_cbranch_execz .LBB2_3583
; %bb.3426:                             ;   in Loop: Header=BB2_3285 Depth=2
	v_cmp_eq_u16_sdwa s29, v99, v80 src0_sel:BYTE_0 src1_sel:DWORD
	s_mov_b32 s12, -1
	s_and_saveexec_b32 s28, s29
; %bb.3427:                             ;   in Loop: Header=BB2_3285 Depth=2
	s_xor_b32 s12, exec_lo, -1
; %bb.3428:                             ;   in Loop: Header=BB2_3285 Depth=2
	s_or_b32 exec_lo, exec_lo, s28
	s_and_b32 s12, s12, exec_lo
	s_or_saveexec_b32 s27, s27
	v_mov_b32_e32 v114, 0x7f800001
	s_xor_b32 exec_lo, exec_lo, s27
	s_cbranch_execnz .LBB2_3584
.LBB2_3429:                             ;   in Loop: Header=BB2_3285 Depth=2
	s_or_b32 exec_lo, exec_lo, s27
	s_and_saveexec_b32 s27, s12
	s_cbranch_execz .LBB2_3431
.LBB2_3430:                             ;   in Loop: Header=BB2_3285 Depth=2
	v_and_b32_e32 v114, 7, v99
	v_lshrrev_b16 v116, 3, v99
	v_ffbh_u32_e32 v115, v114
	v_and_b32_e32 v116, 15, v116
	v_min_u32_e32 v115, 32, v115
	v_cmp_eq_u32_e32 vcc_lo, 0, v116
	v_subrev_nc_u32_e32 v117, 28, v115
	v_sub_nc_u32_e32 v115, 29, v115
	v_lshlrev_b32_e32 v117, v117, v99
	v_lshlrev_b32_e32 v99, 24, v99
	v_cndmask_b32_e32 v115, v116, v115, vcc_lo
	v_and_b32_e32 v117, 7, v117
	v_and_b32_e32 v99, 0x80000000, v99
	v_lshl_add_u32 v115, v115, 23, 0x3b800000
	v_cndmask_b32_e32 v114, v114, v117, vcc_lo
	v_lshlrev_b32_e32 v114, 20, v114
	v_or3_b32 v114, v99, v115, v114
.LBB2_3431:                             ;   in Loop: Header=BB2_3285 Depth=2
	s_or_b32 exec_lo, exec_lo, s27
	s_waitcnt vmcnt(6) lgkmcnt(6)
	v_cmp_gt_i16_sdwa s27, v113, v71 src0_sel:BYTE_0 src1_sel:DWORD
	s_mov_b32 s12, 0
	s_and_saveexec_b32 s28, s27
	s_xor_b32 s27, exec_lo, s28
	s_cbranch_execz .LBB2_3585
; %bb.3432:                             ;   in Loop: Header=BB2_3285 Depth=2
	v_cmp_eq_u16_sdwa s29, v113, v80 src0_sel:BYTE_0 src1_sel:DWORD
	s_mov_b32 s12, -1
	s_and_saveexec_b32 s28, s29
; %bb.3433:                             ;   in Loop: Header=BB2_3285 Depth=2
	s_xor_b32 s12, exec_lo, -1
; %bb.3434:                             ;   in Loop: Header=BB2_3285 Depth=2
	s_or_b32 exec_lo, exec_lo, s28
	s_and_b32 s12, s12, exec_lo
	s_or_saveexec_b32 s27, s27
	v_mov_b32_e32 v99, 0x7f800001
	s_xor_b32 exec_lo, exec_lo, s27
	s_cbranch_execnz .LBB2_3586
.LBB2_3435:                             ;   in Loop: Header=BB2_3285 Depth=2
	s_or_b32 exec_lo, exec_lo, s27
	s_and_saveexec_b32 s27, s12
	s_cbranch_execz .LBB2_3437
.LBB2_3436:                             ;   in Loop: Header=BB2_3285 Depth=2
	v_and_b32_e32 v99, 7, v113
	v_lshrrev_b16 v116, 3, v113
	v_ffbh_u32_e32 v115, v99
	v_and_b32_e32 v116, 15, v116
	v_min_u32_e32 v115, 32, v115
	v_cmp_eq_u32_e32 vcc_lo, 0, v116
	v_subrev_nc_u32_e32 v117, 28, v115
	v_sub_nc_u32_e32 v115, 29, v115
	v_lshlrev_b32_e32 v117, v117, v113
	v_lshlrev_b32_e32 v113, 24, v113
	v_cndmask_b32_e32 v115, v116, v115, vcc_lo
	v_and_b32_e32 v117, 7, v117
	v_and_b32_e32 v113, 0x80000000, v113
	v_lshl_add_u32 v115, v115, 23, 0x3b800000
	v_cndmask_b32_e32 v99, v99, v117, vcc_lo
	v_lshlrev_b32_e32 v99, 20, v99
	v_or3_b32 v99, v113, v115, v99
.LBB2_3437:                             ;   in Loop: Header=BB2_3285 Depth=2
	s_or_b32 exec_lo, exec_lo, s27
	v_add_f32_e32 v113, v114, v99
	v_and_b32_e32 v99, 0x7f800000, v113
	v_cmp_ne_u32_e32 vcc_lo, 0x7f800000, v99
	v_mov_b32_e32 v99, 0x80
	s_and_saveexec_b32 s27, vcc_lo
	s_cbranch_execz .LBB2_3445
; %bb.3438:                             ;   in Loop: Header=BB2_3285 Depth=2
	v_mov_b32_e32 v99, 0
	s_mov_b32 s28, exec_lo
	v_cmpx_ne_u32_e32 0, v113
	s_cbranch_execz .LBB2_3444
; %bb.3439:                             ;   in Loop: Header=BB2_3285 Depth=2
	v_bfe_u32 v99, v113, 23, 8
	v_and_b32_e32 v114, 0x7fffff, v113
	v_sub_nc_u32_e32 v115, 0x78, v99
	v_cmp_gt_u32_e32 vcc_lo, 0x79, v99
	v_or_b32_e32 v116, 0x800000, v114
	v_cndmask_b32_e32 v115, 0, v115, vcc_lo
	v_cmp_eq_u32_e32 vcc_lo, 0, v99
	v_add_nc_u32_e32 v99, 0xffffff89, v99
	v_cndmask_b32_e64 v115, v115, 0x77, vcc_lo
	v_cndmask_b32_e32 v114, v116, v114, vcc_lo
	v_cndmask_b32_e64 v99, v99, 0xffffff8a, vcc_lo
	v_lshl_add_u32 v116, 0x100000, v115, -1
	v_lshrrev_b32_e32 v117, v115, v114
	v_lshlrev_b32_e64 v119, v115, 0x80000
	v_add_nc_u32_e32 v115, v115, v99
	v_and_b32_e32 v114, v116, v114
	v_bfe_u32 v118, v117, 20, 1
	v_cmp_eq_u32_e64 s12, v114, v119
	v_add_nc_u32_e32 v116, -1, v118
	v_cndmask_b32_e64 v114, 0, v116, s12
	v_lshrrev_b32_e32 v116, 23, v117
	s_mov_b32 s12, exec_lo
	v_add_nc_u32_e32 v114, v114, v117
	v_xor_b32_e32 v116, 1, v116
	v_and_b32_e32 v99, 0xfffff, v114
	v_add_nc_u32_e32 v114, v99, v117
                                        ; implicit-def: $vgpr99
	v_cmpx_ne_u32_e64 v115, v116
	s_xor_b32 s12, exec_lo, s12
; %bb.3440:                             ;   in Loop: Header=BB2_3285 Depth=2
	v_cmp_lt_u32_e32 vcc_lo, 0xffffff, v114
	v_sub_nc_u32_e32 v99, v115, v116
	v_cndmask_b32_e64 v115, 0, 1, vcc_lo
	v_add_co_ci_u32_e64 v99, null, 0, v99, vcc_lo
	v_lshrrev_b32_e32 v114, v115, v114
; %bb.3441:                             ;   in Loop: Header=BB2_3285 Depth=2
	s_andn2_saveexec_b32 s12, s12
; %bb.3442:                             ;   in Loop: Header=BB2_3285 Depth=2
	v_bfe_u32 v99, v114, 23, 1
; %bb.3443:                             ;   in Loop: Header=BB2_3285 Depth=2
	s_or_b32 exec_lo, exec_lo, s12
	v_lshrrev_b32_e32 v114, 20, v114
	v_cmp_gt_i32_e32 vcc_lo, 16, v99
	v_min_i32_e32 v115, 15, v99
	v_and_b32_sdwa v113, v113, v80 dst_sel:DWORD dst_unused:UNUSED_PAD src0_sel:BYTE_3 src1_sel:DWORD
	v_cndmask_b32_e32 v114, 7, v114, vcc_lo
	v_lshlrev_b32_e32 v115, 3, v115
	v_and_b32_e32 v116, 7, v114
	v_or_b32_e32 v99, v99, v114
	v_or3_b32 v113, v115, v113, v116
	v_cmp_ne_u32_e32 vcc_lo, 0, v99
	v_cndmask_b32_e32 v99, 0, v113, vcc_lo
.LBB2_3444:                             ;   in Loop: Header=BB2_3285 Depth=2
	s_or_b32 exec_lo, exec_lo, s28
.LBB2_3445:                             ;   in Loop: Header=BB2_3285 Depth=2
	s_or_b32 exec_lo, exec_lo, s27
	v_cmp_gt_i16_sdwa s27, v100, v71 src0_sel:BYTE_0 src1_sel:DWORD
	s_mov_b32 s12, 0
	s_and_saveexec_b32 s28, s27
	s_xor_b32 s27, exec_lo, s28
	s_cbranch_execz .LBB2_3587
; %bb.3446:                             ;   in Loop: Header=BB2_3285 Depth=2
	v_cmp_eq_u16_sdwa s29, v100, v80 src0_sel:BYTE_0 src1_sel:DWORD
	s_mov_b32 s12, -1
	s_and_saveexec_b32 s28, s29
; %bb.3447:                             ;   in Loop: Header=BB2_3285 Depth=2
	s_xor_b32 s12, exec_lo, -1
; %bb.3448:                             ;   in Loop: Header=BB2_3285 Depth=2
	s_or_b32 exec_lo, exec_lo, s28
	s_and_b32 s12, s12, exec_lo
	s_or_saveexec_b32 s27, s27
	v_mov_b32_e32 v113, 0x7f800001
	s_xor_b32 exec_lo, exec_lo, s27
	s_cbranch_execnz .LBB2_3588
.LBB2_3449:                             ;   in Loop: Header=BB2_3285 Depth=2
	s_or_b32 exec_lo, exec_lo, s27
	s_and_saveexec_b32 s27, s12
	s_cbranch_execz .LBB2_3451
.LBB2_3450:                             ;   in Loop: Header=BB2_3285 Depth=2
	v_and_b32_e32 v113, 7, v100
	v_lshrrev_b16 v115, 3, v100
	v_ffbh_u32_e32 v114, v113
	v_and_b32_e32 v115, 15, v115
	v_min_u32_e32 v114, 32, v114
	v_cmp_eq_u32_e32 vcc_lo, 0, v115
	v_subrev_nc_u32_e32 v116, 28, v114
	v_sub_nc_u32_e32 v114, 29, v114
	v_lshlrev_b32_e32 v116, v116, v100
	v_lshlrev_b32_e32 v100, 24, v100
	v_cndmask_b32_e32 v114, v115, v114, vcc_lo
	v_and_b32_e32 v116, 7, v116
	v_and_b32_e32 v100, 0x80000000, v100
	v_lshl_add_u32 v114, v114, 23, 0x3b800000
	v_cndmask_b32_e32 v113, v113, v116, vcc_lo
	v_lshlrev_b32_e32 v113, 20, v113
	v_or3_b32 v113, v100, v114, v113
.LBB2_3451:                             ;   in Loop: Header=BB2_3285 Depth=2
	s_or_b32 exec_lo, exec_lo, s27
	s_waitcnt vmcnt(5) lgkmcnt(5)
	v_cmp_gt_i16_sdwa s27, v112, v71 src0_sel:BYTE_0 src1_sel:DWORD
	s_mov_b32 s12, 0
	s_and_saveexec_b32 s28, s27
	s_xor_b32 s27, exec_lo, s28
	s_cbranch_execz .LBB2_3589
; %bb.3452:                             ;   in Loop: Header=BB2_3285 Depth=2
	v_cmp_eq_u16_sdwa s29, v112, v80 src0_sel:BYTE_0 src1_sel:DWORD
	s_mov_b32 s12, -1
	s_and_saveexec_b32 s28, s29
; %bb.3453:                             ;   in Loop: Header=BB2_3285 Depth=2
	s_xor_b32 s12, exec_lo, -1
; %bb.3454:                             ;   in Loop: Header=BB2_3285 Depth=2
	s_or_b32 exec_lo, exec_lo, s28
	s_and_b32 s12, s12, exec_lo
	s_or_saveexec_b32 s27, s27
	v_mov_b32_e32 v100, 0x7f800001
	s_xor_b32 exec_lo, exec_lo, s27
	s_cbranch_execnz .LBB2_3590
.LBB2_3455:                             ;   in Loop: Header=BB2_3285 Depth=2
	s_or_b32 exec_lo, exec_lo, s27
	s_and_saveexec_b32 s27, s12
	s_cbranch_execz .LBB2_3457
.LBB2_3456:                             ;   in Loop: Header=BB2_3285 Depth=2
	v_and_b32_e32 v100, 7, v112
	v_lshrrev_b16 v115, 3, v112
	v_ffbh_u32_e32 v114, v100
	v_and_b32_e32 v115, 15, v115
	v_min_u32_e32 v114, 32, v114
	v_cmp_eq_u32_e32 vcc_lo, 0, v115
	v_subrev_nc_u32_e32 v116, 28, v114
	v_sub_nc_u32_e32 v114, 29, v114
	v_lshlrev_b32_e32 v116, v116, v112
	v_lshlrev_b32_e32 v112, 24, v112
	v_cndmask_b32_e32 v114, v115, v114, vcc_lo
	v_and_b32_e32 v116, 7, v116
	v_and_b32_e32 v112, 0x80000000, v112
	v_lshl_add_u32 v114, v114, 23, 0x3b800000
	v_cndmask_b32_e32 v100, v100, v116, vcc_lo
	v_lshlrev_b32_e32 v100, 20, v100
	v_or3_b32 v100, v112, v114, v100
.LBB2_3457:                             ;   in Loop: Header=BB2_3285 Depth=2
	s_or_b32 exec_lo, exec_lo, s27
	v_add_f32_e32 v112, v113, v100
	v_and_b32_e32 v100, 0x7f800000, v112
	v_cmp_ne_u32_e32 vcc_lo, 0x7f800000, v100
	v_mov_b32_e32 v100, 0x80
	s_and_saveexec_b32 s27, vcc_lo
	s_cbranch_execz .LBB2_3465
; %bb.3458:                             ;   in Loop: Header=BB2_3285 Depth=2
	v_mov_b32_e32 v100, 0
	s_mov_b32 s28, exec_lo
	v_cmpx_ne_u32_e32 0, v112
	s_cbranch_execz .LBB2_3464
; %bb.3459:                             ;   in Loop: Header=BB2_3285 Depth=2
	v_bfe_u32 v100, v112, 23, 8
	v_and_b32_e32 v113, 0x7fffff, v112
	v_sub_nc_u32_e32 v114, 0x78, v100
	v_cmp_gt_u32_e32 vcc_lo, 0x79, v100
	v_or_b32_e32 v115, 0x800000, v113
	v_cndmask_b32_e32 v114, 0, v114, vcc_lo
	v_cmp_eq_u32_e32 vcc_lo, 0, v100
	v_add_nc_u32_e32 v100, 0xffffff89, v100
	v_cndmask_b32_e64 v114, v114, 0x77, vcc_lo
	v_cndmask_b32_e32 v113, v115, v113, vcc_lo
	v_cndmask_b32_e64 v100, v100, 0xffffff8a, vcc_lo
	v_lshl_add_u32 v115, 0x100000, v114, -1
	v_lshrrev_b32_e32 v116, v114, v113
	v_lshlrev_b32_e64 v118, v114, 0x80000
	v_add_nc_u32_e32 v114, v114, v100
	v_and_b32_e32 v113, v115, v113
	v_bfe_u32 v117, v116, 20, 1
	v_cmp_eq_u32_e64 s12, v113, v118
	v_add_nc_u32_e32 v115, -1, v117
	v_cndmask_b32_e64 v113, 0, v115, s12
	v_lshrrev_b32_e32 v115, 23, v116
	s_mov_b32 s12, exec_lo
	v_add_nc_u32_e32 v113, v113, v116
	v_xor_b32_e32 v115, 1, v115
	v_and_b32_e32 v100, 0xfffff, v113
	v_add_nc_u32_e32 v113, v100, v116
                                        ; implicit-def: $vgpr100
	v_cmpx_ne_u32_e64 v114, v115
	s_xor_b32 s12, exec_lo, s12
; %bb.3460:                             ;   in Loop: Header=BB2_3285 Depth=2
	v_cmp_lt_u32_e32 vcc_lo, 0xffffff, v113
	v_sub_nc_u32_e32 v100, v114, v115
	v_cndmask_b32_e64 v114, 0, 1, vcc_lo
	v_add_co_ci_u32_e64 v100, null, 0, v100, vcc_lo
	v_lshrrev_b32_e32 v113, v114, v113
; %bb.3461:                             ;   in Loop: Header=BB2_3285 Depth=2
	s_andn2_saveexec_b32 s12, s12
; %bb.3462:                             ;   in Loop: Header=BB2_3285 Depth=2
	v_bfe_u32 v100, v113, 23, 1
; %bb.3463:                             ;   in Loop: Header=BB2_3285 Depth=2
	s_or_b32 exec_lo, exec_lo, s12
	v_lshrrev_b32_e32 v113, 20, v113
	v_cmp_gt_i32_e32 vcc_lo, 16, v100
	v_min_i32_e32 v114, 15, v100
	v_and_b32_sdwa v112, v112, v80 dst_sel:DWORD dst_unused:UNUSED_PAD src0_sel:BYTE_3 src1_sel:DWORD
	v_cndmask_b32_e32 v113, 7, v113, vcc_lo
	v_lshlrev_b32_e32 v114, 3, v114
	v_and_b32_e32 v115, 7, v113
	v_or_b32_e32 v100, v100, v113
	v_or3_b32 v112, v114, v112, v115
	v_cmp_ne_u32_e32 vcc_lo, 0, v100
	v_cndmask_b32_e32 v100, 0, v112, vcc_lo
.LBB2_3464:                             ;   in Loop: Header=BB2_3285 Depth=2
	s_or_b32 exec_lo, exec_lo, s28
.LBB2_3465:                             ;   in Loop: Header=BB2_3285 Depth=2
	s_or_b32 exec_lo, exec_lo, s27
	v_cmp_gt_i16_sdwa s27, v98, v71 src0_sel:BYTE_0 src1_sel:DWORD
	s_mov_b32 s12, 0
	s_and_saveexec_b32 s28, s27
	s_xor_b32 s27, exec_lo, s28
	s_cbranch_execz .LBB2_3591
; %bb.3466:                             ;   in Loop: Header=BB2_3285 Depth=2
	v_cmp_eq_u16_sdwa s29, v98, v80 src0_sel:BYTE_0 src1_sel:DWORD
	s_mov_b32 s12, -1
	s_and_saveexec_b32 s28, s29
; %bb.3467:                             ;   in Loop: Header=BB2_3285 Depth=2
	s_xor_b32 s12, exec_lo, -1
; %bb.3468:                             ;   in Loop: Header=BB2_3285 Depth=2
	s_or_b32 exec_lo, exec_lo, s28
	s_and_b32 s12, s12, exec_lo
	s_or_saveexec_b32 s27, s27
	v_mov_b32_e32 v112, 0x7f800001
	s_xor_b32 exec_lo, exec_lo, s27
	s_cbranch_execnz .LBB2_3592
.LBB2_3469:                             ;   in Loop: Header=BB2_3285 Depth=2
	s_or_b32 exec_lo, exec_lo, s27
	s_and_saveexec_b32 s27, s12
	s_cbranch_execz .LBB2_3471
.LBB2_3470:                             ;   in Loop: Header=BB2_3285 Depth=2
	v_and_b32_e32 v112, 7, v98
	v_lshrrev_b16 v114, 3, v98
	v_ffbh_u32_e32 v113, v112
	v_and_b32_e32 v114, 15, v114
	v_min_u32_e32 v113, 32, v113
	v_cmp_eq_u32_e32 vcc_lo, 0, v114
	v_subrev_nc_u32_e32 v115, 28, v113
	v_sub_nc_u32_e32 v113, 29, v113
	v_lshlrev_b32_e32 v115, v115, v98
	v_lshlrev_b32_e32 v98, 24, v98
	v_cndmask_b32_e32 v113, v114, v113, vcc_lo
	v_and_b32_e32 v115, 7, v115
	v_and_b32_e32 v98, 0x80000000, v98
	v_lshl_add_u32 v113, v113, 23, 0x3b800000
	v_cndmask_b32_e32 v112, v112, v115, vcc_lo
	v_lshlrev_b32_e32 v112, 20, v112
	v_or3_b32 v112, v98, v113, v112
.LBB2_3471:                             ;   in Loop: Header=BB2_3285 Depth=2
	s_or_b32 exec_lo, exec_lo, s27
	s_waitcnt vmcnt(4) lgkmcnt(4)
	v_cmp_gt_i16_sdwa s27, v103, v71 src0_sel:BYTE_0 src1_sel:DWORD
	s_mov_b32 s12, 0
	s_and_saveexec_b32 s28, s27
	s_xor_b32 s27, exec_lo, s28
	s_cbranch_execz .LBB2_3593
; %bb.3472:                             ;   in Loop: Header=BB2_3285 Depth=2
	v_cmp_eq_u16_sdwa s29, v103, v80 src0_sel:BYTE_0 src1_sel:DWORD
	s_mov_b32 s12, -1
	s_and_saveexec_b32 s28, s29
; %bb.3473:                             ;   in Loop: Header=BB2_3285 Depth=2
	s_xor_b32 s12, exec_lo, -1
; %bb.3474:                             ;   in Loop: Header=BB2_3285 Depth=2
	s_or_b32 exec_lo, exec_lo, s28
	s_and_b32 s12, s12, exec_lo
	s_or_saveexec_b32 s27, s27
	v_mov_b32_e32 v98, 0x7f800001
	s_xor_b32 exec_lo, exec_lo, s27
	s_cbranch_execnz .LBB2_3594
.LBB2_3475:                             ;   in Loop: Header=BB2_3285 Depth=2
	s_or_b32 exec_lo, exec_lo, s27
	s_and_saveexec_b32 s27, s12
	s_cbranch_execz .LBB2_3477
.LBB2_3476:                             ;   in Loop: Header=BB2_3285 Depth=2
	v_and_b32_e32 v98, 7, v103
	v_lshrrev_b16 v114, 3, v103
	v_ffbh_u32_e32 v113, v98
	v_and_b32_e32 v114, 15, v114
	v_min_u32_e32 v113, 32, v113
	v_cmp_eq_u32_e32 vcc_lo, 0, v114
	v_subrev_nc_u32_e32 v115, 28, v113
	v_sub_nc_u32_e32 v113, 29, v113
	v_lshlrev_b32_e32 v115, v115, v103
	v_lshlrev_b32_e32 v103, 24, v103
	v_cndmask_b32_e32 v113, v114, v113, vcc_lo
	v_and_b32_e32 v115, 7, v115
	v_and_b32_e32 v103, 0x80000000, v103
	v_lshl_add_u32 v113, v113, 23, 0x3b800000
	v_cndmask_b32_e32 v98, v98, v115, vcc_lo
	v_lshlrev_b32_e32 v98, 20, v98
	v_or3_b32 v98, v103, v113, v98
.LBB2_3477:                             ;   in Loop: Header=BB2_3285 Depth=2
	s_or_b32 exec_lo, exec_lo, s27
	v_add_f32_e32 v103, v112, v98
	v_and_b32_e32 v98, 0x7f800000, v103
	v_cmp_ne_u32_e32 vcc_lo, 0x7f800000, v98
	v_mov_b32_e32 v98, 0x80
	s_and_saveexec_b32 s27, vcc_lo
	s_cbranch_execz .LBB2_3485
; %bb.3478:                             ;   in Loop: Header=BB2_3285 Depth=2
	v_mov_b32_e32 v98, 0
	s_mov_b32 s28, exec_lo
	v_cmpx_ne_u32_e32 0, v103
	s_cbranch_execz .LBB2_3484
; %bb.3479:                             ;   in Loop: Header=BB2_3285 Depth=2
	v_bfe_u32 v98, v103, 23, 8
	v_and_b32_e32 v112, 0x7fffff, v103
	v_sub_nc_u32_e32 v113, 0x78, v98
	v_cmp_gt_u32_e32 vcc_lo, 0x79, v98
	v_or_b32_e32 v114, 0x800000, v112
	v_cndmask_b32_e32 v113, 0, v113, vcc_lo
	v_cmp_eq_u32_e32 vcc_lo, 0, v98
	v_add_nc_u32_e32 v98, 0xffffff89, v98
	v_cndmask_b32_e64 v113, v113, 0x77, vcc_lo
	v_cndmask_b32_e32 v112, v114, v112, vcc_lo
	v_cndmask_b32_e64 v98, v98, 0xffffff8a, vcc_lo
	v_lshl_add_u32 v114, 0x100000, v113, -1
	v_lshrrev_b32_e32 v115, v113, v112
	v_lshlrev_b32_e64 v117, v113, 0x80000
	v_add_nc_u32_e32 v113, v113, v98
	v_and_b32_e32 v112, v114, v112
	v_bfe_u32 v116, v115, 20, 1
	v_cmp_eq_u32_e64 s12, v112, v117
	v_add_nc_u32_e32 v114, -1, v116
	v_cndmask_b32_e64 v112, 0, v114, s12
	v_lshrrev_b32_e32 v114, 23, v115
	s_mov_b32 s12, exec_lo
	v_add_nc_u32_e32 v112, v112, v115
	v_xor_b32_e32 v114, 1, v114
	v_and_b32_e32 v98, 0xfffff, v112
	v_add_nc_u32_e32 v112, v98, v115
                                        ; implicit-def: $vgpr98
	v_cmpx_ne_u32_e64 v113, v114
	s_xor_b32 s12, exec_lo, s12
; %bb.3480:                             ;   in Loop: Header=BB2_3285 Depth=2
	v_cmp_lt_u32_e32 vcc_lo, 0xffffff, v112
	v_sub_nc_u32_e32 v98, v113, v114
	v_cndmask_b32_e64 v113, 0, 1, vcc_lo
	v_add_co_ci_u32_e64 v98, null, 0, v98, vcc_lo
	v_lshrrev_b32_e32 v112, v113, v112
; %bb.3481:                             ;   in Loop: Header=BB2_3285 Depth=2
	s_andn2_saveexec_b32 s12, s12
; %bb.3482:                             ;   in Loop: Header=BB2_3285 Depth=2
	v_bfe_u32 v98, v112, 23, 1
; %bb.3483:                             ;   in Loop: Header=BB2_3285 Depth=2
	s_or_b32 exec_lo, exec_lo, s12
	v_lshrrev_b32_e32 v112, 20, v112
	v_cmp_gt_i32_e32 vcc_lo, 16, v98
	v_min_i32_e32 v113, 15, v98
	v_and_b32_sdwa v103, v103, v80 dst_sel:DWORD dst_unused:UNUSED_PAD src0_sel:BYTE_3 src1_sel:DWORD
	v_cndmask_b32_e32 v112, 7, v112, vcc_lo
	v_lshlrev_b32_e32 v113, 3, v113
	v_and_b32_e32 v114, 7, v112
	v_or_b32_e32 v98, v98, v112
	v_or3_b32 v103, v113, v103, v114
	v_cmp_ne_u32_e32 vcc_lo, 0, v98
	v_cndmask_b32_e32 v98, 0, v103, vcc_lo
.LBB2_3484:                             ;   in Loop: Header=BB2_3285 Depth=2
	s_or_b32 exec_lo, exec_lo, s28
.LBB2_3485:                             ;   in Loop: Header=BB2_3285 Depth=2
	s_or_b32 exec_lo, exec_lo, s27
	v_cmp_gt_i16_sdwa s27, v97, v71 src0_sel:BYTE_0 src1_sel:DWORD
	s_mov_b32 s12, 0
	s_and_saveexec_b32 s28, s27
	s_xor_b32 s27, exec_lo, s28
	s_cbranch_execz .LBB2_3595
; %bb.3486:                             ;   in Loop: Header=BB2_3285 Depth=2
	v_cmp_eq_u16_sdwa s29, v97, v80 src0_sel:BYTE_0 src1_sel:DWORD
	s_mov_b32 s12, -1
	s_and_saveexec_b32 s28, s29
; %bb.3487:                             ;   in Loop: Header=BB2_3285 Depth=2
	s_xor_b32 s12, exec_lo, -1
; %bb.3488:                             ;   in Loop: Header=BB2_3285 Depth=2
	s_or_b32 exec_lo, exec_lo, s28
	s_and_b32 s12, s12, exec_lo
	s_or_saveexec_b32 s27, s27
	v_mov_b32_e32 v103, 0x7f800001
	s_xor_b32 exec_lo, exec_lo, s27
	s_cbranch_execnz .LBB2_3596
.LBB2_3489:                             ;   in Loop: Header=BB2_3285 Depth=2
	s_or_b32 exec_lo, exec_lo, s27
	s_and_saveexec_b32 s27, s12
	s_cbranch_execz .LBB2_3491
.LBB2_3490:                             ;   in Loop: Header=BB2_3285 Depth=2
	v_and_b32_e32 v103, 7, v97
	v_lshrrev_b16 v113, 3, v97
	v_ffbh_u32_e32 v112, v103
	v_and_b32_e32 v113, 15, v113
	v_min_u32_e32 v112, 32, v112
	v_cmp_eq_u32_e32 vcc_lo, 0, v113
	v_subrev_nc_u32_e32 v114, 28, v112
	v_sub_nc_u32_e32 v112, 29, v112
	v_lshlrev_b32_e32 v114, v114, v97
	v_lshlrev_b32_e32 v97, 24, v97
	v_cndmask_b32_e32 v112, v113, v112, vcc_lo
	v_and_b32_e32 v114, 7, v114
	v_and_b32_e32 v97, 0x80000000, v97
	v_lshl_add_u32 v112, v112, 23, 0x3b800000
	v_cndmask_b32_e32 v103, v103, v114, vcc_lo
	v_lshlrev_b32_e32 v103, 20, v103
	v_or3_b32 v103, v97, v112, v103
.LBB2_3491:                             ;   in Loop: Header=BB2_3285 Depth=2
	s_or_b32 exec_lo, exec_lo, s27
	s_waitcnt vmcnt(3) lgkmcnt(3)
	v_cmp_gt_i16_sdwa s27, v102, v71 src0_sel:BYTE_0 src1_sel:DWORD
	s_mov_b32 s12, 0
	s_and_saveexec_b32 s28, s27
	s_xor_b32 s27, exec_lo, s28
	s_cbranch_execz .LBB2_3597
; %bb.3492:                             ;   in Loop: Header=BB2_3285 Depth=2
	v_cmp_eq_u16_sdwa s29, v102, v80 src0_sel:BYTE_0 src1_sel:DWORD
	s_mov_b32 s12, -1
	s_and_saveexec_b32 s28, s29
; %bb.3493:                             ;   in Loop: Header=BB2_3285 Depth=2
	s_xor_b32 s12, exec_lo, -1
; %bb.3494:                             ;   in Loop: Header=BB2_3285 Depth=2
	s_or_b32 exec_lo, exec_lo, s28
	s_and_b32 s12, s12, exec_lo
	s_or_saveexec_b32 s27, s27
	v_mov_b32_e32 v97, 0x7f800001
	s_xor_b32 exec_lo, exec_lo, s27
	s_cbranch_execnz .LBB2_3598
.LBB2_3495:                             ;   in Loop: Header=BB2_3285 Depth=2
	s_or_b32 exec_lo, exec_lo, s27
	s_and_saveexec_b32 s27, s12
	s_cbranch_execz .LBB2_3497
.LBB2_3496:                             ;   in Loop: Header=BB2_3285 Depth=2
	v_and_b32_e32 v97, 7, v102
	v_lshrrev_b16 v113, 3, v102
	v_ffbh_u32_e32 v112, v97
	v_and_b32_e32 v113, 15, v113
	v_min_u32_e32 v112, 32, v112
	v_cmp_eq_u32_e32 vcc_lo, 0, v113
	v_subrev_nc_u32_e32 v114, 28, v112
	v_sub_nc_u32_e32 v112, 29, v112
	v_lshlrev_b32_e32 v114, v114, v102
	v_lshlrev_b32_e32 v102, 24, v102
	v_cndmask_b32_e32 v112, v113, v112, vcc_lo
	v_and_b32_e32 v114, 7, v114
	v_and_b32_e32 v102, 0x80000000, v102
	v_lshl_add_u32 v112, v112, 23, 0x3b800000
	v_cndmask_b32_e32 v97, v97, v114, vcc_lo
	v_lshlrev_b32_e32 v97, 20, v97
	v_or3_b32 v97, v102, v112, v97
.LBB2_3497:                             ;   in Loop: Header=BB2_3285 Depth=2
	s_or_b32 exec_lo, exec_lo, s27
	v_add_f32_e32 v102, v103, v97
	v_and_b32_e32 v97, 0x7f800000, v102
	v_cmp_ne_u32_e32 vcc_lo, 0x7f800000, v97
	v_mov_b32_e32 v97, 0x80
	s_and_saveexec_b32 s27, vcc_lo
	s_cbranch_execz .LBB2_3505
; %bb.3498:                             ;   in Loop: Header=BB2_3285 Depth=2
	v_mov_b32_e32 v97, 0
	s_mov_b32 s28, exec_lo
	v_cmpx_ne_u32_e32 0, v102
	s_cbranch_execz .LBB2_3504
; %bb.3499:                             ;   in Loop: Header=BB2_3285 Depth=2
	v_bfe_u32 v97, v102, 23, 8
	v_and_b32_e32 v103, 0x7fffff, v102
	v_sub_nc_u32_e32 v112, 0x78, v97
	v_cmp_gt_u32_e32 vcc_lo, 0x79, v97
	v_or_b32_e32 v113, 0x800000, v103
	v_cndmask_b32_e32 v112, 0, v112, vcc_lo
	v_cmp_eq_u32_e32 vcc_lo, 0, v97
	v_add_nc_u32_e32 v97, 0xffffff89, v97
	v_cndmask_b32_e64 v112, v112, 0x77, vcc_lo
	v_cndmask_b32_e32 v103, v113, v103, vcc_lo
	v_cndmask_b32_e64 v97, v97, 0xffffff8a, vcc_lo
	v_lshl_add_u32 v113, 0x100000, v112, -1
	v_lshrrev_b32_e32 v114, v112, v103
	v_lshlrev_b32_e64 v116, v112, 0x80000
	v_add_nc_u32_e32 v112, v112, v97
	v_and_b32_e32 v103, v113, v103
	v_bfe_u32 v115, v114, 20, 1
	v_cmp_eq_u32_e64 s12, v103, v116
	v_add_nc_u32_e32 v113, -1, v115
	v_cndmask_b32_e64 v103, 0, v113, s12
	v_lshrrev_b32_e32 v113, 23, v114
	s_mov_b32 s12, exec_lo
	v_add_nc_u32_e32 v103, v103, v114
	v_xor_b32_e32 v113, 1, v113
	v_and_b32_e32 v97, 0xfffff, v103
	v_add_nc_u32_e32 v103, v97, v114
                                        ; implicit-def: $vgpr97
	v_cmpx_ne_u32_e64 v112, v113
	s_xor_b32 s12, exec_lo, s12
; %bb.3500:                             ;   in Loop: Header=BB2_3285 Depth=2
	v_cmp_lt_u32_e32 vcc_lo, 0xffffff, v103
	v_sub_nc_u32_e32 v97, v112, v113
	v_cndmask_b32_e64 v112, 0, 1, vcc_lo
	v_add_co_ci_u32_e64 v97, null, 0, v97, vcc_lo
	v_lshrrev_b32_e32 v103, v112, v103
; %bb.3501:                             ;   in Loop: Header=BB2_3285 Depth=2
	s_andn2_saveexec_b32 s12, s12
; %bb.3502:                             ;   in Loop: Header=BB2_3285 Depth=2
	v_bfe_u32 v97, v103, 23, 1
; %bb.3503:                             ;   in Loop: Header=BB2_3285 Depth=2
	s_or_b32 exec_lo, exec_lo, s12
	v_lshrrev_b32_e32 v103, 20, v103
	v_cmp_gt_i32_e32 vcc_lo, 16, v97
	v_min_i32_e32 v112, 15, v97
	v_and_b32_sdwa v102, v102, v80 dst_sel:DWORD dst_unused:UNUSED_PAD src0_sel:BYTE_3 src1_sel:DWORD
	v_cndmask_b32_e32 v103, 7, v103, vcc_lo
	v_lshlrev_b32_e32 v112, 3, v112
	v_and_b32_e32 v113, 7, v103
	v_or_b32_e32 v97, v97, v103
	v_or3_b32 v102, v112, v102, v113
	v_cmp_ne_u32_e32 vcc_lo, 0, v97
	v_cndmask_b32_e32 v97, 0, v102, vcc_lo
.LBB2_3504:                             ;   in Loop: Header=BB2_3285 Depth=2
	s_or_b32 exec_lo, exec_lo, s28
.LBB2_3505:                             ;   in Loop: Header=BB2_3285 Depth=2
	s_or_b32 exec_lo, exec_lo, s27
	v_cmp_gt_i16_sdwa s27, v53, v71 src0_sel:BYTE_0 src1_sel:DWORD
	s_mov_b32 s12, 0
	s_and_saveexec_b32 s28, s27
	s_xor_b32 s27, exec_lo, s28
	s_cbranch_execz .LBB2_3599
; %bb.3506:                             ;   in Loop: Header=BB2_3285 Depth=2
	v_cmp_eq_u16_sdwa s29, v53, v80 src0_sel:BYTE_0 src1_sel:DWORD
	s_mov_b32 s12, -1
	s_and_saveexec_b32 s28, s29
; %bb.3507:                             ;   in Loop: Header=BB2_3285 Depth=2
	s_xor_b32 s12, exec_lo, -1
; %bb.3508:                             ;   in Loop: Header=BB2_3285 Depth=2
	s_or_b32 exec_lo, exec_lo, s28
	s_and_b32 s12, s12, exec_lo
	s_or_saveexec_b32 s27, s27
	v_mov_b32_e32 v102, 0x7f800001
	s_xor_b32 exec_lo, exec_lo, s27
	s_cbranch_execnz .LBB2_3600
.LBB2_3509:                             ;   in Loop: Header=BB2_3285 Depth=2
	s_or_b32 exec_lo, exec_lo, s27
	s_and_saveexec_b32 s27, s12
	s_cbranch_execz .LBB2_3511
.LBB2_3510:                             ;   in Loop: Header=BB2_3285 Depth=2
	v_and_b32_e32 v102, 7, v53
	v_lshrrev_b16 v112, 3, v53
	v_ffbh_u32_e32 v103, v102
	v_and_b32_e32 v112, 15, v112
	v_min_u32_e32 v103, 32, v103
	v_cmp_eq_u32_e32 vcc_lo, 0, v112
	v_subrev_nc_u32_e32 v113, 28, v103
	v_sub_nc_u32_e32 v103, 29, v103
	v_lshlrev_b32_e32 v113, v113, v53
	v_lshlrev_b32_e32 v53, 24, v53
	v_cndmask_b32_e32 v103, v112, v103, vcc_lo
	v_and_b32_e32 v113, 7, v113
	v_and_b32_e32 v53, 0x80000000, v53
	v_lshl_add_u32 v103, v103, 23, 0x3b800000
	v_cndmask_b32_e32 v102, v102, v113, vcc_lo
	v_lshlrev_b32_e32 v102, 20, v102
	v_or3_b32 v102, v53, v103, v102
.LBB2_3511:                             ;   in Loop: Header=BB2_3285 Depth=2
	s_or_b32 exec_lo, exec_lo, s27
	s_waitcnt vmcnt(2) lgkmcnt(2)
	v_cmp_gt_i16_sdwa s27, v101, v71 src0_sel:BYTE_0 src1_sel:DWORD
	s_mov_b32 s12, 0
	s_and_saveexec_b32 s28, s27
	s_xor_b32 s27, exec_lo, s28
	s_cbranch_execz .LBB2_3601
; %bb.3512:                             ;   in Loop: Header=BB2_3285 Depth=2
	v_cmp_eq_u16_sdwa s29, v101, v80 src0_sel:BYTE_0 src1_sel:DWORD
	s_mov_b32 s12, -1
	s_and_saveexec_b32 s28, s29
; %bb.3513:                             ;   in Loop: Header=BB2_3285 Depth=2
	s_xor_b32 s12, exec_lo, -1
; %bb.3514:                             ;   in Loop: Header=BB2_3285 Depth=2
	s_or_b32 exec_lo, exec_lo, s28
	s_and_b32 s12, s12, exec_lo
	s_or_saveexec_b32 s27, s27
	v_mov_b32_e32 v53, 0x7f800001
	s_xor_b32 exec_lo, exec_lo, s27
	s_cbranch_execnz .LBB2_3602
.LBB2_3515:                             ;   in Loop: Header=BB2_3285 Depth=2
	s_or_b32 exec_lo, exec_lo, s27
	s_and_saveexec_b32 s27, s12
	s_cbranch_execz .LBB2_3517
.LBB2_3516:                             ;   in Loop: Header=BB2_3285 Depth=2
	v_and_b32_e32 v53, 7, v101
	v_lshrrev_b16 v112, 3, v101
	v_ffbh_u32_e32 v103, v53
	v_and_b32_e32 v112, 15, v112
	v_min_u32_e32 v103, 32, v103
	v_cmp_eq_u32_e32 vcc_lo, 0, v112
	v_subrev_nc_u32_e32 v113, 28, v103
	v_sub_nc_u32_e32 v103, 29, v103
	v_lshlrev_b32_e32 v113, v113, v101
	v_lshlrev_b32_e32 v101, 24, v101
	v_cndmask_b32_e32 v103, v112, v103, vcc_lo
	v_and_b32_e32 v113, 7, v113
	v_and_b32_e32 v101, 0x80000000, v101
	v_lshl_add_u32 v103, v103, 23, 0x3b800000
	v_cndmask_b32_e32 v53, v53, v113, vcc_lo
	v_lshlrev_b32_e32 v53, 20, v53
	v_or3_b32 v53, v101, v103, v53
.LBB2_3517:                             ;   in Loop: Header=BB2_3285 Depth=2
	s_or_b32 exec_lo, exec_lo, s27
	v_add_f32_e32 v101, v102, v53
	v_and_b32_e32 v53, 0x7f800000, v101
	v_cmp_ne_u32_e32 vcc_lo, 0x7f800000, v53
	v_mov_b32_e32 v53, 0x80
	s_and_saveexec_b32 s27, vcc_lo
	s_cbranch_execz .LBB2_3525
; %bb.3518:                             ;   in Loop: Header=BB2_3285 Depth=2
	v_mov_b32_e32 v53, 0
	s_mov_b32 s28, exec_lo
	v_cmpx_ne_u32_e32 0, v101
	s_cbranch_execz .LBB2_3524
; %bb.3519:                             ;   in Loop: Header=BB2_3285 Depth=2
	v_bfe_u32 v53, v101, 23, 8
	v_and_b32_e32 v102, 0x7fffff, v101
	v_sub_nc_u32_e32 v103, 0x78, v53
	v_cmp_gt_u32_e32 vcc_lo, 0x79, v53
	v_or_b32_e32 v112, 0x800000, v102
	v_cndmask_b32_e32 v103, 0, v103, vcc_lo
	v_cmp_eq_u32_e32 vcc_lo, 0, v53
	v_add_nc_u32_e32 v53, 0xffffff89, v53
	v_cndmask_b32_e64 v103, v103, 0x77, vcc_lo
	v_cndmask_b32_e32 v102, v112, v102, vcc_lo
	v_cndmask_b32_e64 v53, v53, 0xffffff8a, vcc_lo
	v_lshl_add_u32 v112, 0x100000, v103, -1
	v_lshrrev_b32_e32 v113, v103, v102
	v_lshlrev_b32_e64 v115, v103, 0x80000
	v_add_nc_u32_e32 v103, v103, v53
	v_and_b32_e32 v102, v112, v102
	v_bfe_u32 v114, v113, 20, 1
	v_cmp_eq_u32_e64 s12, v102, v115
	v_add_nc_u32_e32 v112, -1, v114
	v_cndmask_b32_e64 v102, 0, v112, s12
	v_lshrrev_b32_e32 v112, 23, v113
	s_mov_b32 s12, exec_lo
	v_add_nc_u32_e32 v102, v102, v113
	v_xor_b32_e32 v112, 1, v112
	v_and_b32_e32 v53, 0xfffff, v102
	v_add_nc_u32_e32 v102, v53, v113
                                        ; implicit-def: $vgpr53
	v_cmpx_ne_u32_e64 v103, v112
	s_xor_b32 s12, exec_lo, s12
; %bb.3520:                             ;   in Loop: Header=BB2_3285 Depth=2
	v_cmp_lt_u32_e32 vcc_lo, 0xffffff, v102
	v_sub_nc_u32_e32 v53, v103, v112
	v_cndmask_b32_e64 v103, 0, 1, vcc_lo
	v_add_co_ci_u32_e64 v53, null, 0, v53, vcc_lo
	v_lshrrev_b32_e32 v102, v103, v102
; %bb.3521:                             ;   in Loop: Header=BB2_3285 Depth=2
	s_andn2_saveexec_b32 s12, s12
; %bb.3522:                             ;   in Loop: Header=BB2_3285 Depth=2
	v_bfe_u32 v53, v102, 23, 1
; %bb.3523:                             ;   in Loop: Header=BB2_3285 Depth=2
	s_or_b32 exec_lo, exec_lo, s12
	v_lshrrev_b32_e32 v102, 20, v102
	v_cmp_gt_i32_e32 vcc_lo, 16, v53
	v_min_i32_e32 v103, 15, v53
	v_and_b32_sdwa v101, v101, v80 dst_sel:DWORD dst_unused:UNUSED_PAD src0_sel:BYTE_3 src1_sel:DWORD
	v_cndmask_b32_e32 v102, 7, v102, vcc_lo
	v_lshlrev_b32_e32 v103, 3, v103
	v_and_b32_e32 v112, 7, v102
	v_or_b32_e32 v53, v53, v102
	v_or3_b32 v101, v103, v101, v112
	v_cmp_ne_u32_e32 vcc_lo, 0, v53
	v_cndmask_b32_e32 v53, 0, v101, vcc_lo
.LBB2_3524:                             ;   in Loop: Header=BB2_3285 Depth=2
	s_or_b32 exec_lo, exec_lo, s28
.LBB2_3525:                             ;   in Loop: Header=BB2_3285 Depth=2
	s_or_b32 exec_lo, exec_lo, s27
	v_cmp_gt_i16_sdwa s27, v52, v71 src0_sel:BYTE_0 src1_sel:DWORD
	s_mov_b32 s12, 0
	s_and_saveexec_b32 s28, s27
	s_xor_b32 s27, exec_lo, s28
	s_cbranch_execz .LBB2_3603
; %bb.3526:                             ;   in Loop: Header=BB2_3285 Depth=2
	v_cmp_eq_u16_sdwa s29, v52, v80 src0_sel:BYTE_0 src1_sel:DWORD
	s_mov_b32 s12, -1
	s_and_saveexec_b32 s28, s29
; %bb.3527:                             ;   in Loop: Header=BB2_3285 Depth=2
	s_xor_b32 s12, exec_lo, -1
; %bb.3528:                             ;   in Loop: Header=BB2_3285 Depth=2
	s_or_b32 exec_lo, exec_lo, s28
	s_and_b32 s12, s12, exec_lo
	s_or_saveexec_b32 s27, s27
	v_mov_b32_e32 v101, 0x7f800001
	s_xor_b32 exec_lo, exec_lo, s27
	s_cbranch_execnz .LBB2_3604
.LBB2_3529:                             ;   in Loop: Header=BB2_3285 Depth=2
	s_or_b32 exec_lo, exec_lo, s27
	s_and_saveexec_b32 s27, s12
	s_cbranch_execz .LBB2_3531
.LBB2_3530:                             ;   in Loop: Header=BB2_3285 Depth=2
	v_and_b32_e32 v101, 7, v52
	v_lshrrev_b16 v103, 3, v52
	v_ffbh_u32_e32 v102, v101
	v_and_b32_e32 v103, 15, v103
	v_min_u32_e32 v102, 32, v102
	v_cmp_eq_u32_e32 vcc_lo, 0, v103
	v_subrev_nc_u32_e32 v112, 28, v102
	v_sub_nc_u32_e32 v102, 29, v102
	v_lshlrev_b32_e32 v112, v112, v52
	v_lshlrev_b32_e32 v52, 24, v52
	v_cndmask_b32_e32 v102, v103, v102, vcc_lo
	v_and_b32_e32 v112, 7, v112
	v_and_b32_e32 v52, 0x80000000, v52
	v_lshl_add_u32 v102, v102, 23, 0x3b800000
	v_cndmask_b32_e32 v101, v101, v112, vcc_lo
	v_lshlrev_b32_e32 v101, 20, v101
	v_or3_b32 v101, v52, v102, v101
.LBB2_3531:                             ;   in Loop: Header=BB2_3285 Depth=2
	s_or_b32 exec_lo, exec_lo, s27
	s_waitcnt vmcnt(1) lgkmcnt(1)
	v_cmp_gt_i16_sdwa s27, v96, v71 src0_sel:BYTE_0 src1_sel:DWORD
	s_mov_b32 s12, 0
	s_and_saveexec_b32 s28, s27
	s_xor_b32 s27, exec_lo, s28
	s_cbranch_execz .LBB2_3605
; %bb.3532:                             ;   in Loop: Header=BB2_3285 Depth=2
	v_cmp_eq_u16_sdwa s29, v96, v80 src0_sel:BYTE_0 src1_sel:DWORD
	s_mov_b32 s12, -1
	s_and_saveexec_b32 s28, s29
; %bb.3533:                             ;   in Loop: Header=BB2_3285 Depth=2
	s_xor_b32 s12, exec_lo, -1
; %bb.3534:                             ;   in Loop: Header=BB2_3285 Depth=2
	s_or_b32 exec_lo, exec_lo, s28
	s_and_b32 s12, s12, exec_lo
	s_or_saveexec_b32 s27, s27
	v_mov_b32_e32 v52, 0x7f800001
	s_xor_b32 exec_lo, exec_lo, s27
	s_cbranch_execnz .LBB2_3606
.LBB2_3535:                             ;   in Loop: Header=BB2_3285 Depth=2
	s_or_b32 exec_lo, exec_lo, s27
	s_and_saveexec_b32 s27, s12
	s_cbranch_execz .LBB2_3537
.LBB2_3536:                             ;   in Loop: Header=BB2_3285 Depth=2
	v_and_b32_e32 v52, 7, v96
	v_lshrrev_b16 v103, 3, v96
	v_ffbh_u32_e32 v102, v52
	v_and_b32_e32 v103, 15, v103
	v_min_u32_e32 v102, 32, v102
	v_cmp_eq_u32_e32 vcc_lo, 0, v103
	v_subrev_nc_u32_e32 v112, 28, v102
	v_sub_nc_u32_e32 v102, 29, v102
	v_lshlrev_b32_e32 v112, v112, v96
	v_lshlrev_b32_e32 v96, 24, v96
	v_cndmask_b32_e32 v102, v103, v102, vcc_lo
	v_and_b32_e32 v112, 7, v112
	v_and_b32_e32 v96, 0x80000000, v96
	v_lshl_add_u32 v102, v102, 23, 0x3b800000
	v_cndmask_b32_e32 v52, v52, v112, vcc_lo
	v_lshlrev_b32_e32 v52, 20, v52
	v_or3_b32 v52, v96, v102, v52
.LBB2_3537:                             ;   in Loop: Header=BB2_3285 Depth=2
	s_or_b32 exec_lo, exec_lo, s27
	v_add_f32_e32 v96, v101, v52
	v_and_b32_e32 v52, 0x7f800000, v96
	v_cmp_ne_u32_e32 vcc_lo, 0x7f800000, v52
	v_mov_b32_e32 v52, 0x80
	s_and_saveexec_b32 s27, vcc_lo
	s_cbranch_execz .LBB2_3545
; %bb.3538:                             ;   in Loop: Header=BB2_3285 Depth=2
	v_mov_b32_e32 v52, 0
	s_mov_b32 s28, exec_lo
	v_cmpx_ne_u32_e32 0, v96
	s_cbranch_execz .LBB2_3544
; %bb.3539:                             ;   in Loop: Header=BB2_3285 Depth=2
	v_bfe_u32 v52, v96, 23, 8
	v_and_b32_e32 v101, 0x7fffff, v96
	v_sub_nc_u32_e32 v102, 0x78, v52
	v_cmp_gt_u32_e32 vcc_lo, 0x79, v52
	v_or_b32_e32 v103, 0x800000, v101
	v_cndmask_b32_e32 v102, 0, v102, vcc_lo
	v_cmp_eq_u32_e32 vcc_lo, 0, v52
	v_add_nc_u32_e32 v52, 0xffffff89, v52
	v_cndmask_b32_e64 v102, v102, 0x77, vcc_lo
	v_cndmask_b32_e32 v101, v103, v101, vcc_lo
	v_cndmask_b32_e64 v52, v52, 0xffffff8a, vcc_lo
	v_lshl_add_u32 v103, 0x100000, v102, -1
	v_lshrrev_b32_e32 v112, v102, v101
	v_lshlrev_b32_e64 v114, v102, 0x80000
	v_add_nc_u32_e32 v102, v102, v52
	v_and_b32_e32 v101, v103, v101
	v_bfe_u32 v113, v112, 20, 1
	v_cmp_eq_u32_e64 s12, v101, v114
	v_add_nc_u32_e32 v103, -1, v113
	v_cndmask_b32_e64 v101, 0, v103, s12
	v_lshrrev_b32_e32 v103, 23, v112
	s_mov_b32 s12, exec_lo
	v_add_nc_u32_e32 v101, v101, v112
	v_xor_b32_e32 v103, 1, v103
	v_and_b32_e32 v52, 0xfffff, v101
	v_add_nc_u32_e32 v101, v52, v112
                                        ; implicit-def: $vgpr52
	v_cmpx_ne_u32_e64 v102, v103
	s_xor_b32 s12, exec_lo, s12
; %bb.3540:                             ;   in Loop: Header=BB2_3285 Depth=2
	v_cmp_lt_u32_e32 vcc_lo, 0xffffff, v101
	v_sub_nc_u32_e32 v52, v102, v103
	v_cndmask_b32_e64 v102, 0, 1, vcc_lo
	v_add_co_ci_u32_e64 v52, null, 0, v52, vcc_lo
	v_lshrrev_b32_e32 v101, v102, v101
; %bb.3541:                             ;   in Loop: Header=BB2_3285 Depth=2
	s_andn2_saveexec_b32 s12, s12
; %bb.3542:                             ;   in Loop: Header=BB2_3285 Depth=2
	v_bfe_u32 v52, v101, 23, 1
; %bb.3543:                             ;   in Loop: Header=BB2_3285 Depth=2
	s_or_b32 exec_lo, exec_lo, s12
	v_lshrrev_b32_e32 v101, 20, v101
	v_cmp_gt_i32_e32 vcc_lo, 16, v52
	v_min_i32_e32 v102, 15, v52
	v_and_b32_sdwa v96, v96, v80 dst_sel:DWORD dst_unused:UNUSED_PAD src0_sel:BYTE_3 src1_sel:DWORD
	v_cndmask_b32_e32 v101, 7, v101, vcc_lo
	v_lshlrev_b32_e32 v102, 3, v102
	v_and_b32_e32 v103, 7, v101
	v_or_b32_e32 v52, v52, v101
	v_or3_b32 v96, v102, v96, v103
	v_cmp_ne_u32_e32 vcc_lo, 0, v52
	v_cndmask_b32_e32 v52, 0, v96, vcc_lo
.LBB2_3544:                             ;   in Loop: Header=BB2_3285 Depth=2
	s_or_b32 exec_lo, exec_lo, s28
.LBB2_3545:                             ;   in Loop: Header=BB2_3285 Depth=2
	s_or_b32 exec_lo, exec_lo, s27
	v_cmp_gt_i16_sdwa s27, v38, v71 src0_sel:BYTE_0 src1_sel:DWORD
	s_mov_b32 s12, 0
	s_and_saveexec_b32 s28, s27
	s_xor_b32 s27, exec_lo, s28
	s_cbranch_execz .LBB2_3607
; %bb.3546:                             ;   in Loop: Header=BB2_3285 Depth=2
	v_cmp_eq_u16_sdwa s29, v38, v80 src0_sel:BYTE_0 src1_sel:DWORD
	s_mov_b32 s12, -1
	s_and_saveexec_b32 s28, s29
; %bb.3547:                             ;   in Loop: Header=BB2_3285 Depth=2
	s_xor_b32 s12, exec_lo, -1
; %bb.3548:                             ;   in Loop: Header=BB2_3285 Depth=2
	s_or_b32 exec_lo, exec_lo, s28
	s_and_b32 s12, s12, exec_lo
	s_or_saveexec_b32 s27, s27
	v_mov_b32_e32 v96, 0x7f800001
	s_xor_b32 exec_lo, exec_lo, s27
	s_cbranch_execnz .LBB2_3608
.LBB2_3549:                             ;   in Loop: Header=BB2_3285 Depth=2
	s_or_b32 exec_lo, exec_lo, s27
	s_and_saveexec_b32 s27, s12
	s_cbranch_execz .LBB2_3551
.LBB2_3550:                             ;   in Loop: Header=BB2_3285 Depth=2
	v_and_b32_e32 v96, 7, v38
	v_lshrrev_b16 v102, 3, v38
	v_ffbh_u32_e32 v101, v96
	v_and_b32_e32 v102, 15, v102
	v_min_u32_e32 v101, 32, v101
	v_cmp_eq_u32_e32 vcc_lo, 0, v102
	v_subrev_nc_u32_e32 v103, 28, v101
	v_sub_nc_u32_e32 v101, 29, v101
	v_lshlrev_b32_e32 v103, v103, v38
	v_lshlrev_b32_e32 v38, 24, v38
	v_cndmask_b32_e32 v101, v102, v101, vcc_lo
	v_and_b32_e32 v103, 7, v103
	v_and_b32_e32 v38, 0x80000000, v38
	v_lshl_add_u32 v101, v101, 23, 0x3b800000
	v_cndmask_b32_e32 v96, v96, v103, vcc_lo
	v_lshlrev_b32_e32 v96, 20, v96
	v_or3_b32 v96, v38, v101, v96
.LBB2_3551:                             ;   in Loop: Header=BB2_3285 Depth=2
	s_or_b32 exec_lo, exec_lo, s27
	s_waitcnt vmcnt(0) lgkmcnt(0)
	v_cmp_gt_i16_sdwa s27, v37, v71 src0_sel:BYTE_0 src1_sel:DWORD
	s_mov_b32 s12, 0
	s_and_saveexec_b32 s28, s27
	s_xor_b32 s27, exec_lo, s28
	s_cbranch_execz .LBB2_3609
; %bb.3552:                             ;   in Loop: Header=BB2_3285 Depth=2
	v_cmp_eq_u16_sdwa s29, v37, v80 src0_sel:BYTE_0 src1_sel:DWORD
	s_mov_b32 s12, -1
	s_and_saveexec_b32 s28, s29
; %bb.3553:                             ;   in Loop: Header=BB2_3285 Depth=2
	s_xor_b32 s12, exec_lo, -1
; %bb.3554:                             ;   in Loop: Header=BB2_3285 Depth=2
	s_or_b32 exec_lo, exec_lo, s28
	s_and_b32 s12, s12, exec_lo
	s_or_saveexec_b32 s27, s27
	v_mov_b32_e32 v38, 0x7f800001
	s_xor_b32 exec_lo, exec_lo, s27
	s_cbranch_execnz .LBB2_3610
.LBB2_3555:                             ;   in Loop: Header=BB2_3285 Depth=2
	s_or_b32 exec_lo, exec_lo, s27
	s_and_saveexec_b32 s27, s12
	s_cbranch_execz .LBB2_3557
.LBB2_3556:                             ;   in Loop: Header=BB2_3285 Depth=2
	v_and_b32_e32 v38, 7, v37
	v_lshrrev_b16 v102, 3, v37
	v_ffbh_u32_e32 v101, v38
	v_and_b32_e32 v102, 15, v102
	v_min_u32_e32 v101, 32, v101
	v_cmp_eq_u32_e32 vcc_lo, 0, v102
	v_subrev_nc_u32_e32 v103, 28, v101
	v_sub_nc_u32_e32 v101, 29, v101
	v_lshlrev_b32_e32 v103, v103, v37
	v_lshlrev_b32_e32 v37, 24, v37
	v_cndmask_b32_e32 v101, v102, v101, vcc_lo
	v_and_b32_e32 v103, 7, v103
	v_and_b32_e32 v37, 0x80000000, v37
	v_lshl_add_u32 v101, v101, 23, 0x3b800000
	v_cndmask_b32_e32 v38, v38, v103, vcc_lo
	v_lshlrev_b32_e32 v38, 20, v38
	v_or3_b32 v38, v37, v101, v38
.LBB2_3557:                             ;   in Loop: Header=BB2_3285 Depth=2
	s_or_b32 exec_lo, exec_lo, s27
	v_add_f32_e32 v37, v96, v38
	v_and_b32_e32 v38, 0x7f800000, v37
	v_cmp_ne_u32_e32 vcc_lo, 0x7f800000, v38
	v_mov_b32_e32 v38, 0x80
	s_and_saveexec_b32 s27, vcc_lo
	s_cbranch_execz .LBB2_3284
; %bb.3558:                             ;   in Loop: Header=BB2_3285 Depth=2
	v_mov_b32_e32 v38, 0
	s_mov_b32 s28, exec_lo
	v_cmpx_ne_u32_e32 0, v37
	s_cbranch_execz .LBB2_3283
; %bb.3559:                             ;   in Loop: Header=BB2_3285 Depth=2
	v_bfe_u32 v38, v37, 23, 8
	v_and_b32_e32 v96, 0x7fffff, v37
	v_sub_nc_u32_e32 v101, 0x78, v38
	v_cmp_gt_u32_e32 vcc_lo, 0x79, v38
	v_or_b32_e32 v102, 0x800000, v96
	v_cndmask_b32_e32 v101, 0, v101, vcc_lo
	v_cmp_eq_u32_e32 vcc_lo, 0, v38
	v_add_nc_u32_e32 v38, 0xffffff89, v38
	v_cndmask_b32_e64 v101, v101, 0x77, vcc_lo
	v_cndmask_b32_e32 v96, v102, v96, vcc_lo
	v_cndmask_b32_e64 v38, v38, 0xffffff8a, vcc_lo
	v_lshl_add_u32 v102, 0x100000, v101, -1
	v_lshrrev_b32_e32 v103, v101, v96
	v_lshlrev_b32_e64 v113, v101, 0x80000
	v_add_nc_u32_e32 v101, v101, v38
	v_and_b32_e32 v96, v102, v96
	v_bfe_u32 v112, v103, 20, 1
	v_cmp_eq_u32_e64 s12, v96, v113
	v_add_nc_u32_e32 v102, -1, v112
	v_cndmask_b32_e64 v96, 0, v102, s12
	v_lshrrev_b32_e32 v102, 23, v103
	s_mov_b32 s12, exec_lo
	v_add_nc_u32_e32 v96, v96, v103
	v_xor_b32_e32 v102, 1, v102
	v_and_b32_e32 v38, 0xfffff, v96
	v_add_nc_u32_e32 v96, v38, v103
                                        ; implicit-def: $vgpr38
	v_cmpx_ne_u32_e64 v101, v102
	s_xor_b32 s12, exec_lo, s12
; %bb.3560:                             ;   in Loop: Header=BB2_3285 Depth=2
	v_cmp_lt_u32_e32 vcc_lo, 0xffffff, v96
	v_sub_nc_u32_e32 v38, v101, v102
	v_cndmask_b32_e64 v101, 0, 1, vcc_lo
	v_add_co_ci_u32_e64 v38, null, 0, v38, vcc_lo
	v_lshrrev_b32_e32 v96, v101, v96
; %bb.3561:                             ;   in Loop: Header=BB2_3285 Depth=2
	s_andn2_saveexec_b32 s12, s12
	s_cbranch_execz .LBB2_3282
; %bb.3562:                             ;   in Loop: Header=BB2_3285 Depth=2
	v_bfe_u32 v38, v96, 23, 1
	s_branch .LBB2_3282
.LBB2_3563:                             ;   in Loop: Header=BB2_3285 Depth=2
	s_or_saveexec_b32 s27, s27
	v_mov_b32_e32 v51, 0x7f800001
	s_xor_b32 exec_lo, exec_lo, s27
	s_cbranch_execz .LBB2_3297
.LBB2_3564:                             ;   in Loop: Header=BB2_3285 Depth=2
	v_cmp_ne_u16_e32 vcc_lo, 0, v37
	v_mov_b32_e32 v51, 0
	s_andn2_b32 s12, s12, exec_lo
	s_and_b32 s28, vcc_lo, exec_lo
	s_or_b32 s12, s12, s28
	s_or_b32 exec_lo, exec_lo, s27
	s_and_saveexec_b32 s27, s12
	s_cbranch_execnz .LBB2_3298
	s_branch .LBB2_3299
.LBB2_3565:                             ;   in Loop: Header=BB2_3285 Depth=2
	s_or_saveexec_b32 s27, s27
	v_mov_b32_e32 v52, 0x7f800001
	s_xor_b32 exec_lo, exec_lo, s27
	s_cbranch_execz .LBB2_3311
.LBB2_3566:                             ;   in Loop: Header=BB2_3285 Depth=2
	v_cmp_ne_u16_e32 vcc_lo, 0, v37
	v_mov_b32_e32 v52, 0
	s_andn2_b32 s12, s12, exec_lo
	s_and_b32 s28, vcc_lo, exec_lo
	s_or_b32 s12, s12, s28
	s_or_b32 exec_lo, exec_lo, s27
	s_and_saveexec_b32 s27, s12
	s_cbranch_execnz .LBB2_3312
	s_branch .LBB2_3313
.LBB2_3567:                             ;   in Loop: Header=BB2_3285 Depth=2
	s_or_saveexec_b32 s27, s27
	v_mov_b32_e32 v52, 0x7f800001
	s_xor_b32 exec_lo, exec_lo, s27
	s_cbranch_execz .LBB2_3325
.LBB2_3568:                             ;   in Loop: Header=BB2_3285 Depth=2
	v_cmp_ne_u16_e32 vcc_lo, 0, v37
	v_mov_b32_e32 v52, 0
	s_andn2_b32 s12, s12, exec_lo
	s_and_b32 s28, vcc_lo, exec_lo
	s_or_b32 s12, s12, s28
	s_or_b32 exec_lo, exec_lo, s27
	s_and_saveexec_b32 s27, s12
	s_cbranch_execnz .LBB2_3326
	s_branch .LBB2_3327
.LBB2_3569:                             ;   in Loop: Header=BB2_3285 Depth=2
	s_or_saveexec_b32 s27, s27
	v_mov_b32_e32 v52, 0x7f800001
	s_xor_b32 exec_lo, exec_lo, s27
	s_cbranch_execz .LBB2_3339
.LBB2_3570:                             ;   in Loop: Header=BB2_3285 Depth=2
	v_cmp_ne_u16_e32 vcc_lo, 0, v37
	v_mov_b32_e32 v52, 0
	s_andn2_b32 s12, s12, exec_lo
	s_and_b32 s28, vcc_lo, exec_lo
	s_or_b32 s12, s12, s28
	s_or_b32 exec_lo, exec_lo, s27
	s_and_saveexec_b32 s27, s12
	s_cbranch_execnz .LBB2_3340
	s_branch .LBB2_3341
.LBB2_3571:                             ;   in Loop: Header=BB2_3285 Depth=2
	s_or_saveexec_b32 s27, s27
	v_mov_b32_e32 v52, 0x7f800001
	s_xor_b32 exec_lo, exec_lo, s27
	s_cbranch_execz .LBB2_3353
.LBB2_3572:                             ;   in Loop: Header=BB2_3285 Depth=2
	v_cmp_ne_u16_e32 vcc_lo, 0, v37
	v_mov_b32_e32 v52, 0
	s_andn2_b32 s12, s12, exec_lo
	s_and_b32 s28, vcc_lo, exec_lo
	s_or_b32 s12, s12, s28
	s_or_b32 exec_lo, exec_lo, s27
	s_and_saveexec_b32 s27, s12
	s_cbranch_execnz .LBB2_3354
	s_branch .LBB2_3355
.LBB2_3573:                             ;   in Loop: Header=BB2_3285 Depth=2
	s_or_saveexec_b32 s27, s27
	v_mov_b32_e32 v52, 0x7f800001
	s_xor_b32 exec_lo, exec_lo, s27
	s_cbranch_execz .LBB2_3367
.LBB2_3574:                             ;   in Loop: Header=BB2_3285 Depth=2
	v_cmp_ne_u16_e32 vcc_lo, 0, v37
	v_mov_b32_e32 v52, 0
	s_andn2_b32 s12, s12, exec_lo
	s_and_b32 s28, vcc_lo, exec_lo
	s_or_b32 s12, s12, s28
	s_or_b32 exec_lo, exec_lo, s27
	s_and_saveexec_b32 s27, s12
	s_cbranch_execnz .LBB2_3368
	s_branch .LBB2_3369
.LBB2_3575:                             ;   in Loop: Header=BB2_3285 Depth=2
	s_or_saveexec_b32 s27, s27
	v_mov_b32_e32 v52, 0x7f800001
	s_xor_b32 exec_lo, exec_lo, s27
	s_cbranch_execz .LBB2_3381
.LBB2_3576:                             ;   in Loop: Header=BB2_3285 Depth=2
	v_cmp_ne_u16_e32 vcc_lo, 0, v37
	v_mov_b32_e32 v52, 0
	s_andn2_b32 s12, s12, exec_lo
	s_and_b32 s28, vcc_lo, exec_lo
	s_or_b32 s12, s12, s28
	s_or_b32 exec_lo, exec_lo, s27
	s_and_saveexec_b32 s27, s12
	s_cbranch_execnz .LBB2_3382
	s_branch .LBB2_3383
.LBB2_3577:                             ;   in Loop: Header=BB2_3285 Depth=2
	s_or_saveexec_b32 s27, s27
	v_mov_b32_e32 v96, 0x7f800001
	s_xor_b32 exec_lo, exec_lo, s27
	s_cbranch_execz .LBB2_3395
.LBB2_3578:                             ;   in Loop: Header=BB2_3285 Depth=2
	v_cmp_ne_u16_e32 vcc_lo, 0, v37
	v_mov_b32_e32 v96, 0
	s_andn2_b32 s12, s12, exec_lo
	s_and_b32 s28, vcc_lo, exec_lo
	s_or_b32 s12, s12, s28
	s_or_b32 exec_lo, exec_lo, s27
	s_and_saveexec_b32 s27, s12
	s_cbranch_execnz .LBB2_3396
	s_branch .LBB2_3397
.LBB2_3579:                             ;   in Loop: Header=BB2_3285 Depth=2
	s_or_saveexec_b32 s27, s27
	v_mov_b32_e32 v115, 0x7f800001
	s_xor_b32 exec_lo, exec_lo, s27
	s_cbranch_execz .LBB2_3409
.LBB2_3580:                             ;   in Loop: Header=BB2_3285 Depth=2
	v_cmp_ne_u16_sdwa s28, v51, v29 src0_sel:BYTE_0 src1_sel:DWORD
	v_mov_b32_e32 v115, 0
	s_andn2_b32 s12, s12, exec_lo
	s_and_b32 s28, s28, exec_lo
	s_or_b32 s12, s12, s28
	s_or_b32 exec_lo, exec_lo, s27
	s_and_saveexec_b32 s27, s12
	s_cbranch_execnz .LBB2_3410
	s_branch .LBB2_3411
.LBB2_3581:                             ;   in Loop: Header=BB2_3285 Depth=2
	s_or_saveexec_b32 s27, s27
	v_mov_b32_e32 v51, 0x7f800001
	s_xor_b32 exec_lo, exec_lo, s27
	s_cbranch_execz .LBB2_3415
.LBB2_3582:                             ;   in Loop: Header=BB2_3285 Depth=2
	v_cmp_ne_u16_sdwa s28, v114, v29 src0_sel:BYTE_0 src1_sel:DWORD
	v_mov_b32_e32 v51, 0
	s_andn2_b32 s12, s12, exec_lo
	s_and_b32 s28, s28, exec_lo
	s_or_b32 s12, s12, s28
	s_or_b32 exec_lo, exec_lo, s27
	s_and_saveexec_b32 s27, s12
	s_cbranch_execnz .LBB2_3416
	s_branch .LBB2_3417
.LBB2_3583:                             ;   in Loop: Header=BB2_3285 Depth=2
	s_or_saveexec_b32 s27, s27
	v_mov_b32_e32 v114, 0x7f800001
	s_xor_b32 exec_lo, exec_lo, s27
	s_cbranch_execz .LBB2_3429
.LBB2_3584:                             ;   in Loop: Header=BB2_3285 Depth=2
	v_cmp_ne_u16_sdwa s28, v99, v29 src0_sel:BYTE_0 src1_sel:DWORD
	v_mov_b32_e32 v114, 0
	s_andn2_b32 s12, s12, exec_lo
	s_and_b32 s28, s28, exec_lo
	s_or_b32 s12, s12, s28
	s_or_b32 exec_lo, exec_lo, s27
	s_and_saveexec_b32 s27, s12
	s_cbranch_execnz .LBB2_3430
	s_branch .LBB2_3431
.LBB2_3585:                             ;   in Loop: Header=BB2_3285 Depth=2
	s_or_saveexec_b32 s27, s27
	v_mov_b32_e32 v99, 0x7f800001
	s_xor_b32 exec_lo, exec_lo, s27
	s_cbranch_execz .LBB2_3435
.LBB2_3586:                             ;   in Loop: Header=BB2_3285 Depth=2
	v_cmp_ne_u16_sdwa s28, v113, v29 src0_sel:BYTE_0 src1_sel:DWORD
	v_mov_b32_e32 v99, 0
	s_andn2_b32 s12, s12, exec_lo
	s_and_b32 s28, s28, exec_lo
	s_or_b32 s12, s12, s28
	s_or_b32 exec_lo, exec_lo, s27
	s_and_saveexec_b32 s27, s12
	s_cbranch_execnz .LBB2_3436
	s_branch .LBB2_3437
.LBB2_3587:                             ;   in Loop: Header=BB2_3285 Depth=2
	s_or_saveexec_b32 s27, s27
	v_mov_b32_e32 v113, 0x7f800001
	s_xor_b32 exec_lo, exec_lo, s27
	s_cbranch_execz .LBB2_3449
.LBB2_3588:                             ;   in Loop: Header=BB2_3285 Depth=2
	v_cmp_ne_u16_sdwa s28, v100, v29 src0_sel:BYTE_0 src1_sel:DWORD
	v_mov_b32_e32 v113, 0
	s_andn2_b32 s12, s12, exec_lo
	s_and_b32 s28, s28, exec_lo
	s_or_b32 s12, s12, s28
	s_or_b32 exec_lo, exec_lo, s27
	s_and_saveexec_b32 s27, s12
	s_cbranch_execnz .LBB2_3450
	s_branch .LBB2_3451
.LBB2_3589:                             ;   in Loop: Header=BB2_3285 Depth=2
	s_or_saveexec_b32 s27, s27
	v_mov_b32_e32 v100, 0x7f800001
	s_xor_b32 exec_lo, exec_lo, s27
	s_cbranch_execz .LBB2_3455
.LBB2_3590:                             ;   in Loop: Header=BB2_3285 Depth=2
	v_cmp_ne_u16_sdwa s28, v112, v29 src0_sel:BYTE_0 src1_sel:DWORD
	v_mov_b32_e32 v100, 0
	s_andn2_b32 s12, s12, exec_lo
	s_and_b32 s28, s28, exec_lo
	s_or_b32 s12, s12, s28
	s_or_b32 exec_lo, exec_lo, s27
	s_and_saveexec_b32 s27, s12
	s_cbranch_execnz .LBB2_3456
	s_branch .LBB2_3457
.LBB2_3591:                             ;   in Loop: Header=BB2_3285 Depth=2
	s_or_saveexec_b32 s27, s27
	v_mov_b32_e32 v112, 0x7f800001
	s_xor_b32 exec_lo, exec_lo, s27
	s_cbranch_execz .LBB2_3469
.LBB2_3592:                             ;   in Loop: Header=BB2_3285 Depth=2
	v_cmp_ne_u16_sdwa s28, v98, v29 src0_sel:BYTE_0 src1_sel:DWORD
	v_mov_b32_e32 v112, 0
	s_andn2_b32 s12, s12, exec_lo
	s_and_b32 s28, s28, exec_lo
	s_or_b32 s12, s12, s28
	s_or_b32 exec_lo, exec_lo, s27
	s_and_saveexec_b32 s27, s12
	s_cbranch_execnz .LBB2_3470
	s_branch .LBB2_3471
.LBB2_3593:                             ;   in Loop: Header=BB2_3285 Depth=2
	s_or_saveexec_b32 s27, s27
	v_mov_b32_e32 v98, 0x7f800001
	s_xor_b32 exec_lo, exec_lo, s27
	s_cbranch_execz .LBB2_3475
.LBB2_3594:                             ;   in Loop: Header=BB2_3285 Depth=2
	v_cmp_ne_u16_sdwa s28, v103, v29 src0_sel:BYTE_0 src1_sel:DWORD
	v_mov_b32_e32 v98, 0
	s_andn2_b32 s12, s12, exec_lo
	s_and_b32 s28, s28, exec_lo
	s_or_b32 s12, s12, s28
	s_or_b32 exec_lo, exec_lo, s27
	s_and_saveexec_b32 s27, s12
	s_cbranch_execnz .LBB2_3476
	s_branch .LBB2_3477
.LBB2_3595:                             ;   in Loop: Header=BB2_3285 Depth=2
	s_or_saveexec_b32 s27, s27
	v_mov_b32_e32 v103, 0x7f800001
	s_xor_b32 exec_lo, exec_lo, s27
	s_cbranch_execz .LBB2_3489
.LBB2_3596:                             ;   in Loop: Header=BB2_3285 Depth=2
	v_cmp_ne_u16_sdwa s28, v97, v29 src0_sel:BYTE_0 src1_sel:DWORD
	v_mov_b32_e32 v103, 0
	s_andn2_b32 s12, s12, exec_lo
	s_and_b32 s28, s28, exec_lo
	s_or_b32 s12, s12, s28
	s_or_b32 exec_lo, exec_lo, s27
	s_and_saveexec_b32 s27, s12
	s_cbranch_execnz .LBB2_3490
	s_branch .LBB2_3491
.LBB2_3597:                             ;   in Loop: Header=BB2_3285 Depth=2
	s_or_saveexec_b32 s27, s27
	v_mov_b32_e32 v97, 0x7f800001
	s_xor_b32 exec_lo, exec_lo, s27
	s_cbranch_execz .LBB2_3495
.LBB2_3598:                             ;   in Loop: Header=BB2_3285 Depth=2
	v_cmp_ne_u16_sdwa s28, v102, v29 src0_sel:BYTE_0 src1_sel:DWORD
	v_mov_b32_e32 v97, 0
	s_andn2_b32 s12, s12, exec_lo
	s_and_b32 s28, s28, exec_lo
	s_or_b32 s12, s12, s28
	s_or_b32 exec_lo, exec_lo, s27
	s_and_saveexec_b32 s27, s12
	s_cbranch_execnz .LBB2_3496
	s_branch .LBB2_3497
.LBB2_3599:                             ;   in Loop: Header=BB2_3285 Depth=2
	s_or_saveexec_b32 s27, s27
	v_mov_b32_e32 v102, 0x7f800001
	s_xor_b32 exec_lo, exec_lo, s27
	s_cbranch_execz .LBB2_3509
.LBB2_3600:                             ;   in Loop: Header=BB2_3285 Depth=2
	v_cmp_ne_u16_sdwa s28, v53, v29 src0_sel:BYTE_0 src1_sel:DWORD
	v_mov_b32_e32 v102, 0
	s_andn2_b32 s12, s12, exec_lo
	s_and_b32 s28, s28, exec_lo
	s_or_b32 s12, s12, s28
	s_or_b32 exec_lo, exec_lo, s27
	s_and_saveexec_b32 s27, s12
	s_cbranch_execnz .LBB2_3510
	s_branch .LBB2_3511
.LBB2_3601:                             ;   in Loop: Header=BB2_3285 Depth=2
	s_or_saveexec_b32 s27, s27
	v_mov_b32_e32 v53, 0x7f800001
	s_xor_b32 exec_lo, exec_lo, s27
	s_cbranch_execz .LBB2_3515
.LBB2_3602:                             ;   in Loop: Header=BB2_3285 Depth=2
	v_cmp_ne_u16_sdwa s28, v101, v29 src0_sel:BYTE_0 src1_sel:DWORD
	v_mov_b32_e32 v53, 0
	s_andn2_b32 s12, s12, exec_lo
	s_and_b32 s28, s28, exec_lo
	s_or_b32 s12, s12, s28
	s_or_b32 exec_lo, exec_lo, s27
	s_and_saveexec_b32 s27, s12
	s_cbranch_execnz .LBB2_3516
	s_branch .LBB2_3517
.LBB2_3603:                             ;   in Loop: Header=BB2_3285 Depth=2
	s_or_saveexec_b32 s27, s27
	v_mov_b32_e32 v101, 0x7f800001
	s_xor_b32 exec_lo, exec_lo, s27
	s_cbranch_execz .LBB2_3529
.LBB2_3604:                             ;   in Loop: Header=BB2_3285 Depth=2
	v_cmp_ne_u16_sdwa s28, v52, v29 src0_sel:BYTE_0 src1_sel:DWORD
	v_mov_b32_e32 v101, 0
	s_andn2_b32 s12, s12, exec_lo
	s_and_b32 s28, s28, exec_lo
	s_or_b32 s12, s12, s28
	s_or_b32 exec_lo, exec_lo, s27
	s_and_saveexec_b32 s27, s12
	s_cbranch_execnz .LBB2_3530
	s_branch .LBB2_3531
.LBB2_3605:                             ;   in Loop: Header=BB2_3285 Depth=2
	s_or_saveexec_b32 s27, s27
	v_mov_b32_e32 v52, 0x7f800001
	s_xor_b32 exec_lo, exec_lo, s27
	s_cbranch_execz .LBB2_3535
.LBB2_3606:                             ;   in Loop: Header=BB2_3285 Depth=2
	v_cmp_ne_u16_sdwa s28, v96, v29 src0_sel:BYTE_0 src1_sel:DWORD
	v_mov_b32_e32 v52, 0
	s_andn2_b32 s12, s12, exec_lo
	s_and_b32 s28, s28, exec_lo
	s_or_b32 s12, s12, s28
	s_or_b32 exec_lo, exec_lo, s27
	s_and_saveexec_b32 s27, s12
	s_cbranch_execnz .LBB2_3536
	s_branch .LBB2_3537
.LBB2_3607:                             ;   in Loop: Header=BB2_3285 Depth=2
	s_or_saveexec_b32 s27, s27
	v_mov_b32_e32 v96, 0x7f800001
	s_xor_b32 exec_lo, exec_lo, s27
	s_cbranch_execz .LBB2_3549
.LBB2_3608:                             ;   in Loop: Header=BB2_3285 Depth=2
	v_cmp_ne_u16_sdwa s28, v38, v29 src0_sel:BYTE_0 src1_sel:DWORD
	v_mov_b32_e32 v96, 0
	s_andn2_b32 s12, s12, exec_lo
	s_and_b32 s28, s28, exec_lo
	s_or_b32 s12, s12, s28
	s_or_b32 exec_lo, exec_lo, s27
	s_and_saveexec_b32 s27, s12
	s_cbranch_execnz .LBB2_3550
	s_branch .LBB2_3551
.LBB2_3609:                             ;   in Loop: Header=BB2_3285 Depth=2
	s_or_saveexec_b32 s27, s27
	v_mov_b32_e32 v38, 0x7f800001
	s_xor_b32 exec_lo, exec_lo, s27
	s_cbranch_execz .LBB2_3555
.LBB2_3610:                             ;   in Loop: Header=BB2_3285 Depth=2
	v_cmp_ne_u16_sdwa s28, v37, v29 src0_sel:BYTE_0 src1_sel:DWORD
	v_mov_b32_e32 v38, 0
	s_andn2_b32 s12, s12, exec_lo
	s_and_b32 s28, s28, exec_lo
	s_or_b32 s12, s12, s28
	s_or_b32 exec_lo, exec_lo, s27
	s_and_saveexec_b32 s27, s12
	s_cbranch_execnz .LBB2_3556
	s_branch .LBB2_3557
.LBB2_3611:                             ;   in Loop: Header=BB2_1901 Depth=1
	s_or_b32 exec_lo, exec_lo, s26
.LBB2_3612:                             ;   in Loop: Header=BB2_1901 Depth=1
	s_or_b32 exec_lo, exec_lo, s25
	v_and_b32_e32 v10, 0x7fffff00, v87
	v_cmp_ne_u32_e32 vcc_lo, v87, v10
	s_and_b32 exec_lo, exec_lo, vcc_lo
	s_cbranch_execz .LBB2_3664
; %bb.3613:                             ;   in Loop: Header=BB2_1901 Depth=1
	v_lshlrev_b32_e32 v11, 5, v49
	v_lshlrev_b32_e32 v12, 5, v50
	v_sub_nc_u32_e32 v11, v48, v11
	v_sub_nc_u32_e32 v11, v11, v12
	v_sub_nc_u32_sdwa v48, v87, v11 dst_sel:DWORD dst_unused:UNUSED_PAD src0_sel:BYTE_0 src1_sel:DWORD
	v_cmp_lt_i32_e32 vcc_lo, 0, v48
	s_and_b32 exec_lo, exec_lo, vcc_lo
	s_cbranch_execz .LBB2_3664
; %bb.3614:                             ;   in Loop: Header=BB2_1901 Depth=1
	s_trap 2
	ds_read_b128 v[35:38], v0
	ds_read_b64 v[49:50], v0
	v_add3_u32 v51, v10, v86, v11
	s_mov_b32 s25, 0
	v_ashrrev_i32_e32 v52, 31, v51
	s_waitcnt lgkmcnt(1)
	v_add_co_u32 v10, vcc_lo, v35, v51
	v_add_co_ci_u32_e64 v11, null, v36, v52, vcc_lo
	v_add_co_u32 v12, vcc_lo, v37, v51
	v_add_co_ci_u32_e64 v13, null, v38, v52, vcc_lo
	s_waitcnt lgkmcnt(0)
	v_add_co_u32 v35, vcc_lo, v49, v51
	v_add_co_ci_u32_e64 v36, null, v50, v52, vcc_lo
	s_branch .LBB2_3618
.LBB2_3615:                             ;   in Loop: Header=BB2_3618 Depth=2
	s_or_b32 exec_lo, exec_lo, s12
	v_lshrrev_b32_e32 v49, 20, v49
	v_cmp_gt_i32_e32 vcc_lo, 16, v38
	v_min_i32_e32 v50, 15, v38
	v_and_b32_sdwa v37, v37, v80 dst_sel:DWORD dst_unused:UNUSED_PAD src0_sel:BYTE_3 src1_sel:DWORD
	v_cndmask_b32_e32 v49, 7, v49, vcc_lo
	v_lshlrev_b32_e32 v50, 3, v50
	v_and_b32_e32 v51, 7, v49
	v_or_b32_e32 v38, v38, v49
	v_or3_b32 v37, v50, v37, v51
	v_cmp_ne_u32_e32 vcc_lo, 0, v38
	v_cndmask_b32_e32 v38, 0, v37, vcc_lo
.LBB2_3616:                             ;   in Loop: Header=BB2_3618 Depth=2
	s_or_b32 exec_lo, exec_lo, s27
.LBB2_3617:                             ;   in Loop: Header=BB2_3618 Depth=2
	s_or_b32 exec_lo, exec_lo, s26
	v_sub_nc_u32_e32 v48, v48, v69
	v_add_co_u32 v10, vcc_lo, v10, v69
	v_add_co_ci_u32_e64 v11, null, 0, v11, vcc_lo
	v_add_co_u32 v12, vcc_lo, v12, v69
	flat_store_byte v[35:36], v38 glc slc
	v_add_co_ci_u32_e64 v13, null, 0, v13, vcc_lo
	v_cmp_gt_i32_e32 vcc_lo, 1, v48
	v_add_co_u32 v35, s12, v35, v69
	v_add_co_ci_u32_e64 v36, null, 0, v36, s12
	s_or_b32 s25, vcc_lo, s25
	s_andn2_b32 exec_lo, exec_lo, s25
	s_cbranch_execz .LBB2_3664
.LBB2_3618:                             ;   Parent Loop BB2_1901 Depth=1
                                        ; =>  This Inner Loop Header: Depth=2
	s_trap 2
	ds_read_b64 v[37:38], v0
	s_waitcnt lgkmcnt(0)
	v_readfirstlane_b32 s12, v37
	s_and_b32 s26, s12, 0xff
	s_cmpk_lt_i32 s26, 0x80
	s_cbranch_scc1 .LBB2_3622
; %bb.3619:                             ;   in Loop: Header=BB2_3618 Depth=2
	s_and_b32 s27, 0xffff, s26
	s_cmpk_eq_i32 s27, 0x80
	s_mov_b32 s27, -1
	s_cbranch_scc0 .LBB2_3621
; %bb.3620:                             ;   in Loop: Header=BB2_3618 Depth=2
	s_mov_b32 s27, 0
.LBB2_3621:                             ;   in Loop: Header=BB2_3618 Depth=2
	s_mov_b32 s28, 0x7f800001
	s_branch .LBB2_3624
.LBB2_3622:                             ;   in Loop: Header=BB2_3618 Depth=2
	s_mov_b32 s27, 0
	s_mov_b32 s28, 0x7f800001
	s_cbranch_execz .LBB2_3624
; %bb.3623:                             ;   in Loop: Header=BB2_3618 Depth=2
	s_and_b32 s26, 0xffff, s26
	s_mov_b32 s28, 0
	s_cmp_lg_u32 s26, 0
	s_cselect_b32 s27, -1, 0
.LBB2_3624:                             ;   in Loop: Header=BB2_3618 Depth=2
	v_mov_b32_e32 v38, s28
	s_andn2_b32 vcc_lo, exec_lo, s27
	s_cbranch_vccnz .LBB2_3626
; %bb.3625:                             ;   in Loop: Header=BB2_3618 Depth=2
	s_and_b32 s26, s12, 7
	s_bfe_u32 s28, s12, 0x40003
	s_flbit_i32_b32 s27, s26
	v_lshlrev_b32_e32 v37, 24, v37
	s_min_u32 s27, s27, 32
	s_sub_i32 s29, s27, 28
	s_sub_i32 s27, 29, s27
	s_lshl_b32 s12, s12, s29
	v_and_b32_e32 v37, 0x80000000, v37
	s_and_b32 s12, s12, 7
	s_cmp_eq_u32 s28, 0
	s_cselect_b32 s27, s27, s28
	s_cselect_b32 s12, s12, s26
	s_lshl_b32 s26, s27, 23
	s_lshl_b32 s12, s12, 20
	s_add_i32 s26, s26, 0x3b800000
	v_or_b32_e32 v37, s26, v37
	v_or_b32_e32 v38, s12, v37
.LBB2_3626:                             ;   in Loop: Header=BB2_3618 Depth=2
	flat_load_ubyte v37, v[10:11] slc
	s_mov_b32 s12, 0
	s_mov_b32 s26, exec_lo
	s_waitcnt vmcnt(0) lgkmcnt(0)
	v_cmpx_lt_i16_e32 0x7f, v37
	s_xor_b32 s26, exec_lo, s26
	s_cbranch_execz .LBB2_3658
; %bb.3627:                             ;   in Loop: Header=BB2_3618 Depth=2
	s_mov_b32 s12, -1
	s_mov_b32 s27, exec_lo
	v_cmpx_eq_u16_e32 0x80, v37
; %bb.3628:                             ;   in Loop: Header=BB2_3618 Depth=2
	s_xor_b32 s12, exec_lo, -1
; %bb.3629:                             ;   in Loop: Header=BB2_3618 Depth=2
	s_or_b32 exec_lo, exec_lo, s27
	s_and_b32 s12, s12, exec_lo
	s_or_saveexec_b32 s26, s26
	v_mov_b32_e32 v49, 0x7f800001
	s_xor_b32 exec_lo, exec_lo, s26
	s_cbranch_execnz .LBB2_3659
.LBB2_3630:                             ;   in Loop: Header=BB2_3618 Depth=2
	s_or_b32 exec_lo, exec_lo, s26
	s_and_saveexec_b32 s26, s12
	s_cbranch_execz .LBB2_3632
.LBB2_3631:                             ;   in Loop: Header=BB2_3618 Depth=2
	v_and_b32_e32 v49, 0xffff, v37
	v_lshlrev_b32_e32 v37, 24, v37
	v_and_b32_e32 v50, 7, v49
	v_bfe_u32 v53, v49, 3, 4
	v_and_b32_e32 v37, 0x80000000, v37
	v_ffbh_u32_e32 v51, v50
	v_cmp_eq_u32_e32 vcc_lo, 0, v53
	v_min_u32_e32 v51, 32, v51
	v_subrev_nc_u32_e32 v52, 28, v51
	v_sub_nc_u32_e32 v51, 29, v51
	v_lshlrev_b32_e32 v49, v52, v49
	v_cndmask_b32_e32 v51, v53, v51, vcc_lo
	v_and_b32_e32 v49, 7, v49
	v_cndmask_b32_e32 v49, v50, v49, vcc_lo
	v_lshl_add_u32 v50, v51, 23, 0x3b800000
	v_lshlrev_b32_e32 v49, 20, v49
	v_or3_b32 v49, v37, v50, v49
.LBB2_3632:                             ;   in Loop: Header=BB2_3618 Depth=2
	s_or_b32 exec_lo, exec_lo, s26
	v_mul_f32_e32 v37, v38, v49
	v_mov_b32_e32 v49, 0x80
	s_mov_b32 s26, exec_lo
	v_and_b32_e32 v38, 0x7f800000, v37
	v_cmpx_ne_u32_e32 0x7f800000, v38
	s_cbranch_execz .LBB2_3640
; %bb.3633:                             ;   in Loop: Header=BB2_3618 Depth=2
	v_mov_b32_e32 v49, 0
	s_mov_b32 s27, exec_lo
	v_cmpx_ne_u32_e32 0, v37
	s_cbranch_execz .LBB2_3639
; %bb.3634:                             ;   in Loop: Header=BB2_3618 Depth=2
	v_bfe_u32 v38, v37, 23, 8
	v_and_b32_e32 v49, 0x7fffff, v37
	v_sub_nc_u32_e32 v50, 0x78, v38
	v_cmp_gt_u32_e32 vcc_lo, 0x79, v38
	v_or_b32_e32 v51, 0x800000, v49
	v_cndmask_b32_e32 v50, 0, v50, vcc_lo
	v_cmp_eq_u32_e32 vcc_lo, 0, v38
	v_add_nc_u32_e32 v38, 0xffffff89, v38
	v_cndmask_b32_e64 v50, v50, 0x77, vcc_lo
	v_cndmask_b32_e32 v49, v51, v49, vcc_lo
	v_cndmask_b32_e64 v38, v38, 0xffffff8a, vcc_lo
	v_lshl_add_u32 v51, 0x100000, v50, -1
	v_lshrrev_b32_e32 v52, v50, v49
	v_lshlrev_b32_e64 v86, v50, 0x80000
	v_add_nc_u32_e32 v50, v50, v38
	v_and_b32_e32 v49, v51, v49
	v_bfe_u32 v53, v52, 20, 1
	v_cmp_eq_u32_e64 s12, v49, v86
	v_add_nc_u32_e32 v51, -1, v53
	v_cndmask_b32_e64 v49, 0, v51, s12
	v_lshrrev_b32_e32 v51, 23, v52
	s_mov_b32 s12, exec_lo
	v_add_nc_u32_e32 v49, v49, v52
	v_xor_b32_e32 v51, 1, v51
	v_and_b32_e32 v38, 0xfffff, v49
	v_add_nc_u32_e32 v49, v38, v52
                                        ; implicit-def: $vgpr38
	v_cmpx_ne_u32_e64 v50, v51
	s_xor_b32 s12, exec_lo, s12
; %bb.3635:                             ;   in Loop: Header=BB2_3618 Depth=2
	v_cmp_lt_u32_e32 vcc_lo, 0xffffff, v49
	v_sub_nc_u32_e32 v38, v50, v51
	v_cndmask_b32_e64 v50, 0, 1, vcc_lo
	v_add_co_ci_u32_e64 v38, null, 0, v38, vcc_lo
	v_lshrrev_b32_e32 v49, v50, v49
; %bb.3636:                             ;   in Loop: Header=BB2_3618 Depth=2
	s_andn2_saveexec_b32 s12, s12
; %bb.3637:                             ;   in Loop: Header=BB2_3618 Depth=2
	v_bfe_u32 v38, v49, 23, 1
; %bb.3638:                             ;   in Loop: Header=BB2_3618 Depth=2
	s_or_b32 exec_lo, exec_lo, s12
	v_lshrrev_b32_e32 v49, 20, v49
	v_cmp_gt_i32_e32 vcc_lo, 16, v38
	v_min_i32_e32 v50, 15, v38
	v_and_b32_sdwa v37, v37, v80 dst_sel:DWORD dst_unused:UNUSED_PAD src0_sel:BYTE_3 src1_sel:DWORD
	v_cndmask_b32_e32 v49, 7, v49, vcc_lo
	v_lshlrev_b32_e32 v50, 3, v50
	v_and_b32_e32 v51, 7, v49
	v_or_b32_e32 v38, v38, v49
	v_or3_b32 v37, v50, v37, v51
	v_cmp_ne_u32_e32 vcc_lo, 0, v38
	v_cndmask_b32_e32 v49, 0, v37, vcc_lo
.LBB2_3639:                             ;   in Loop: Header=BB2_3618 Depth=2
	s_or_b32 exec_lo, exec_lo, s27
.LBB2_3640:                             ;   in Loop: Header=BB2_3618 Depth=2
	s_or_b32 exec_lo, exec_lo, s26
	flat_load_ubyte v37, v[12:13] slc
	v_cmp_gt_i16_sdwa s26, v49, v71 src0_sel:BYTE_0 src1_sel:DWORD
	s_mov_b32 s12, 0
	s_and_saveexec_b32 s27, s26
	s_xor_b32 s26, exec_lo, s27
	s_cbranch_execz .LBB2_3660
; %bb.3641:                             ;   in Loop: Header=BB2_3618 Depth=2
	v_cmp_eq_u16_sdwa s28, v49, v80 src0_sel:BYTE_0 src1_sel:DWORD
	s_mov_b32 s12, -1
	s_and_saveexec_b32 s27, s28
; %bb.3642:                             ;   in Loop: Header=BB2_3618 Depth=2
	s_xor_b32 s12, exec_lo, -1
; %bb.3643:                             ;   in Loop: Header=BB2_3618 Depth=2
	s_or_b32 exec_lo, exec_lo, s27
	s_and_b32 s12, s12, exec_lo
	s_or_saveexec_b32 s26, s26
	v_mov_b32_e32 v38, 0x7f800001
	s_xor_b32 exec_lo, exec_lo, s26
	s_cbranch_execnz .LBB2_3661
.LBB2_3644:                             ;   in Loop: Header=BB2_3618 Depth=2
	s_or_b32 exec_lo, exec_lo, s26
	s_and_saveexec_b32 s26, s12
	s_cbranch_execz .LBB2_3646
.LBB2_3645:                             ;   in Loop: Header=BB2_3618 Depth=2
	v_and_b32_e32 v38, 7, v49
	v_lshrrev_b16 v51, 3, v49
	v_ffbh_u32_e32 v50, v38
	v_and_b32_e32 v51, 15, v51
	v_min_u32_e32 v50, 32, v50
	v_cmp_eq_u32_e32 vcc_lo, 0, v51
	v_subrev_nc_u32_e32 v52, 28, v50
	v_sub_nc_u32_e32 v50, 29, v50
	v_lshlrev_b32_e32 v52, v52, v49
	v_lshlrev_b32_e32 v49, 24, v49
	v_cndmask_b32_e32 v50, v51, v50, vcc_lo
	v_and_b32_e32 v52, 7, v52
	v_and_b32_e32 v49, 0x80000000, v49
	v_lshl_add_u32 v50, v50, 23, 0x3b800000
	v_cndmask_b32_e32 v38, v38, v52, vcc_lo
	v_lshlrev_b32_e32 v38, 20, v38
	v_or3_b32 v38, v49, v50, v38
.LBB2_3646:                             ;   in Loop: Header=BB2_3618 Depth=2
	s_or_b32 exec_lo, exec_lo, s26
	s_waitcnt vmcnt(0) lgkmcnt(0)
	v_cmp_gt_i16_sdwa s26, v37, v71 src0_sel:BYTE_0 src1_sel:DWORD
	s_mov_b32 s12, 0
	s_and_saveexec_b32 s27, s26
	s_xor_b32 s26, exec_lo, s27
	s_cbranch_execz .LBB2_3662
; %bb.3647:                             ;   in Loop: Header=BB2_3618 Depth=2
	v_cmp_eq_u16_sdwa s28, v37, v80 src0_sel:BYTE_0 src1_sel:DWORD
	s_mov_b32 s12, -1
	s_and_saveexec_b32 s27, s28
; %bb.3648:                             ;   in Loop: Header=BB2_3618 Depth=2
	s_xor_b32 s12, exec_lo, -1
; %bb.3649:                             ;   in Loop: Header=BB2_3618 Depth=2
	s_or_b32 exec_lo, exec_lo, s27
	s_and_b32 s12, s12, exec_lo
	s_or_saveexec_b32 s26, s26
	v_mov_b32_e32 v49, 0x7f800001
	s_xor_b32 exec_lo, exec_lo, s26
	s_cbranch_execnz .LBB2_3663
.LBB2_3650:                             ;   in Loop: Header=BB2_3618 Depth=2
	s_or_b32 exec_lo, exec_lo, s26
	s_and_saveexec_b32 s26, s12
	s_cbranch_execz .LBB2_3652
.LBB2_3651:                             ;   in Loop: Header=BB2_3618 Depth=2
	v_and_b32_e32 v49, 7, v37
	v_lshrrev_b16 v51, 3, v37
	v_ffbh_u32_e32 v50, v49
	v_and_b32_e32 v51, 15, v51
	v_min_u32_e32 v50, 32, v50
	v_cmp_eq_u32_e32 vcc_lo, 0, v51
	v_subrev_nc_u32_e32 v52, 28, v50
	v_sub_nc_u32_e32 v50, 29, v50
	v_lshlrev_b32_e32 v52, v52, v37
	v_lshlrev_b32_e32 v37, 24, v37
	v_cndmask_b32_e32 v50, v51, v50, vcc_lo
	v_and_b32_e32 v52, 7, v52
	v_and_b32_e32 v37, 0x80000000, v37
	v_lshl_add_u32 v50, v50, 23, 0x3b800000
	v_cndmask_b32_e32 v49, v49, v52, vcc_lo
	v_lshlrev_b32_e32 v49, 20, v49
	v_or3_b32 v49, v37, v50, v49
.LBB2_3652:                             ;   in Loop: Header=BB2_3618 Depth=2
	s_or_b32 exec_lo, exec_lo, s26
	v_add_f32_e32 v37, v38, v49
	v_and_b32_e32 v38, 0x7f800000, v37
	v_cmp_ne_u32_e32 vcc_lo, 0x7f800000, v38
	v_mov_b32_e32 v38, 0x80
	s_and_saveexec_b32 s26, vcc_lo
	s_cbranch_execz .LBB2_3617
; %bb.3653:                             ;   in Loop: Header=BB2_3618 Depth=2
	v_mov_b32_e32 v38, 0
	s_mov_b32 s27, exec_lo
	v_cmpx_ne_u32_e32 0, v37
	s_cbranch_execz .LBB2_3616
; %bb.3654:                             ;   in Loop: Header=BB2_3618 Depth=2
	v_bfe_u32 v38, v37, 23, 8
	v_and_b32_e32 v49, 0x7fffff, v37
	v_sub_nc_u32_e32 v50, 0x78, v38
	v_cmp_gt_u32_e32 vcc_lo, 0x79, v38
	v_or_b32_e32 v51, 0x800000, v49
	v_cndmask_b32_e32 v50, 0, v50, vcc_lo
	v_cmp_eq_u32_e32 vcc_lo, 0, v38
	v_add_nc_u32_e32 v38, 0xffffff89, v38
	v_cndmask_b32_e64 v50, v50, 0x77, vcc_lo
	v_cndmask_b32_e32 v49, v51, v49, vcc_lo
	v_cndmask_b32_e64 v38, v38, 0xffffff8a, vcc_lo
	v_lshl_add_u32 v51, 0x100000, v50, -1
	v_lshrrev_b32_e32 v52, v50, v49
	v_lshlrev_b32_e64 v86, v50, 0x80000
	v_add_nc_u32_e32 v50, v50, v38
	v_and_b32_e32 v49, v51, v49
	v_bfe_u32 v53, v52, 20, 1
	v_cmp_eq_u32_e64 s12, v49, v86
	v_add_nc_u32_e32 v51, -1, v53
	v_cndmask_b32_e64 v49, 0, v51, s12
	v_lshrrev_b32_e32 v51, 23, v52
	s_mov_b32 s12, exec_lo
	v_add_nc_u32_e32 v49, v49, v52
	v_xor_b32_e32 v51, 1, v51
	v_and_b32_e32 v38, 0xfffff, v49
	v_add_nc_u32_e32 v49, v38, v52
                                        ; implicit-def: $vgpr38
	v_cmpx_ne_u32_e64 v50, v51
	s_xor_b32 s12, exec_lo, s12
; %bb.3655:                             ;   in Loop: Header=BB2_3618 Depth=2
	v_cmp_lt_u32_e32 vcc_lo, 0xffffff, v49
	v_sub_nc_u32_e32 v38, v50, v51
	v_cndmask_b32_e64 v50, 0, 1, vcc_lo
	v_add_co_ci_u32_e64 v38, null, 0, v38, vcc_lo
	v_lshrrev_b32_e32 v49, v50, v49
; %bb.3656:                             ;   in Loop: Header=BB2_3618 Depth=2
	s_andn2_saveexec_b32 s12, s12
	s_cbranch_execz .LBB2_3615
; %bb.3657:                             ;   in Loop: Header=BB2_3618 Depth=2
	v_bfe_u32 v38, v49, 23, 1
	s_branch .LBB2_3615
.LBB2_3658:                             ;   in Loop: Header=BB2_3618 Depth=2
	s_or_saveexec_b32 s26, s26
	v_mov_b32_e32 v49, 0x7f800001
	s_xor_b32 exec_lo, exec_lo, s26
	s_cbranch_execz .LBB2_3630
.LBB2_3659:                             ;   in Loop: Header=BB2_3618 Depth=2
	v_cmp_ne_u16_e32 vcc_lo, 0, v37
	v_mov_b32_e32 v49, 0
	s_andn2_b32 s12, s12, exec_lo
	s_and_b32 s27, vcc_lo, exec_lo
	s_or_b32 s12, s12, s27
	s_or_b32 exec_lo, exec_lo, s26
	s_and_saveexec_b32 s26, s12
	s_cbranch_execnz .LBB2_3631
	s_branch .LBB2_3632
.LBB2_3660:                             ;   in Loop: Header=BB2_3618 Depth=2
	s_or_saveexec_b32 s26, s26
	v_mov_b32_e32 v38, 0x7f800001
	s_xor_b32 exec_lo, exec_lo, s26
	s_cbranch_execz .LBB2_3644
.LBB2_3661:                             ;   in Loop: Header=BB2_3618 Depth=2
	v_cmp_ne_u16_sdwa s27, v49, v29 src0_sel:BYTE_0 src1_sel:DWORD
	v_mov_b32_e32 v38, 0
	s_andn2_b32 s12, s12, exec_lo
	s_and_b32 s27, s27, exec_lo
	s_or_b32 s12, s12, s27
	s_or_b32 exec_lo, exec_lo, s26
	s_and_saveexec_b32 s26, s12
	s_cbranch_execnz .LBB2_3645
	s_branch .LBB2_3646
.LBB2_3662:                             ;   in Loop: Header=BB2_3618 Depth=2
	s_or_saveexec_b32 s26, s26
	v_mov_b32_e32 v49, 0x7f800001
	s_xor_b32 exec_lo, exec_lo, s26
	s_cbranch_execz .LBB2_3650
.LBB2_3663:                             ;   in Loop: Header=BB2_3618 Depth=2
	v_cmp_ne_u16_sdwa s27, v37, v29 src0_sel:BYTE_0 src1_sel:DWORD
	v_mov_b32_e32 v49, 0
	s_andn2_b32 s12, s12, exec_lo
	s_and_b32 s27, s27, exec_lo
	s_or_b32 s12, s12, s27
	s_or_b32 exec_lo, exec_lo, s26
	s_and_saveexec_b32 s26, s12
	s_cbranch_execnz .LBB2_3651
	s_branch .LBB2_3652
.LBB2_3664:                             ;   in Loop: Header=BB2_1901 Depth=1
	s_or_b32 exec_lo, exec_lo, s13
	v_cmp_ne_u32_e64 s12, 0, v28
	s_and_saveexec_b32 s13, s6
	s_cbranch_execz .LBB2_3683
.LBB2_3665:                             ;   in Loop: Header=BB2_1901 Depth=1
	s_and_saveexec_b32 s25, s19
	s_xor_b32 s25, exec_lo, s25
	s_cbranch_execz .LBB2_3680
; %bb.3666:                             ;   in Loop: Header=BB2_1901 Depth=1
	s_and_saveexec_b32 s26, s7
	s_cbranch_execz .LBB2_3679
; %bb.3667:                             ;   in Loop: Header=BB2_1901 Depth=1
	s_mov_b32 s28, exec_lo
	s_mov_b32 s27, exec_lo
	v_mbcnt_lo_u32_b32 v10, s28, 0
	s_waitcnt vmcnt(0) lgkmcnt(0)
	s_waitcnt_vscnt null, 0x0
	buffer_gl1_inv
	buffer_gl0_inv
	v_cmpx_eq_u32_e32 0, v10
	s_cbranch_execz .LBB2_3669
; %bb.3668:                             ;   in Loop: Header=BB2_1901 Depth=1
	s_bcnt1_i32_b32 s28, s28
	v_mov_b32_e32 v28, s28
	ds_add_u64 v0, v[28:29]
	s_trap 2
.LBB2_3669:                             ;   in Loop: Header=BB2_1901 Depth=1
	s_or_b32 exec_lo, exec_lo, s27
	s_trap 2
	ds_read_b64 v[10:11], v0
	s_waitcnt lgkmcnt(0)
	buffer_gl0_inv
	v_add_co_u32 v22, vcc_lo, v22, v54
	v_add_co_ci_u32_e64 v23, null, 0, v23, vcc_lo
	s_mov_b32 s27, exec_lo
	v_cmpx_lt_u64_e64 v[10:11], v[22:23]
	s_cbranch_execz .LBB2_3678
; %bb.3670:                             ;   in Loop: Header=BB2_1901 Depth=1
	s_mov_b32 s28, 0
	s_mov_b32 s41, 0
                                        ; implicit-def: $sgpr29
                                        ; implicit-def: $sgpr40
	s_inst_prefetch 0x1
	s_branch .LBB2_3672
	.p2align	6
.LBB2_3671:                             ;   in Loop: Header=BB2_3672 Depth=2
	s_or_b32 exec_lo, exec_lo, s43
	s_and_b32 s42, exec_lo, s44
	s_or_b32 s28, s42, s28
	s_andn2_b32 s29, s29, exec_lo
	s_and_b32 s42, s40, exec_lo
	s_or_b32 s29, s29, s42
	s_andn2_b32 exec_lo, exec_lo, s28
	s_cbranch_execz .LBB2_3676
.LBB2_3672:                             ;   Parent Loop BB2_1901 Depth=1
                                        ; =>  This Inner Loop Header: Depth=2
	s_add_i32 s41, s41, 1
	s_cmpk_lg_i32 s41, 0x2710
	s_cselect_b32 s42, -1, 0
	s_and_b32 vcc_lo, exec_lo, s42
	s_cbranch_vccz .LBB2_3674
; %bb.3673:                             ;   in Loop: Header=BB2_3672 Depth=2
	s_mov_b32 s44, -1
	s_or_b32 s40, s40, exec_lo
	s_and_saveexec_b32 s43, s42
	s_cbranch_execz .LBB2_3671
	s_branch .LBB2_3675
	.p2align	6
.LBB2_3674:                             ;   in Loop: Header=BB2_3672 Depth=2
	s_trap 2
	ds_read_b64 v[10:11], v0
	s_andn2_b32 s42, s42, exec_lo
	s_mov_b32 s41, 0
	s_waitcnt lgkmcnt(0)
	flat_load_dword v10, v[10:11] glc dlc
	s_waitcnt vmcnt(0) lgkmcnt(0)
	buffer_gl1_inv
	buffer_gl0_inv
	v_cmp_eq_u32_e32 vcc_lo, 0, v10
	s_and_b32 s43, vcc_lo, exec_lo
	s_or_b32 s42, s42, s43
	s_mov_b32 s44, -1
	s_or_b32 s40, s40, exec_lo
	s_and_saveexec_b32 s43, s42
	s_cbranch_execz .LBB2_3671
.LBB2_3675:                             ;   in Loop: Header=BB2_3672 Depth=2
	s_sleep 1
	s_trap 2
	ds_read_b64 v[10:11], v0
	s_waitcnt lgkmcnt(0)
	buffer_gl0_inv
	s_andn2_b32 s40, s40, exec_lo
	v_cmp_ge_u64_e32 vcc_lo, v[10:11], v[22:23]
	s_orn2_b32 s44, vcc_lo, exec_lo
	s_branch .LBB2_3671
.LBB2_3676:                             ;   in Loop: Header=BB2_1901 Depth=1
	s_inst_prefetch 0x2
	s_or_b32 exec_lo, exec_lo, s28
	s_and_saveexec_b32 s28, s29
	s_xor_b32 s28, exec_lo, s28
	s_cbranch_execz .LBB2_3678
; %bb.3677:                             ;   in Loop: Header=BB2_1901 Depth=1
	ds_write_b32 v0, v70
	s_trap 2
.LBB2_3678:                             ;   in Loop: Header=BB2_1901 Depth=1
	s_or_b32 exec_lo, exec_lo, s27
	;;#ASMSTART
	s_wakeup
	;;#ASMEND
.LBB2_3679:                             ;   in Loop: Header=BB2_1901 Depth=1
	s_or_b32 exec_lo, exec_lo, s26
.LBB2_3680:                             ;   in Loop: Header=BB2_1901 Depth=1
	s_andn2_saveexec_b32 s25, s25
	s_cbranch_execz .LBB2_3682
; %bb.3681:                             ;   in Loop: Header=BB2_1901 Depth=1
	s_waitcnt vmcnt(0) lgkmcnt(0)
	s_waitcnt_vscnt null, 0x0
	buffer_gl1_inv
	buffer_gl0_inv
	s_barrier
.LBB2_3682:                             ;   in Loop: Header=BB2_1901 Depth=1
	s_or_b32 exec_lo, exec_lo, s25
.LBB2_3683:                             ;   in Loop: Header=BB2_1901 Depth=1
	s_or_b32 exec_lo, exec_lo, s13
	v_and_b32_e32 v10, 16, v64
	v_cmp_ne_u32_e32 vcc_lo, 0, v10
	s_and_b32 s13, vcc_lo, s12
	s_and_saveexec_b32 s12, s13
	s_cbranch_execz .LBB2_3685
; %bb.3684:                             ;   in Loop: Header=BB2_1901 Depth=1
	s_waitcnt vmcnt(0) lgkmcnt(0)
	s_waitcnt_vscnt null, 0x0
	buffer_gl1_inv
	buffer_gl0_inv
.LBB2_3685:                             ;   in Loop: Header=BB2_1901 Depth=1
	s_or_b32 exec_lo, exec_lo, s12
	v_and_b32_e32 v10, 32, v64
	s_mov_b32 s12, exec_lo
	v_cmpx_ne_u32_e32 0, v10
	s_cbranch_execz .LBB2_3687
; %bb.3686:                             ;   in Loop: Header=BB2_1901 Depth=1
	v_add_co_u32 v8, vcc_lo, v8, 1
	v_add_co_ci_u32_e64 v9, null, 0, v9, vcc_lo
	s_waitcnt vmcnt(0) lgkmcnt(0)
	s_waitcnt_vscnt null, 0x0
	flat_store_dwordx2 v[18:19], v[8:9]
.LBB2_3687:                             ;   in Loop: Header=BB2_1901 Depth=1
	s_or_b32 exec_lo, exec_lo, s12
	v_mov_b32_e32 v35, v85
.LBB2_3688:                             ;   in Loop: Header=BB2_1901 Depth=1
	s_or_b32 exec_lo, exec_lo, s24
	s_and_saveexec_b32 s13, s23
	s_cbranch_execz .LBB2_1900
; %bb.3689:                             ;   in Loop: Header=BB2_1901 Depth=1
	v_and_b32_e32 v10, 4, v64
	s_mov_b32 s23, exec_lo
	v_cmpx_ne_u32_e32 0, v10
	s_cbranch_execz .LBB2_3711
; %bb.3690:                             ;   in Loop: Header=BB2_1901 Depth=1
	s_waitcnt lgkmcnt(0)
	v_add_co_u32 v10, vcc_lo, v8, 1
	v_add_co_ci_u32_e64 v11, null, 0, v9, vcc_lo
	s_mov_b32 s24, exec_lo
	s_waitcnt vmcnt(0)
	v_cmpx_lt_u64_e64 v[24:25], v[10:11]
	s_cbranch_execz .LBB2_3702
; %bb.3691:                             ;   in Loop: Header=BB2_1901 Depth=1
	v_and_b32_e32 v9, 64, v64
	s_mov_b32 s25, 0
	s_mov_b32 s29, 0
                                        ; implicit-def: $sgpr26
                                        ; implicit-def: $sgpr27
                                        ; implicit-def: $sgpr28
	v_cmp_eq_u32_e32 vcc_lo, 0, v9
	s_branch .LBB2_3695
.LBB2_3692:                             ;   in Loop: Header=BB2_3695 Depth=2
	s_waitcnt vmcnt(0) lgkmcnt(0)
	v_cmp_ge_u64_e64 s12, v[24:25], v[10:11]
	s_or_b32 s42, s42, exec_lo
	s_orn2_b32 s41, s12, exec_lo
.LBB2_3693:                             ;   in Loop: Header=BB2_3695 Depth=2
	s_or_b32 exec_lo, exec_lo, s44
	s_andn2_b32 s12, s28, exec_lo
	s_and_b32 s28, s42, exec_lo
	s_andn2_b32 s27, s27, exec_lo
	s_and_b32 s41, s41, exec_lo
	s_or_b32 s28, s12, s28
	s_or_b32 s27, s27, s41
.LBB2_3694:                             ;   in Loop: Header=BB2_3695 Depth=2
	s_or_b32 exec_lo, exec_lo, s40
	s_and_b32 s12, exec_lo, s27
	s_or_b32 s25, s12, s25
	s_andn2_b32 s12, s26, exec_lo
	s_and_b32 s26, s28, exec_lo
	s_or_b32 s26, s12, s26
	s_andn2_b32 exec_lo, exec_lo, s25
	s_cbranch_execz .LBB2_3699
.LBB2_3695:                             ;   Parent Loop BB2_1901 Depth=1
                                        ; =>  This Inner Loop Header: Depth=2
	s_sleep 1
	s_waitcnt vmcnt(0) lgkmcnt(0)
	flat_load_dwordx2 v[24:25], v[18:19] glc dlc
	s_or_b32 s28, s28, exec_lo
	s_or_b32 s27, s27, exec_lo
                                        ; implicit-def: $vgpr9
	s_and_saveexec_b32 s40, vcc_lo
	s_cbranch_execz .LBB2_3694
; %bb.3696:                             ;   in Loop: Header=BB2_3695 Depth=2
	s_cmpk_lt_i32 s29, 0x270f
	s_mov_b32 s41, -1
	s_cselect_b32 s43, -1, 0
	s_cmpk_gt_i32 s29, 0x270e
	s_cbranch_scc0 .LBB2_3698
; %bb.3697:                             ;   in Loop: Header=BB2_3695 Depth=2
	s_trap 2
	ds_read_b64 v[12:13], v0
	s_andn2_b32 s29, s43, exec_lo
	s_mov_b32 s42, 0
	s_waitcnt vmcnt(0) lgkmcnt(0)
	s_waitcnt_vscnt null, 0x0
	flat_load_dword v9, v[12:13] glc dlc
	s_waitcnt vmcnt(0) lgkmcnt(0)
	buffer_gl1_inv
	buffer_gl0_inv
	v_cmp_eq_u32_e64 s12, 0, v9
	s_and_b32 s12, s12, exec_lo
	s_or_b32 s43, s29, s12
	s_mov_b32 s29, 0
	s_and_saveexec_b32 s44, s43
	s_cbranch_execz .LBB2_3693
	s_branch .LBB2_3692
.LBB2_3698:                             ;   in Loop: Header=BB2_3695 Depth=2
	s_add_i32 s29, s29, 1
	s_mov_b32 s42, -1
                                        ; implicit-def: $vgpr9
	s_and_saveexec_b32 s44, s43
	s_cbranch_execz .LBB2_3693
	s_branch .LBB2_3692
.LBB2_3699:                             ;   in Loop: Header=BB2_1901 Depth=1
	s_or_b32 exec_lo, exec_lo, s25
	s_xor_b32 s12, s26, -1
	s_and_saveexec_b32 s25, s12
	s_xor_b32 s12, exec_lo, s25
	s_cbranch_execz .LBB2_3701
; %bb.3700:                             ;   in Loop: Header=BB2_1901 Depth=1
	v_or_b32_e32 v64, 64, v64
	s_waitcnt vmcnt(0) lgkmcnt(0)
	s_waitcnt_vscnt null, 0x0
	ds_write_b32 v0, v9
	s_trap 2
.LBB2_3701:                             ;   in Loop: Header=BB2_1901 Depth=1
	s_or_b32 exec_lo, exec_lo, s12
.LBB2_3702:                             ;   in Loop: Header=BB2_1901 Depth=1
	s_or_b32 exec_lo, exec_lo, s24
	v_and_b32_e32 v9, 0x100, v64
	v_and_b32_e32 v28, 7, v8
	s_mov_b32 s12, -1
	;;#ASMSTART
	s_wakeup
	;;#ASMEND
	v_cmp_ne_u32_e32 vcc_lo, 0, v9
                                        ; implicit-def: $vgpr8_vgpr9
	s_and_saveexec_b32 s24, vcc_lo
	s_cbranch_execz .LBB2_3706
; %bb.3703:                             ;   in Loop: Header=BB2_1901 Depth=1
	v_mad_u64_u32 v[12:13], null, v28, 24, v[6:7]
	flat_load_dword v8, v[12:13]
	s_waitcnt vmcnt(0) lgkmcnt(0)
	v_cmp_eq_u32_e64 s12, 1, v8
	v_cmp_ne_u32_e32 vcc_lo, 1, v8
                                        ; implicit-def: $vgpr8_vgpr9
	s_and_saveexec_b32 s25, s12
	s_cbranch_execz .LBB2_3705
; %bb.3704:                             ;   in Loop: Header=BB2_1901 Depth=1
	flat_load_dword v8, v[12:13] offset:4 glc dlc
	s_waitcnt vmcnt(0) lgkmcnt(0)
	v_ashrrev_i32_e32 v9, 31, v8
.LBB2_3705:                             ;   in Loop: Header=BB2_1901 Depth=1
	s_or_b32 exec_lo, exec_lo, s25
	s_orn2_b32 s12, vcc_lo, exec_lo
.LBB2_3706:                             ;   in Loop: Header=BB2_1901 Depth=1
	s_or_b32 exec_lo, exec_lo, s24
	s_and_saveexec_b32 s24, s12
; %bb.3707:                             ;   in Loop: Header=BB2_1901 Depth=1
	v_mad_i64_i32 v[8:9], null, v28, v65, 0
; %bb.3708:                             ;   in Loop: Header=BB2_1901 Depth=1
	s_or_b32 exec_lo, exec_lo, s24
	v_add_co_u32 v8, vcc_lo, v20, v8
	v_and_b32_e32 v12, 0x2000, v64
	v_add_co_ci_u32_e64 v9, null, v21, v9, vcc_lo
	s_mov_b32 s12, exec_lo
	ds_write_b64 v0, v[8:9] offset:728
	v_cmpx_ne_u32_e32 0, v12
	s_cbranch_execz .LBB2_3710
; %bb.3709:                             ;   in Loop: Header=BB2_1901 Depth=1
	ds_read_b64 v[8:9], v0 offset:872
	s_waitcnt lgkmcnt(0)
	v_add_co_u32 v8, vcc_lo, v8, 1
	v_add_co_ci_u32_e64 v9, null, 0, v9, vcc_lo
	ds_write_b64 v0, v[8:9] offset:872
.LBB2_3710:                             ;   in Loop: Header=BB2_1901 Depth=1
	s_or_b32 exec_lo, exec_lo, s12
	v_mov_b32_e32 v8, v10
	v_mov_b32_e32 v9, v11
.LBB2_3711:                             ;   in Loop: Header=BB2_1901 Depth=1
	s_or_b32 exec_lo, exec_lo, s23
	s_and_saveexec_b32 s12, s6
	s_cbranch_execz .LBB2_3730
; %bb.3712:                             ;   in Loop: Header=BB2_1901 Depth=1
	s_and_saveexec_b32 s23, s19
	s_xor_b32 s23, exec_lo, s23
	s_cbranch_execz .LBB2_3727
; %bb.3713:                             ;   in Loop: Header=BB2_1901 Depth=1
	s_and_saveexec_b32 s24, s7
	s_cbranch_execz .LBB2_3726
; %bb.3714:                             ;   in Loop: Header=BB2_1901 Depth=1
	s_mov_b32 s26, exec_lo
	s_mov_b32 s25, exec_lo
	v_mbcnt_lo_u32_b32 v10, s26, 0
	s_waitcnt vmcnt(0) lgkmcnt(0)
	s_waitcnt_vscnt null, 0x0
	buffer_gl1_inv
	buffer_gl0_inv
	v_cmpx_eq_u32_e32 0, v10
	s_cbranch_execz .LBB2_3716
; %bb.3715:                             ;   in Loop: Header=BB2_1901 Depth=1
	s_bcnt1_i32_b32 s26, s26
	v_mov_b32_e32 v28, s26
	ds_add_u64 v0, v[28:29]
	s_trap 2
.LBB2_3716:                             ;   in Loop: Header=BB2_1901 Depth=1
	s_or_b32 exec_lo, exec_lo, s25
	s_trap 2
	ds_read_b64 v[10:11], v0
	s_waitcnt lgkmcnt(0)
	buffer_gl0_inv
	v_add_co_u32 v22, vcc_lo, v22, v54
	v_add_co_ci_u32_e64 v23, null, 0, v23, vcc_lo
	s_mov_b32 s25, exec_lo
	v_cmpx_lt_u64_e64 v[10:11], v[22:23]
	s_cbranch_execz .LBB2_3725
; %bb.3717:                             ;   in Loop: Header=BB2_1901 Depth=1
	s_mov_b32 s26, 0
	s_mov_b32 s29, 0
                                        ; implicit-def: $sgpr27
                                        ; implicit-def: $sgpr28
	s_inst_prefetch 0x1
	s_branch .LBB2_3719
	.p2align	6
.LBB2_3718:                             ;   in Loop: Header=BB2_3719 Depth=2
	s_or_b32 exec_lo, exec_lo, s41
	s_and_b32 s40, exec_lo, s42
	s_or_b32 s26, s40, s26
	s_andn2_b32 s27, s27, exec_lo
	s_and_b32 s40, s28, exec_lo
	s_or_b32 s27, s27, s40
	s_andn2_b32 exec_lo, exec_lo, s26
	s_cbranch_execz .LBB2_3723
.LBB2_3719:                             ;   Parent Loop BB2_1901 Depth=1
                                        ; =>  This Inner Loop Header: Depth=2
	s_add_i32 s29, s29, 1
	s_cmpk_lg_i32 s29, 0x2710
	s_cselect_b32 s40, -1, 0
	s_and_b32 vcc_lo, exec_lo, s40
	s_cbranch_vccz .LBB2_3721
; %bb.3720:                             ;   in Loop: Header=BB2_3719 Depth=2
	s_mov_b32 s42, -1
	s_or_b32 s28, s28, exec_lo
	s_and_saveexec_b32 s41, s40
	s_cbranch_execz .LBB2_3718
	s_branch .LBB2_3722
	.p2align	6
.LBB2_3721:                             ;   in Loop: Header=BB2_3719 Depth=2
	s_trap 2
	ds_read_b64 v[10:11], v0
	s_andn2_b32 s40, s40, exec_lo
	s_mov_b32 s29, 0
	s_waitcnt lgkmcnt(0)
	flat_load_dword v10, v[10:11] glc dlc
	s_waitcnt vmcnt(0) lgkmcnt(0)
	buffer_gl1_inv
	buffer_gl0_inv
	v_cmp_eq_u32_e32 vcc_lo, 0, v10
	s_and_b32 s41, vcc_lo, exec_lo
	s_or_b32 s40, s40, s41
	s_mov_b32 s42, -1
	s_or_b32 s28, s28, exec_lo
	s_and_saveexec_b32 s41, s40
	s_cbranch_execz .LBB2_3718
.LBB2_3722:                             ;   in Loop: Header=BB2_3719 Depth=2
	s_sleep 1
	s_trap 2
	ds_read_b64 v[10:11], v0
	s_waitcnt lgkmcnt(0)
	buffer_gl0_inv
	s_andn2_b32 s28, s28, exec_lo
	v_cmp_ge_u64_e32 vcc_lo, v[10:11], v[22:23]
	s_orn2_b32 s42, vcc_lo, exec_lo
	s_branch .LBB2_3718
.LBB2_3723:                             ;   in Loop: Header=BB2_1901 Depth=1
	s_inst_prefetch 0x2
	s_or_b32 exec_lo, exec_lo, s26
	s_and_saveexec_b32 s26, s27
	s_xor_b32 s26, exec_lo, s26
	s_cbranch_execz .LBB2_3725
; %bb.3724:                             ;   in Loop: Header=BB2_1901 Depth=1
	ds_write_b32 v0, v70
	s_trap 2
.LBB2_3725:                             ;   in Loop: Header=BB2_1901 Depth=1
	s_or_b32 exec_lo, exec_lo, s25
	;;#ASMSTART
	s_wakeup
	;;#ASMEND
.LBB2_3726:                             ;   in Loop: Header=BB2_1901 Depth=1
	s_or_b32 exec_lo, exec_lo, s24
.LBB2_3727:                             ;   in Loop: Header=BB2_1901 Depth=1
	s_andn2_saveexec_b32 s23, s23
	s_cbranch_execz .LBB2_3729
; %bb.3728:                             ;   in Loop: Header=BB2_1901 Depth=1
	s_waitcnt vmcnt(0) lgkmcnt(0)
	s_waitcnt_vscnt null, 0x0
	buffer_gl1_inv
	buffer_gl0_inv
	s_barrier
.LBB2_3729:                             ;   in Loop: Header=BB2_1901 Depth=1
	s_or_b32 exec_lo, exec_lo, s23
.LBB2_3730:                             ;   in Loop: Header=BB2_1901 Depth=1
	s_or_b32 exec_lo, exec_lo, s12
	s_trap 2
	ds_read_b32 v10, v0
	v_sub_nc_u32_e32 v11, v34, v35
	v_min_i32_e32 v11, v85, v11
	v_cmp_lt_i32_e32 vcc_lo, 0, v11
	s_waitcnt lgkmcnt(0)
	v_readfirstlane_b32 s12, v10
	v_and_b32_e32 v10, 16, v64
	s_cmp_eq_u32 s12, 0
	v_cmp_ne_u32_e64 s12, 0, v10
	s_cselect_b32 s23, -1, 0
	s_and_b32 s23, vcc_lo, s23
	s_and_b32 s23, s12, s23
	s_and_saveexec_b32 s12, s23
	s_cbranch_execz .LBB2_3732
; %bb.3731:                             ;   in Loop: Header=BB2_1901 Depth=1
	s_waitcnt vmcnt(0)
	s_waitcnt_vscnt null, 0x0
	buffer_gl1_inv
	buffer_gl0_inv
.LBB2_3732:                             ;   in Loop: Header=BB2_1901 Depth=1
	s_or_b32 exec_lo, exec_lo, s12
	v_and_b32_e32 v10, 32, v64
	s_mov_b32 s12, exec_lo
	v_cmpx_ne_u32_e32 0, v10
	s_cbranch_execz .LBB2_1899
; %bb.3733:                             ;   in Loop: Header=BB2_1901 Depth=1
	v_add_co_u32 v8, vcc_lo, v8, 1
	v_add_co_ci_u32_e64 v9, null, 0, v9, vcc_lo
	s_waitcnt vmcnt(0)
	s_waitcnt_vscnt null, 0x0
	flat_store_dwordx2 v[18:19], v[8:9]
	s_branch .LBB2_1899
.LBB2_3734:
	s_or_b32 exec_lo, exec_lo, s20
.LBB2_3735:
	s_or_b32 exec_lo, exec_lo, s18
.LBB2_3736:
	s_or_b32 exec_lo, exec_lo, s14
                                        ; implicit-def: $vgpr14_vgpr15
                                        ; implicit-def: $vgpr4_vgpr5
                                        ; implicit-def: $vgpr28_vgpr29
                                        ; implicit-def: $vgpr65
                                        ; implicit-def: $vgpr24_vgpr25
                                        ; implicit-def: $vgpr20_vgpr21
                                        ; implicit-def: $vgpr18_vgpr19
                                        ; implicit-def: $vgpr0
                                        ; implicit-def: $vgpr37
                                        ; implicit-def: $vgpr26
.LBB2_3737:
	s_andn2_saveexec_b32 s17, s17
	s_cbranch_execz .LBB2_4853
; %bb.3738:
	v_mov_b32_e32 v22, 0
	v_mov_b32_e32 v23, 0
	s_mov_b32 s18, exec_lo
	v_cmpx_ne_u64_e32 0, v[4:5]
	s_cbranch_execz .LBB2_4852
; %bb.3739:
	v_and_b32_e32 v10, 31, v31
	v_and_b32_e32 v66, 31, v0
	v_lshrrev_b32_e32 v68, 5, v0
	s_waitcnt vmcnt(1)
	v_mov_b32_e32 v33, 0
	v_lshrrev_b32_e32 v67, 5, v1
	v_cmp_eq_u32_e64 s7, 0, v10
	v_lshlrev_b32_e32 v10, 4, v66
	s_ashr_i32 s6, s16, 31
	v_cmp_eq_u32_e32 vcc_lo, 32, v1
	s_lshr_b32 s6, s6, 24
	v_cmp_lt_u32_e64 s11, v66, v37
	v_lshl_or_b32 v32, v68, 10, v10
	v_mov_b32_e32 v34, 0
	s_waitcnt lgkmcnt(1)
	v_cmp_ne_u64_e64 s12, 0, v[28:29]
	v_mov_b32_e32 v37, v33
	v_mov_b32_e32 v22, 0
	v_cmp_ge_u32_e64 s5, v0, v1
	s_add_i32 s13, s16, s6
	v_cmp_ne_u32_e64 s6, 32, v1
	s_waitcnt vmcnt(0)
	v_cmp_ne_u32_sdwa s16, v1, v30 src0_sel:DWORD src1_sel:WORD_0
	v_cmp_eq_u32_e64 s10, 0, v66
	v_lshlrev_b32_e32 v69, 10, v67
	v_lshlrev_b32_e32 v70, 9, v67
	;; [unrolled: 1-line block ×3, first 2 shown]
	v_and_b32_e32 v80, 0x1fe0, v1
	v_mov_b32_e32 v35, 0
	v_mov_b32_e32 v36, v32
	;; [unrolled: 1-line block ×9, first 2 shown]
	s_ashr_i32 s20, s13, 8
	s_mov_b32 s19, 0
	s_xor_b32 s21, vcc_lo, -1
	s_trap 2
	s_branch .LBB2_3743
.LBB2_3740:                             ;   in Loop: Header=BB2_3743 Depth=1
	s_or_b32 exec_lo, exec_lo, s22
	v_add_co_u32 v8, vcc_lo, v8, 1
	v_add_co_ci_u32_e64 v9, null, 0, v9, vcc_lo
	s_waitcnt vmcnt(0) lgkmcnt(0)
	s_waitcnt_vscnt null, 0x0
	flat_store_dwordx2 v[18:19], v[8:9]
.LBB2_3741:                             ;   in Loop: Header=BB2_3743 Depth=1
	s_or_b32 exec_lo, exec_lo, s13
.LBB2_3742:                             ;   in Loop: Header=BB2_3743 Depth=1
	s_or_b32 exec_lo, exec_lo, s14
	v_add_co_u32 v34, vcc_lo, v34, v26
	v_add_co_ci_u32_e64 v35, null, 0, v35, vcc_lo
	v_cmp_ge_u64_e32 vcc_lo, v[34:35], v[4:5]
	s_or_b32 s19, vcc_lo, s19
	s_andn2_b32 exec_lo, exec_lo, s19
	s_cbranch_execz .LBB2_4851
.LBB2_3743:                             ; =>This Loop Header: Depth=1
                                        ;     Child Loop BB2_3752 Depth 2
                                        ;     Child Loop BB2_3776 Depth 2
	;; [unrolled: 1-line block ×10, first 2 shown]
	v_sub_co_u32 v10, vcc_lo, v4, v34
	v_sub_co_ci_u32_e64 v11, null, v5, v35, vcc_lo
	v_cmp_lt_u64_e32 vcc_lo, v[26:27], v[10:11]
	v_cndmask_b32_e32 v38, v10, v26, vcc_lo
	v_cndmask_b32_e64 v39, v11, 0, vcc_lo
	v_add_nc_u32_e32 v10, 15, v38
	v_cmp_eq_u64_e32 vcc_lo, 0, v[38:39]
	v_and_b32_e32 v10, 0x7ffffff0, v10
	s_or_b32 s22, s5, vcc_lo
	s_xor_b32 s13, s22, -1
	v_max_i32_e32 v32, s20, v10
	v_mov_b32_e32 v10, 0
	s_and_saveexec_b32 s23, s13
	s_cbranch_execz .LBB2_4804
; %bb.3744:                             ;   in Loop: Header=BB2_3743 Depth=1
	s_and_saveexec_b32 s13, s4
	s_cbranch_execz .LBB2_3746
; %bb.3745:                             ;   in Loop: Header=BB2_3743 Depth=1
	s_trap 2
	ds_read_b64 v[10:11], v0
	s_waitcnt lgkmcnt(0)
	v_add_co_u32 v12, vcc_lo, v10, v14
	v_add_co_ci_u32_e64 v11, null, v11, v15, vcc_lo
	v_mov_b32_e32 v10, v33
	v_add_co_u32 v12, vcc_lo, v12, v34
	v_add_co_ci_u32_e64 v13, null, v11, v35, vcc_lo
	v_mov_b32_e32 v11, v33
	ds_write_b64 v0, v[12:13]
	ds_write_b64 v0, v[10:11]
.LBB2_3746:                             ;   in Loop: Header=BB2_3743 Depth=1
	s_or_b32 exec_lo, exec_lo, s13
	v_and_b32_e32 v10, 8, v64
	v_min_u32_e32 v32, v32, v38
	s_mov_b32 s14, exec_lo
	v_cmpx_ne_u32_e32 0, v10
	s_cbranch_execz .LBB2_3768
; %bb.3747:                             ;   in Loop: Header=BB2_3743 Depth=1
	s_waitcnt vmcnt(0)
	v_add_co_u32 v12, vcc_lo, v24, 8
	v_add_co_ci_u32_e64 v13, null, 0, v25, vcc_lo
	s_waitcnt lgkmcnt(0)
	v_add_co_u32 v10, vcc_lo, v8, 1
	v_add_co_ci_u32_e64 v11, null, 0, v9, vcc_lo
	s_mov_b32 s24, exec_lo
	v_cmpx_lt_u64_e64 v[12:13], v[10:11]
	s_cbranch_execz .LBB2_3759
; %bb.3748:                             ;   in Loop: Header=BB2_3743 Depth=1
	v_and_b32_e32 v9, 64, v64
	s_mov_b32 s25, 0
	s_mov_b32 s29, 0
                                        ; implicit-def: $sgpr26
                                        ; implicit-def: $sgpr27
                                        ; implicit-def: $sgpr28
	v_cmp_eq_u32_e32 vcc_lo, 0, v9
	s_branch .LBB2_3752
.LBB2_3749:                             ;   in Loop: Header=BB2_3752 Depth=2
	s_waitcnt vmcnt(0) lgkmcnt(0)
	v_add_co_u32 v12, s13, v24, 8
	v_add_co_ci_u32_e64 v13, null, 0, v25, s13
	s_or_b32 s42, s42, exec_lo
	v_cmp_ge_u64_e64 s13, v[12:13], v[10:11]
	s_orn2_b32 s41, s13, exec_lo
.LBB2_3750:                             ;   in Loop: Header=BB2_3752 Depth=2
	s_or_b32 exec_lo, exec_lo, s44
	s_andn2_b32 s13, s28, exec_lo
	s_and_b32 s28, s42, exec_lo
	s_andn2_b32 s27, s27, exec_lo
	s_and_b32 s41, s41, exec_lo
	s_or_b32 s28, s13, s28
	s_or_b32 s27, s27, s41
.LBB2_3751:                             ;   in Loop: Header=BB2_3752 Depth=2
	s_or_b32 exec_lo, exec_lo, s40
	s_and_b32 s13, exec_lo, s27
	s_or_b32 s25, s13, s25
	s_andn2_b32 s13, s26, exec_lo
	s_and_b32 s26, s28, exec_lo
	s_or_b32 s26, s13, s26
	s_andn2_b32 exec_lo, exec_lo, s25
	s_cbranch_execz .LBB2_3756
.LBB2_3752:                             ;   Parent Loop BB2_3743 Depth=1
                                        ; =>  This Inner Loop Header: Depth=2
	s_sleep 1
	s_waitcnt vmcnt(0) lgkmcnt(0)
	flat_load_dwordx2 v[24:25], v[18:19] glc dlc
	s_or_b32 s28, s28, exec_lo
	s_or_b32 s27, s27, exec_lo
                                        ; implicit-def: $vgpr9
	s_and_saveexec_b32 s40, vcc_lo
	s_cbranch_execz .LBB2_3751
; %bb.3753:                             ;   in Loop: Header=BB2_3752 Depth=2
	s_cmpk_lt_i32 s29, 0x270f
	s_mov_b32 s41, -1
	s_cselect_b32 s43, -1, 0
	s_cmpk_gt_i32 s29, 0x270e
	s_cbranch_scc0 .LBB2_3755
; %bb.3754:                             ;   in Loop: Header=BB2_3752 Depth=2
	s_trap 2
	ds_read_b64 v[12:13], v0
	s_andn2_b32 s29, s43, exec_lo
	s_mov_b32 s42, 0
	s_waitcnt vmcnt(0) lgkmcnt(0)
	s_waitcnt_vscnt null, 0x0
	flat_load_dword v9, v[12:13] glc dlc
	s_waitcnt vmcnt(0) lgkmcnt(0)
	buffer_gl1_inv
	buffer_gl0_inv
	v_cmp_eq_u32_e64 s13, 0, v9
	s_and_b32 s13, s13, exec_lo
	s_or_b32 s43, s29, s13
	s_mov_b32 s29, 0
	s_and_saveexec_b32 s44, s43
	s_cbranch_execz .LBB2_3750
	s_branch .LBB2_3749
.LBB2_3755:                             ;   in Loop: Header=BB2_3752 Depth=2
	s_add_i32 s29, s29, 1
	s_mov_b32 s42, -1
                                        ; implicit-def: $vgpr9
	s_and_saveexec_b32 s44, s43
	s_cbranch_execz .LBB2_3750
	s_branch .LBB2_3749
.LBB2_3756:                             ;   in Loop: Header=BB2_3743 Depth=1
	s_or_b32 exec_lo, exec_lo, s25
	s_xor_b32 s13, s26, -1
	s_and_saveexec_b32 s25, s13
	s_xor_b32 s13, exec_lo, s25
	s_cbranch_execz .LBB2_3758
; %bb.3757:                             ;   in Loop: Header=BB2_3743 Depth=1
	v_or_b32_e32 v64, 64, v64
	s_waitcnt vmcnt(0) lgkmcnt(0)
	s_waitcnt_vscnt null, 0x0
	ds_write_b32 v0, v9
	s_trap 2
.LBB2_3758:                             ;   in Loop: Header=BB2_3743 Depth=1
	s_or_b32 exec_lo, exec_lo, s13
.LBB2_3759:                             ;   in Loop: Header=BB2_3743 Depth=1
	s_or_b32 exec_lo, exec_lo, s24
	v_and_b32_e32 v9, 0x100, v64
	v_and_b32_e32 v39, 7, v8
	s_mov_b32 s13, -1
	;;#ASMSTART
	s_wakeup
	;;#ASMEND
	v_cmp_ne_u32_e32 vcc_lo, 0, v9
                                        ; implicit-def: $vgpr8_vgpr9
	s_and_saveexec_b32 s24, vcc_lo
	s_cbranch_execz .LBB2_3763
; %bb.3760:                             ;   in Loop: Header=BB2_3743 Depth=1
	v_mad_u64_u32 v[12:13], null, v39, 24, v[6:7]
	flat_load_dword v8, v[12:13]
	flat_store_dwordx2 v[12:13], v[32:33] offset:8
	s_waitcnt vmcnt(0) lgkmcnt(1)
	v_cmp_eq_u32_e64 s13, 1, v8
	v_cmp_ne_u32_e32 vcc_lo, 1, v8
                                        ; implicit-def: $vgpr8_vgpr9
	s_and_saveexec_b32 s25, s13
	s_cbranch_execz .LBB2_3762
; %bb.3761:                             ;   in Loop: Header=BB2_3743 Depth=1
	flat_load_dword v8, v[12:13] offset:4 glc dlc
	s_waitcnt vmcnt(0) lgkmcnt(0)
	v_ashrrev_i32_e32 v9, 31, v8
.LBB2_3762:                             ;   in Loop: Header=BB2_3743 Depth=1
	s_or_b32 exec_lo, exec_lo, s25
	s_orn2_b32 s13, vcc_lo, exec_lo
.LBB2_3763:                             ;   in Loop: Header=BB2_3743 Depth=1
	s_or_b32 exec_lo, exec_lo, s24
	s_and_saveexec_b32 s24, s13
; %bb.3764:                             ;   in Loop: Header=BB2_3743 Depth=1
	v_mad_i64_i32 v[8:9], null, v39, v65, 0
; %bb.3765:                             ;   in Loop: Header=BB2_3743 Depth=1
	s_or_b32 exec_lo, exec_lo, s24
	v_add_co_u32 v8, vcc_lo, v20, v8
	v_and_b32_e32 v12, 0x2000, v64
	v_add_co_ci_u32_e64 v9, null, v21, v9, vcc_lo
	s_mov_b32 s13, exec_lo
	ds_write_b64 v0, v[8:9] offset:784
	v_cmpx_ne_u32_e32 0, v12
	s_cbranch_execz .LBB2_3767
; %bb.3766:                             ;   in Loop: Header=BB2_3743 Depth=1
	ds_read_b64 v[8:9], v0 offset:872
	s_waitcnt lgkmcnt(0)
	v_add_co_u32 v8, vcc_lo, v8, 1
	v_add_co_ci_u32_e64 v9, null, 0, v9, vcc_lo
	ds_write_b64 v0, v[8:9] offset:872
.LBB2_3767:                             ;   in Loop: Header=BB2_3743 Depth=1
	s_or_b32 exec_lo, exec_lo, s13
	v_mov_b32_e32 v8, v10
	v_mov_b32_e32 v9, v11
.LBB2_3768:                             ;   in Loop: Header=BB2_3743 Depth=1
	s_or_b32 exec_lo, exec_lo, s14
	s_and_saveexec_b32 s13, s6
	s_cbranch_execz .LBB2_3787
; %bb.3769:                             ;   in Loop: Header=BB2_3743 Depth=1
	s_and_saveexec_b32 s14, s16
	s_xor_b32 s14, exec_lo, s14
	s_cbranch_execz .LBB2_3784
; %bb.3770:                             ;   in Loop: Header=BB2_3743 Depth=1
	s_and_saveexec_b32 s24, s7
	s_cbranch_execz .LBB2_3783
; %bb.3771:                             ;   in Loop: Header=BB2_3743 Depth=1
	s_mov_b32 s26, exec_lo
	s_mov_b32 s25, exec_lo
	v_mbcnt_lo_u32_b32 v10, s26, 0
	s_waitcnt vmcnt(0) lgkmcnt(0)
	s_waitcnt_vscnt null, 0x0
	buffer_gl1_inv
	buffer_gl0_inv
	v_cmpx_eq_u32_e32 0, v10
	s_cbranch_execz .LBB2_3773
; %bb.3772:                             ;   in Loop: Header=BB2_3743 Depth=1
	s_bcnt1_i32_b32 s26, s26
	v_mov_b32_e32 v11, v33
	v_mov_b32_e32 v10, s26
	ds_add_u64 v0, v[10:11]
	s_trap 2
.LBB2_3773:                             ;   in Loop: Header=BB2_3743 Depth=1
	s_or_b32 exec_lo, exec_lo, s25
	s_trap 2
	ds_read_b64 v[10:11], v0
	s_waitcnt lgkmcnt(0)
	buffer_gl0_inv
	v_add_co_u32 v22, vcc_lo, v22, v67
	v_add_co_ci_u32_e64 v23, null, 0, v23, vcc_lo
	s_mov_b32 s25, exec_lo
	v_cmpx_lt_u64_e64 v[10:11], v[22:23]
	s_cbranch_execz .LBB2_3782
; %bb.3774:                             ;   in Loop: Header=BB2_3743 Depth=1
	s_mov_b32 s26, 0
	s_mov_b32 s29, 0
                                        ; implicit-def: $sgpr27
                                        ; implicit-def: $sgpr28
	s_inst_prefetch 0x1
	s_branch .LBB2_3776
	.p2align	6
.LBB2_3775:                             ;   in Loop: Header=BB2_3776 Depth=2
	s_or_b32 exec_lo, exec_lo, s41
	s_and_b32 s40, exec_lo, s42
	s_or_b32 s26, s40, s26
	s_andn2_b32 s27, s27, exec_lo
	s_and_b32 s40, s28, exec_lo
	s_or_b32 s27, s27, s40
	s_andn2_b32 exec_lo, exec_lo, s26
	s_cbranch_execz .LBB2_3780
.LBB2_3776:                             ;   Parent Loop BB2_3743 Depth=1
                                        ; =>  This Inner Loop Header: Depth=2
	s_add_i32 s29, s29, 1
	s_cmpk_lg_i32 s29, 0x2710
	s_cselect_b32 s40, -1, 0
	s_and_b32 vcc_lo, exec_lo, s40
	s_cbranch_vccz .LBB2_3778
; %bb.3777:                             ;   in Loop: Header=BB2_3776 Depth=2
	s_mov_b32 s42, -1
	s_or_b32 s28, s28, exec_lo
	s_and_saveexec_b32 s41, s40
	s_cbranch_execz .LBB2_3775
	s_branch .LBB2_3779
	.p2align	6
.LBB2_3778:                             ;   in Loop: Header=BB2_3776 Depth=2
	s_trap 2
	ds_read_b64 v[10:11], v0
	s_andn2_b32 s40, s40, exec_lo
	s_mov_b32 s29, 0
	s_waitcnt lgkmcnt(0)
	flat_load_dword v10, v[10:11] glc dlc
	s_waitcnt vmcnt(0) lgkmcnt(0)
	buffer_gl1_inv
	buffer_gl0_inv
	v_cmp_eq_u32_e32 vcc_lo, 0, v10
	s_and_b32 s41, vcc_lo, exec_lo
	s_or_b32 s40, s40, s41
	s_mov_b32 s42, -1
	s_or_b32 s28, s28, exec_lo
	s_and_saveexec_b32 s41, s40
	s_cbranch_execz .LBB2_3775
.LBB2_3779:                             ;   in Loop: Header=BB2_3776 Depth=2
	s_sleep 1
	s_trap 2
	ds_read_b64 v[10:11], v0
	s_waitcnt lgkmcnt(0)
	buffer_gl0_inv
	s_andn2_b32 s28, s28, exec_lo
	v_cmp_ge_u64_e32 vcc_lo, v[10:11], v[22:23]
	s_orn2_b32 s42, vcc_lo, exec_lo
	s_branch .LBB2_3775
.LBB2_3780:                             ;   in Loop: Header=BB2_3743 Depth=1
	s_inst_prefetch 0x2
	s_or_b32 exec_lo, exec_lo, s26
	s_and_saveexec_b32 s26, s27
	s_xor_b32 s26, exec_lo, s26
	s_cbranch_execz .LBB2_3782
; %bb.3781:                             ;   in Loop: Header=BB2_3743 Depth=1
	ds_write_b32 v0, v81
	s_trap 2
.LBB2_3782:                             ;   in Loop: Header=BB2_3743 Depth=1
	s_or_b32 exec_lo, exec_lo, s25
	;;#ASMSTART
	s_wakeup
	;;#ASMEND
.LBB2_3783:                             ;   in Loop: Header=BB2_3743 Depth=1
	s_or_b32 exec_lo, exec_lo, s24
.LBB2_3784:                             ;   in Loop: Header=BB2_3743 Depth=1
	s_andn2_saveexec_b32 s14, s14
	s_cbranch_execz .LBB2_3786
; %bb.3785:                             ;   in Loop: Header=BB2_3743 Depth=1
	s_waitcnt vmcnt(0) lgkmcnt(0)
	s_waitcnt_vscnt null, 0x0
	buffer_gl1_inv
	buffer_gl0_inv
	s_barrier
.LBB2_3786:                             ;   in Loop: Header=BB2_3743 Depth=1
	s_or_b32 exec_lo, exec_lo, s14
.LBB2_3787:                             ;   in Loop: Header=BB2_3743 Depth=1
	s_or_b32 exec_lo, exec_lo, s13
	s_trap 2
	ds_read_b32 v10, v0
	v_and_b32_e32 v11, 0x4000, v64
	v_cmp_ne_u32_e32 vcc_lo, 0, v11
	s_and_b32 s14, s21, vcc_lo
	s_and_saveexec_b32 s13, s14
	s_cbranch_execz .LBB2_3806
; %bb.3788:                             ;   in Loop: Header=BB2_3743 Depth=1
	s_and_saveexec_b32 s14, s16
	s_xor_b32 s14, exec_lo, s14
	s_cbranch_execz .LBB2_3803
; %bb.3789:                             ;   in Loop: Header=BB2_3743 Depth=1
	s_and_saveexec_b32 s24, s7
	s_cbranch_execz .LBB2_3802
; %bb.3790:                             ;   in Loop: Header=BB2_3743 Depth=1
	s_mov_b32 s26, exec_lo
	s_mov_b32 s25, exec_lo
	v_mbcnt_lo_u32_b32 v11, s26, 0
	s_waitcnt vmcnt(0) lgkmcnt(0)
	s_waitcnt_vscnt null, 0x0
	buffer_gl1_inv
	buffer_gl0_inv
	v_cmpx_eq_u32_e32 0, v11
	s_cbranch_execz .LBB2_3792
; %bb.3791:                             ;   in Loop: Header=BB2_3743 Depth=1
	s_bcnt1_i32_b32 s26, s26
	v_mov_b32_e32 v12, v33
	v_mov_b32_e32 v11, s26
	ds_add_u64 v0, v[11:12]
	s_trap 2
.LBB2_3792:                             ;   in Loop: Header=BB2_3743 Depth=1
	s_or_b32 exec_lo, exec_lo, s25
	s_trap 2
	ds_read_b64 v[11:12], v0
	s_waitcnt lgkmcnt(0)
	buffer_gl0_inv
	v_add_co_u32 v22, vcc_lo, v22, v67
	v_add_co_ci_u32_e64 v23, null, 0, v23, vcc_lo
	s_mov_b32 s25, exec_lo
	v_cmpx_lt_u64_e64 v[11:12], v[22:23]
	s_cbranch_execz .LBB2_3801
; %bb.3793:                             ;   in Loop: Header=BB2_3743 Depth=1
	s_mov_b32 s26, 0
	s_mov_b32 s29, 0
                                        ; implicit-def: $sgpr27
                                        ; implicit-def: $sgpr28
	s_inst_prefetch 0x1
	s_branch .LBB2_3795
	.p2align	6
.LBB2_3794:                             ;   in Loop: Header=BB2_3795 Depth=2
	s_or_b32 exec_lo, exec_lo, s41
	s_and_b32 s40, exec_lo, s42
	s_or_b32 s26, s40, s26
	s_andn2_b32 s27, s27, exec_lo
	s_and_b32 s40, s28, exec_lo
	s_or_b32 s27, s27, s40
	s_andn2_b32 exec_lo, exec_lo, s26
	s_cbranch_execz .LBB2_3799
.LBB2_3795:                             ;   Parent Loop BB2_3743 Depth=1
                                        ; =>  This Inner Loop Header: Depth=2
	s_add_i32 s29, s29, 1
	s_cmpk_lg_i32 s29, 0x2710
	s_cselect_b32 s40, -1, 0
	s_and_b32 vcc_lo, exec_lo, s40
	s_cbranch_vccz .LBB2_3797
; %bb.3796:                             ;   in Loop: Header=BB2_3795 Depth=2
	s_mov_b32 s42, -1
	s_or_b32 s28, s28, exec_lo
	s_and_saveexec_b32 s41, s40
	s_cbranch_execz .LBB2_3794
	s_branch .LBB2_3798
	.p2align	6
.LBB2_3797:                             ;   in Loop: Header=BB2_3795 Depth=2
	s_trap 2
	ds_read_b64 v[11:12], v0
	s_andn2_b32 s40, s40, exec_lo
	s_mov_b32 s29, 0
	s_waitcnt lgkmcnt(0)
	flat_load_dword v11, v[11:12] glc dlc
	s_waitcnt vmcnt(0) lgkmcnt(0)
	buffer_gl1_inv
	buffer_gl0_inv
	v_cmp_eq_u32_e32 vcc_lo, 0, v11
	s_and_b32 s41, vcc_lo, exec_lo
	s_or_b32 s40, s40, s41
	s_mov_b32 s42, -1
	s_or_b32 s28, s28, exec_lo
	s_and_saveexec_b32 s41, s40
	s_cbranch_execz .LBB2_3794
.LBB2_3798:                             ;   in Loop: Header=BB2_3795 Depth=2
	s_sleep 1
	s_trap 2
	ds_read_b64 v[11:12], v0
	s_waitcnt lgkmcnt(0)
	buffer_gl0_inv
	s_andn2_b32 s28, s28, exec_lo
	v_cmp_ge_u64_e32 vcc_lo, v[11:12], v[22:23]
	s_orn2_b32 s42, vcc_lo, exec_lo
	s_branch .LBB2_3794
.LBB2_3799:                             ;   in Loop: Header=BB2_3743 Depth=1
	s_inst_prefetch 0x2
	s_or_b32 exec_lo, exec_lo, s26
	s_and_saveexec_b32 s26, s27
	s_xor_b32 s26, exec_lo, s26
	s_cbranch_execz .LBB2_3801
; %bb.3800:                             ;   in Loop: Header=BB2_3743 Depth=1
	ds_write_b32 v0, v81
	s_trap 2
.LBB2_3801:                             ;   in Loop: Header=BB2_3743 Depth=1
	s_or_b32 exec_lo, exec_lo, s25
	;;#ASMSTART
	s_wakeup
	;;#ASMEND
.LBB2_3802:                             ;   in Loop: Header=BB2_3743 Depth=1
	s_or_b32 exec_lo, exec_lo, s24
.LBB2_3803:                             ;   in Loop: Header=BB2_3743 Depth=1
	s_andn2_saveexec_b32 s14, s14
	s_cbranch_execz .LBB2_3805
; %bb.3804:                             ;   in Loop: Header=BB2_3743 Depth=1
	s_waitcnt vmcnt(0) lgkmcnt(0)
	s_waitcnt_vscnt null, 0x0
	buffer_gl1_inv
	buffer_gl0_inv
	s_barrier
.LBB2_3805:                             ;   in Loop: Header=BB2_3743 Depth=1
	s_or_b32 exec_lo, exec_lo, s14
.LBB2_3806:                             ;   in Loop: Header=BB2_3743 Depth=1
	s_or_b32 exec_lo, exec_lo, s13
	s_trap 2
	ds_read_b64 v[48:49], v0
	s_waitcnt lgkmcnt(0)
	v_cmp_eq_u64_e32 vcc_lo, 0, v[48:49]
	s_cbranch_vccnz .LBB2_3814
; %bb.3807:                             ;   in Loop: Header=BB2_3743 Depth=1
	s_trap 2
	ds_read_b64 v[50:51], v0
	s_waitcnt lgkmcnt(0)
	v_cmp_eq_u64_e32 vcc_lo, 0, v[50:51]
	s_cbranch_vccnz .LBB2_3814
; %bb.3808:                             ;   in Loop: Header=BB2_3743 Depth=1
	s_mov_b32 s13, -1
	s_and_saveexec_b32 s14, s10
	s_cbranch_execz .LBB2_3810
; %bb.3809:                             ;   in Loop: Header=BB2_3743 Depth=1
	ds_read_b32 v11, v0 offset:720
	s_waitcnt lgkmcnt(0)
	v_and_b32_e32 v11, 15, v11
	v_cmp_eq_u32_e32 vcc_lo, 0, v11
	s_orn2_b32 s13, vcc_lo, exec_lo
.LBB2_3810:                             ;   in Loop: Header=BB2_3743 Depth=1
	s_or_b32 exec_lo, exec_lo, s14
	s_and_saveexec_b32 s14, s11
	s_cbranch_execz .LBB2_3812
; %bb.3811:                             ;   in Loop: Header=BB2_3743 Depth=1
	ds_read_b32 v11, v0 offset:784
	s_waitcnt lgkmcnt(0)
	v_and_b32_e32 v11, 15, v11
	v_cmp_eq_u32_e32 vcc_lo, 0, v11
	s_and_b32 s24, s13, vcc_lo
	s_andn2_b32 s13, s13, exec_lo
	s_and_b32 s24, s24, exec_lo
	s_or_b32 s13, s13, s24
.LBB2_3812:                             ;   in Loop: Header=BB2_3743 Depth=1
	s_or_b32 exec_lo, exec_lo, s14
	v_cmp_eq_u32_e32 vcc_lo, 0, v10
	s_xor_b32 s13, s13, -1
	v_mov_b32_e32 v12, 0
	v_cndmask_b32_e64 v11, 0, 1, s13
	v_mov_b32_e32 v52, v0
	v_cndmask_b32_e32 v39, 0, v32, vcc_lo
	s_mov_b32 s13, -1
	v_cmp_ne_u32_e32 vcc_lo, 0, v11
	v_mov_b32_e32 v13, v39
	s_cbranch_vccz .LBB2_3815
; %bb.3813:                             ;   in Loop: Header=BB2_3743 Depth=1
	s_and_saveexec_b32 s14, s13
	s_cbranch_execnz .LBB2_4610
	s_branch .LBB2_4778
.LBB2_3814:                             ;   in Loop: Header=BB2_3743 Depth=1
	s_mov_b32 s13, 0
	s_and_saveexec_b32 s14, s6
	s_cbranch_execnz .LBB2_4779
	s_branch .LBB2_4797
.LBB2_3815:                             ;   in Loop: Header=BB2_3743 Depth=1
	v_lshrrev_b32_e32 v10, 10, v39
	s_mov_b32 s14, exec_lo
	v_sub_nc_u32_e32 v87, v10, v68
	v_cmpx_lt_i32_e32 0, v87
	s_cbranch_execz .LBB2_4339
; %bb.3816:                             ;   in Loop: Header=BB2_3743 Depth=1
	s_trap 2
	ds_read_b64 v[10:11], v0
	v_mov_b32_e32 v53, v37
	v_mov_b32_e32 v52, v36
	s_waitcnt lgkmcnt(0)
	v_readfirstlane_b32 s13, v10
	s_and_b32 s25, s13, 7
	s_bfe_u32 s28, s13, 0x40003
	s_flbit_i32_b32 s24, s25
	s_min_u32 s26, s24, 32
	s_mov_b32 s24, 0
	s_sub_i32 s27, s26, 28
	s_sub_i32 s26, 29, s26
	s_lshl_b32 s27, s13, s27
	s_and_b32 s27, s27, 7
	s_cmp_eq_u32 s28, 0
	s_cselect_b32 s26, s26, s28
	s_cselect_b32 s25, s27, s25
	s_lshl_b32 s27, s13, 24
	s_lshl_b32 s26, s26, 23
	s_and_b32 s27, s27, 0x80000000
	s_add_i32 s26, s26, 0x3b800000
	s_lshl_b32 s28, s25, 20
	s_or_b32 s26, s27, s26
	s_and_b32 s25, s13, 0xff
	s_or_b32 s26, s26, s28
	s_and_b32 s27, 0xffff, s25
	s_branch .LBB2_3820
.LBB2_3817:                             ;   in Loop: Header=BB2_3820 Depth=2
	s_or_b32 exec_lo, exec_lo, s13
	v_lshrrev_b32_e32 v59, 20, v59
	v_min_i32_e32 v60, 15, v58
	v_cmp_gt_i32_e32 vcc_lo, 16, v58
	v_and_b32_sdwa v13, v13, v83 dst_sel:DWORD dst_unused:UNUSED_PAD src0_sel:BYTE_3 src1_sel:DWORD
	v_lshlrev_b32_e32 v60, 3, v60
	v_cndmask_b32_e32 v59, 7, v59, vcc_lo
	v_and_b32_e32 v60, 0xf8, v60
	v_and_b32_e32 v61, 7, v59
	v_or_b32_e32 v58, v58, v59
	v_or3_b32 v13, v13, v60, v61
	v_cmp_ne_u32_e32 vcc_lo, 0, v58
	v_lshlrev_b32_e32 v13, 8, v13
	v_cndmask_b32_e32 v58, 0, v13, vcc_lo
.LBB2_3818:                             ;   in Loop: Header=BB2_3820 Depth=2
	s_or_b32 exec_lo, exec_lo, s29
.LBB2_3819:                             ;   in Loop: Header=BB2_3820 Depth=2
	s_or_b32 exec_lo, exec_lo, s28
	v_or_b32_sdwa v13, v103, v102 dst_sel:WORD_1 dst_unused:UNUSED_PAD src0_sel:DWORD src1_sel:DWORD
	v_or_b32_sdwa v99, v99, v98 dst_sel:WORD_1 dst_unused:UNUSED_PAD src0_sel:DWORD src1_sel:DWORD
	;; [unrolled: 1-line block ×3, first 2 shown]
	v_sub_nc_u32_e32 v87, v87, v67
	v_or_b32_sdwa v103, v119, v118 dst_sel:WORD_1 dst_unused:UNUSED_PAD src0_sel:DWORD src1_sel:DWORD
	v_or3_b32 v98, v101, v100, v13
	v_add_co_u32 v101, vcc_lo, v50, v52
	v_or_b32_sdwa v11, v11, v43 dst_sel:WORD_1 dst_unused:UNUSED_PAD src0_sel:DWORD src1_sel:DWORD
	v_or_b32_sdwa v10, v10, v40 dst_sel:WORD_1 dst_unused:UNUSED_PAD src0_sel:DWORD src1_sel:DWORD
	v_or_b32_sdwa v12, v12, v46 dst_sel:WORD_1 dst_unused:UNUSED_PAD src0_sel:DWORD src1_sel:DWORD
	v_or_b32_sdwa v13, v58, v57 dst_sel:WORD_1 dst_unused:UNUSED_PAD src0_sel:DWORD src1_sel:DWORD
	v_or3_b32 v97, v97, v96, v99
	v_or3_b32 v99, v113, v112, v102
	v_add_co_ci_u32_e64 v102, null, v51, v53, vcc_lo
	v_cmp_gt_i32_e32 vcc_lo, 1, v87
	v_add_co_u32 v52, s13, v52, v69
	v_or3_b32 v100, v117, v116, v103
	v_add_co_ci_u32_e64 v53, null, 0, v53, s13
	v_or3_b32 v11, v42, v41, v11
	v_or3_b32 v10, v55, v54, v10
	;; [unrolled: 1-line block ×4, first 2 shown]
	s_or_b32 s24, vcc_lo, s24
	global_store_dwordx4 v[101:102], v[97:100], off glc slc
	global_store_dwordx4 v[101:102], v[10:13], off offset:512 glc slc
	s_andn2_b32 exec_lo, exec_lo, s24
	s_cbranch_execz .LBB2_4338
.LBB2_3820:                             ;   Parent Loop BB2_3743 Depth=1
                                        ; =>  This Inner Loop Header: Depth=2
	s_cmpk_lt_i32 s25, 0x80
	s_cbranch_scc1 .LBB2_3824
; %bb.3821:                             ;   in Loop: Header=BB2_3820 Depth=2
	s_cmpk_eq_i32 s27, 0x80
	s_mov_b32 s13, -1
	s_cbranch_scc0 .LBB2_3823
; %bb.3822:                             ;   in Loop: Header=BB2_3820 Depth=2
	s_mov_b32 s13, 0
.LBB2_3823:                             ;   in Loop: Header=BB2_3820 Depth=2
	s_mov_b32 s28, 0x7f800001
	s_branch .LBB2_3826
.LBB2_3824:                             ;   in Loop: Header=BB2_3820 Depth=2
	s_mov_b32 s13, 0
	s_mov_b32 s28, 0x7f800001
	s_cbranch_execz .LBB2_3826
; %bb.3825:                             ;   in Loop: Header=BB2_3820 Depth=2
	s_cmp_lg_u32 s27, 0
	s_mov_b32 s28, 0
	s_cselect_b32 s13, -1, 0
.LBB2_3826:                             ;   in Loop: Header=BB2_3820 Depth=2
	s_andn2_b32 vcc_lo, exec_lo, s13
	s_cbranch_vccnz .LBB2_3828
; %bb.3827:                             ;   in Loop: Header=BB2_3820 Depth=2
	s_mov_b32 s28, s26
.LBB2_3828:                             ;   in Loop: Header=BB2_3820 Depth=2
	v_add_co_u32 v54, vcc_lo, v48, v52
	v_add_co_ci_u32_e64 v55, null, v49, v53, vcc_lo
	s_mov_b32 s13, 0
	global_load_dwordx4 v[10:13], v[54:55], off slc
	s_waitcnt vmcnt(0)
	v_cmp_gt_i16_sdwa s29, v10, v82 src0_sel:BYTE_0 src1_sel:DWORD
	s_and_saveexec_b32 s40, s29
	s_xor_b32 s29, exec_lo, s40
	s_cbranch_execz .LBB2_4274
; %bb.3829:                             ;   in Loop: Header=BB2_3820 Depth=2
	v_cmp_eq_u16_sdwa s41, v10, v83 src0_sel:BYTE_0 src1_sel:DWORD
	s_mov_b32 s13, -1
	s_and_saveexec_b32 s40, s41
; %bb.3830:                             ;   in Loop: Header=BB2_3820 Depth=2
	s_xor_b32 s13, exec_lo, -1
; %bb.3831:                             ;   in Loop: Header=BB2_3820 Depth=2
	s_or_b32 exec_lo, exec_lo, s40
	s_and_b32 s13, s13, exec_lo
	s_or_saveexec_b32 s29, s29
	v_mov_b32_e32 v96, 0x7f800001
	s_xor_b32 exec_lo, exec_lo, s29
	s_cbranch_execnz .LBB2_4275
.LBB2_3832:                             ;   in Loop: Header=BB2_3820 Depth=2
	s_or_b32 exec_lo, exec_lo, s29
	s_and_saveexec_b32 s29, s13
	s_cbranch_execz .LBB2_3834
.LBB2_3833:                             ;   in Loop: Header=BB2_3820 Depth=2
	v_and_b32_e32 v96, 7, v10
	v_bfe_u32 v99, v10, 3, 4
	v_lshlrev_b32_e32 v100, 24, v10
	v_ffbh_u32_e32 v97, v96
	v_cmp_eq_u32_e32 vcc_lo, 0, v99
	v_min_u32_e32 v97, 32, v97
	v_subrev_nc_u32_e32 v98, 28, v97
	v_sub_nc_u32_e32 v97, 29, v97
	v_lshlrev_b32_e32 v98, v98, v10
	v_cndmask_b32_e32 v97, v99, v97, vcc_lo
	v_and_b32_e32 v98, 7, v98
	v_lshl_add_u32 v97, v97, 23, 0x3b800000
	v_cndmask_b32_e32 v96, v96, v98, vcc_lo
	v_and_b32_e32 v98, 0x80000000, v100
	v_lshlrev_b32_e32 v96, 20, v96
	v_or3_b32 v96, v98, v97, v96
.LBB2_3834:                             ;   in Loop: Header=BB2_3820 Depth=2
	s_or_b32 exec_lo, exec_lo, s29
	v_mul_f32_e32 v97, s28, v96
	v_and_b32_e32 v96, 0x7f800000, v97
	v_cmp_ne_u32_e32 vcc_lo, 0x7f800000, v96
	v_mov_b32_e32 v96, 0x80
	s_and_saveexec_b32 s29, vcc_lo
	s_cbranch_execz .LBB2_3842
; %bb.3835:                             ;   in Loop: Header=BB2_3820 Depth=2
	v_mov_b32_e32 v96, 0
	s_mov_b32 s40, exec_lo
	v_cmpx_ne_u32_e32 0, v97
	s_cbranch_execz .LBB2_3841
; %bb.3836:                             ;   in Loop: Header=BB2_3820 Depth=2
	v_bfe_u32 v96, v97, 23, 8
	v_and_b32_e32 v98, 0x7fffff, v97
	v_sub_nc_u32_e32 v99, 0x78, v96
	v_cmp_gt_u32_e32 vcc_lo, 0x79, v96
	v_or_b32_e32 v100, 0x800000, v98
	v_cndmask_b32_e32 v99, 0, v99, vcc_lo
	v_cmp_eq_u32_e32 vcc_lo, 0, v96
	v_add_nc_u32_e32 v96, 0xffffff89, v96
	v_cndmask_b32_e64 v99, v99, 0x77, vcc_lo
	v_cndmask_b32_e32 v98, v100, v98, vcc_lo
	v_cndmask_b32_e64 v96, v96, 0xffffff8a, vcc_lo
	v_lshl_add_u32 v100, 0x100000, v99, -1
	v_lshrrev_b32_e32 v101, v99, v98
	v_lshlrev_b32_e64 v103, v99, 0x80000
	v_add_nc_u32_e32 v99, v99, v96
	v_and_b32_e32 v98, v100, v98
	v_bfe_u32 v102, v101, 20, 1
	v_cmp_eq_u32_e64 s13, v98, v103
	v_add_nc_u32_e32 v100, -1, v102
	v_cndmask_b32_e64 v98, 0, v100, s13
	v_lshrrev_b32_e32 v100, 23, v101
	s_mov_b32 s13, exec_lo
	v_add_nc_u32_e32 v98, v98, v101
	v_xor_b32_e32 v100, 1, v100
	v_and_b32_e32 v96, 0xfffff, v98
	v_add_nc_u32_e32 v98, v96, v101
                                        ; implicit-def: $vgpr96
	v_cmpx_ne_u32_e64 v99, v100
	s_xor_b32 s13, exec_lo, s13
; %bb.3837:                             ;   in Loop: Header=BB2_3820 Depth=2
	v_cmp_lt_u32_e32 vcc_lo, 0xffffff, v98
	v_sub_nc_u32_e32 v96, v99, v100
	v_cndmask_b32_e64 v99, 0, 1, vcc_lo
	v_add_co_ci_u32_e64 v96, null, 0, v96, vcc_lo
	v_lshrrev_b32_e32 v98, v99, v98
; %bb.3838:                             ;   in Loop: Header=BB2_3820 Depth=2
	s_andn2_saveexec_b32 s13, s13
; %bb.3839:                             ;   in Loop: Header=BB2_3820 Depth=2
	v_bfe_u32 v96, v98, 23, 1
; %bb.3840:                             ;   in Loop: Header=BB2_3820 Depth=2
	s_or_b32 exec_lo, exec_lo, s13
	v_lshrrev_b32_e32 v98, 20, v98
	v_min_i32_e32 v99, 15, v96
	v_cmp_gt_i32_e32 vcc_lo, 16, v96
	v_and_b32_sdwa v97, v97, v83 dst_sel:DWORD dst_unused:UNUSED_PAD src0_sel:BYTE_3 src1_sel:DWORD
	v_lshlrev_b32_e32 v99, 3, v99
	v_cndmask_b32_e32 v98, 7, v98, vcc_lo
	v_and_b32_e32 v99, 0xf8, v99
	v_and_b32_e32 v100, 7, v98
	v_or_b32_e32 v96, v96, v98
	v_or3_b32 v97, v99, v97, v100
	v_cmp_ne_u32_e32 vcc_lo, 0, v96
	v_cndmask_b32_e32 v96, 0, v97, vcc_lo
.LBB2_3841:                             ;   in Loop: Header=BB2_3820 Depth=2
	s_or_b32 exec_lo, exec_lo, s40
.LBB2_3842:                             ;   in Loop: Header=BB2_3820 Depth=2
	s_or_b32 exec_lo, exec_lo, s29
	v_cmp_gt_i16_sdwa s29, v10, v82 src0_sel:BYTE_1 src1_sel:DWORD
	s_mov_b32 s13, 0
	s_and_saveexec_b32 s40, s29
	s_xor_b32 s29, exec_lo, s40
	s_cbranch_execz .LBB2_4276
; %bb.3843:                             ;   in Loop: Header=BB2_3820 Depth=2
	v_cmp_eq_u16_sdwa s41, v10, v83 src0_sel:BYTE_1 src1_sel:DWORD
	s_mov_b32 s13, -1
	s_and_saveexec_b32 s40, s41
; %bb.3844:                             ;   in Loop: Header=BB2_3820 Depth=2
	s_xor_b32 s13, exec_lo, -1
; %bb.3845:                             ;   in Loop: Header=BB2_3820 Depth=2
	s_or_b32 exec_lo, exec_lo, s40
	s_and_b32 s13, s13, exec_lo
	s_or_saveexec_b32 s29, s29
	v_mov_b32_e32 v97, 0x7f800001
	s_xor_b32 exec_lo, exec_lo, s29
	s_cbranch_execnz .LBB2_4277
.LBB2_3846:                             ;   in Loop: Header=BB2_3820 Depth=2
	s_or_b32 exec_lo, exec_lo, s29
	s_and_saveexec_b32 s29, s13
	s_cbranch_execz .LBB2_3848
.LBB2_3847:                             ;   in Loop: Header=BB2_3820 Depth=2
	v_and_b32_sdwa v97, v84, v10 dst_sel:DWORD dst_unused:UNUSED_PAD src0_sel:DWORD src1_sel:BYTE_1
	v_and_b32_e32 v98, 7, v97
	v_bfe_u32 v101, v97, 3, 4
	v_ffbh_u32_e32 v99, v98
	v_cmp_eq_u32_e32 vcc_lo, 0, v101
	v_min_u32_e32 v99, 32, v99
	v_subrev_nc_u32_e32 v100, 28, v99
	v_sub_nc_u32_e32 v99, 29, v99
	v_lshlrev_b32_e32 v97, v100, v97
	v_lshlrev_b32_sdwa v100, v85, v10 dst_sel:DWORD dst_unused:UNUSED_PAD src0_sel:DWORD src1_sel:BYTE_1
	v_cndmask_b32_e32 v99, v101, v99, vcc_lo
	v_and_b32_e32 v97, 7, v97
	v_lshl_add_u32 v99, v99, 23, 0x3b800000
	v_cndmask_b32_e32 v97, v98, v97, vcc_lo
	v_and_b32_e32 v98, 0x80000000, v100
	v_lshlrev_b32_e32 v97, 20, v97
	v_or3_b32 v97, v98, v99, v97
.LBB2_3848:                             ;   in Loop: Header=BB2_3820 Depth=2
	s_or_b32 exec_lo, exec_lo, s29
	v_mul_f32_e32 v98, s28, v97
	v_and_b32_e32 v97, 0x7f800000, v98
	v_cmp_ne_u32_e32 vcc_lo, 0x7f800000, v97
	v_mov_b32_e32 v97, 0x8000
	s_and_saveexec_b32 s29, vcc_lo
	s_cbranch_execz .LBB2_3856
; %bb.3849:                             ;   in Loop: Header=BB2_3820 Depth=2
	v_mov_b32_e32 v97, 0
	s_mov_b32 s40, exec_lo
	v_cmpx_ne_u32_e32 0, v98
	s_cbranch_execz .LBB2_3855
; %bb.3850:                             ;   in Loop: Header=BB2_3820 Depth=2
	v_bfe_u32 v97, v98, 23, 8
	v_and_b32_e32 v99, 0x7fffff, v98
	v_sub_nc_u32_e32 v100, 0x78, v97
	v_cmp_gt_u32_e32 vcc_lo, 0x79, v97
	v_or_b32_e32 v101, 0x800000, v99
	v_cndmask_b32_e32 v100, 0, v100, vcc_lo
	v_cmp_eq_u32_e32 vcc_lo, 0, v97
	v_add_nc_u32_e32 v97, 0xffffff89, v97
	v_cndmask_b32_e64 v100, v100, 0x77, vcc_lo
	v_cndmask_b32_e32 v99, v101, v99, vcc_lo
	v_cndmask_b32_e64 v97, v97, 0xffffff8a, vcc_lo
	v_lshl_add_u32 v101, 0x100000, v100, -1
	v_lshrrev_b32_e32 v102, v100, v99
	v_lshlrev_b32_e64 v112, v100, 0x80000
	v_add_nc_u32_e32 v100, v100, v97
	v_and_b32_e32 v99, v101, v99
	v_bfe_u32 v103, v102, 20, 1
	v_cmp_eq_u32_e64 s13, v99, v112
	v_add_nc_u32_e32 v101, -1, v103
	v_cndmask_b32_e64 v99, 0, v101, s13
	v_lshrrev_b32_e32 v101, 23, v102
	s_mov_b32 s13, exec_lo
	v_add_nc_u32_e32 v99, v99, v102
	v_xor_b32_e32 v101, 1, v101
	v_and_b32_e32 v97, 0xfffff, v99
	v_add_nc_u32_e32 v99, v97, v102
                                        ; implicit-def: $vgpr97
	v_cmpx_ne_u32_e64 v100, v101
	s_xor_b32 s13, exec_lo, s13
; %bb.3851:                             ;   in Loop: Header=BB2_3820 Depth=2
	v_cmp_lt_u32_e32 vcc_lo, 0xffffff, v99
	v_sub_nc_u32_e32 v97, v100, v101
	v_cndmask_b32_e64 v100, 0, 1, vcc_lo
	v_add_co_ci_u32_e64 v97, null, 0, v97, vcc_lo
	v_lshrrev_b32_e32 v99, v100, v99
; %bb.3852:                             ;   in Loop: Header=BB2_3820 Depth=2
	s_andn2_saveexec_b32 s13, s13
; %bb.3853:                             ;   in Loop: Header=BB2_3820 Depth=2
	v_bfe_u32 v97, v99, 23, 1
; %bb.3854:                             ;   in Loop: Header=BB2_3820 Depth=2
	s_or_b32 exec_lo, exec_lo, s13
	v_lshrrev_b32_e32 v99, 20, v99
	v_min_i32_e32 v100, 15, v97
	v_cmp_gt_i32_e32 vcc_lo, 16, v97
	v_and_b32_sdwa v98, v98, v83 dst_sel:DWORD dst_unused:UNUSED_PAD src0_sel:BYTE_3 src1_sel:DWORD
	v_lshlrev_b32_e32 v100, 3, v100
	v_cndmask_b32_e32 v99, 7, v99, vcc_lo
	v_and_b32_e32 v100, 0xf8, v100
	v_and_b32_e32 v101, 7, v99
	v_or_b32_e32 v97, v97, v99
	v_or3_b32 v98, v98, v100, v101
	v_cmp_ne_u32_e32 vcc_lo, 0, v97
	v_lshlrev_b32_e32 v98, 8, v98
	v_cndmask_b32_e32 v97, 0, v98, vcc_lo
.LBB2_3855:                             ;   in Loop: Header=BB2_3820 Depth=2
	s_or_b32 exec_lo, exec_lo, s40
.LBB2_3856:                             ;   in Loop: Header=BB2_3820 Depth=2
	s_or_b32 exec_lo, exec_lo, s29
	v_and_b32_sdwa v99, v10, v86 dst_sel:DWORD dst_unused:UNUSED_PAD src0_sel:WORD_1 src1_sel:DWORD
	s_mov_b32 s13, 0
	s_mov_b32 s29, exec_lo
	v_cmpx_lt_i16_e32 0x7f, v99
	s_xor_b32 s29, exec_lo, s29
	s_cbranch_execz .LBB2_4278
; %bb.3857:                             ;   in Loop: Header=BB2_3820 Depth=2
	s_mov_b32 s13, -1
	s_mov_b32 s40, exec_lo
	v_cmpx_eq_u16_e32 0x80, v99
; %bb.3858:                             ;   in Loop: Header=BB2_3820 Depth=2
	s_xor_b32 s13, exec_lo, -1
; %bb.3859:                             ;   in Loop: Header=BB2_3820 Depth=2
	s_or_b32 exec_lo, exec_lo, s40
	s_and_b32 s13, s13, exec_lo
                                        ; implicit-def: $vgpr99
	s_or_saveexec_b32 s29, s29
	v_mov_b32_e32 v98, 0x7f800001
	s_xor_b32 exec_lo, exec_lo, s29
	s_cbranch_execnz .LBB2_4279
.LBB2_3860:                             ;   in Loop: Header=BB2_3820 Depth=2
	s_or_b32 exec_lo, exec_lo, s29
	s_and_saveexec_b32 s29, s13
	s_cbranch_execz .LBB2_3862
.LBB2_3861:                             ;   in Loop: Header=BB2_3820 Depth=2
	v_bfe_u32 v98, v10, 16, 3
	v_bfe_u32 v101, v10, 19, 4
	v_lshlrev_b32_e32 v102, 8, v10
	v_ffbh_u32_e32 v99, v98
	v_cmp_eq_u32_e32 vcc_lo, 0, v101
	v_min_u32_e32 v99, 32, v99
	v_subrev_nc_u32_e32 v100, 28, v99
	v_sub_nc_u32_e32 v99, 29, v99
	v_lshlrev_b32_sdwa v100, v100, v10 dst_sel:DWORD dst_unused:UNUSED_PAD src0_sel:DWORD src1_sel:WORD_1
	v_cndmask_b32_e32 v99, v101, v99, vcc_lo
	v_and_b32_e32 v100, 7, v100
	v_lshl_add_u32 v99, v99, 23, 0x3b800000
	v_cndmask_b32_e32 v98, v98, v100, vcc_lo
	v_and_b32_e32 v100, 0x80000000, v102
	v_lshlrev_b32_e32 v98, 20, v98
	v_or3_b32 v98, v100, v99, v98
.LBB2_3862:                             ;   in Loop: Header=BB2_3820 Depth=2
	s_or_b32 exec_lo, exec_lo, s29
	v_mul_f32_e32 v99, s28, v98
	v_and_b32_e32 v98, 0x7f800000, v99
	v_cmp_ne_u32_e32 vcc_lo, 0x7f800000, v98
	v_mov_b32_e32 v98, 0x80
	s_and_saveexec_b32 s29, vcc_lo
	s_cbranch_execz .LBB2_3870
; %bb.3863:                             ;   in Loop: Header=BB2_3820 Depth=2
	v_mov_b32_e32 v98, 0
	s_mov_b32 s40, exec_lo
	v_cmpx_ne_u32_e32 0, v99
	s_cbranch_execz .LBB2_3869
; %bb.3864:                             ;   in Loop: Header=BB2_3820 Depth=2
	v_bfe_u32 v98, v99, 23, 8
	v_and_b32_e32 v100, 0x7fffff, v99
	v_sub_nc_u32_e32 v101, 0x78, v98
	v_cmp_gt_u32_e32 vcc_lo, 0x79, v98
	v_or_b32_e32 v102, 0x800000, v100
	v_cndmask_b32_e32 v101, 0, v101, vcc_lo
	v_cmp_eq_u32_e32 vcc_lo, 0, v98
	v_add_nc_u32_e32 v98, 0xffffff89, v98
	v_cndmask_b32_e64 v101, v101, 0x77, vcc_lo
	v_cndmask_b32_e32 v100, v102, v100, vcc_lo
	v_cndmask_b32_e64 v98, v98, 0xffffff8a, vcc_lo
	v_lshl_add_u32 v102, 0x100000, v101, -1
	v_lshrrev_b32_e32 v103, v101, v100
	v_lshlrev_b32_e64 v113, v101, 0x80000
	v_add_nc_u32_e32 v101, v101, v98
	v_and_b32_e32 v100, v102, v100
	v_bfe_u32 v112, v103, 20, 1
	v_cmp_eq_u32_e64 s13, v100, v113
	v_add_nc_u32_e32 v102, -1, v112
	v_cndmask_b32_e64 v100, 0, v102, s13
	v_lshrrev_b32_e32 v102, 23, v103
	s_mov_b32 s13, exec_lo
	v_add_nc_u32_e32 v100, v100, v103
	v_xor_b32_e32 v102, 1, v102
	v_and_b32_e32 v98, 0xfffff, v100
	v_add_nc_u32_e32 v100, v98, v103
                                        ; implicit-def: $vgpr98
	v_cmpx_ne_u32_e64 v101, v102
	s_xor_b32 s13, exec_lo, s13
; %bb.3865:                             ;   in Loop: Header=BB2_3820 Depth=2
	v_cmp_lt_u32_e32 vcc_lo, 0xffffff, v100
	v_sub_nc_u32_e32 v98, v101, v102
	v_cndmask_b32_e64 v101, 0, 1, vcc_lo
	v_add_co_ci_u32_e64 v98, null, 0, v98, vcc_lo
	v_lshrrev_b32_e32 v100, v101, v100
; %bb.3866:                             ;   in Loop: Header=BB2_3820 Depth=2
	s_andn2_saveexec_b32 s13, s13
; %bb.3867:                             ;   in Loop: Header=BB2_3820 Depth=2
	v_bfe_u32 v98, v100, 23, 1
; %bb.3868:                             ;   in Loop: Header=BB2_3820 Depth=2
	s_or_b32 exec_lo, exec_lo, s13
	v_lshrrev_b32_e32 v100, 20, v100
	v_min_i32_e32 v101, 15, v98
	v_cmp_gt_i32_e32 vcc_lo, 16, v98
	v_and_b32_sdwa v99, v99, v83 dst_sel:DWORD dst_unused:UNUSED_PAD src0_sel:BYTE_3 src1_sel:DWORD
	v_lshlrev_b32_e32 v101, 3, v101
	v_cndmask_b32_e32 v100, 7, v100, vcc_lo
	v_and_b32_e32 v101, 0xf8, v101
	v_and_b32_e32 v102, 7, v100
	v_or_b32_e32 v98, v98, v100
	v_or3_b32 v99, v101, v99, v102
	v_cmp_ne_u32_e32 vcc_lo, 0, v98
	v_cndmask_b32_e32 v98, 0, v99, vcc_lo
.LBB2_3869:                             ;   in Loop: Header=BB2_3820 Depth=2
	s_or_b32 exec_lo, exec_lo, s40
.LBB2_3870:                             ;   in Loop: Header=BB2_3820 Depth=2
	s_or_b32 exec_lo, exec_lo, s29
	v_cmp_gt_i16_sdwa s29, v10, v82 src0_sel:BYTE_3 src1_sel:DWORD
	s_mov_b32 s13, 0
	s_and_saveexec_b32 s40, s29
	s_xor_b32 s29, exec_lo, s40
	s_cbranch_execz .LBB2_4280
; %bb.3871:                             ;   in Loop: Header=BB2_3820 Depth=2
	v_cmp_eq_u16_sdwa s41, v10, v83 src0_sel:BYTE_3 src1_sel:DWORD
	s_mov_b32 s13, -1
	s_and_saveexec_b32 s40, s41
; %bb.3872:                             ;   in Loop: Header=BB2_3820 Depth=2
	s_xor_b32 s13, exec_lo, -1
; %bb.3873:                             ;   in Loop: Header=BB2_3820 Depth=2
	s_or_b32 exec_lo, exec_lo, s40
	s_and_b32 s13, s13, exec_lo
	s_or_saveexec_b32 s29, s29
	v_mov_b32_e32 v99, 0x7f800001
	s_xor_b32 exec_lo, exec_lo, s29
	s_cbranch_execnz .LBB2_4281
.LBB2_3874:                             ;   in Loop: Header=BB2_3820 Depth=2
	s_or_b32 exec_lo, exec_lo, s29
	s_and_saveexec_b32 s29, s13
	s_cbranch_execz .LBB2_3876
.LBB2_3875:                             ;   in Loop: Header=BB2_3820 Depth=2
	v_bfe_u32 v99, v10, 24, 3
	v_bfe_u32 v102, v10, 27, 4
	v_ffbh_u32_e32 v100, v99
	v_cmp_eq_u32_e32 vcc_lo, 0, v102
	v_min_u32_e32 v100, 32, v100
	v_subrev_nc_u32_e32 v101, 28, v100
	v_sub_nc_u32_e32 v100, 29, v100
	v_lshlrev_b32_sdwa v101, v101, v10 dst_sel:DWORD dst_unused:UNUSED_PAD src0_sel:DWORD src1_sel:BYTE_3
	v_cndmask_b32_e32 v100, v102, v100, vcc_lo
	v_and_b32_e32 v10, 0x80000000, v10
	v_and_b32_e32 v101, 7, v101
	v_lshl_add_u32 v100, v100, 23, 0x3b800000
	v_cndmask_b32_e32 v99, v99, v101, vcc_lo
	v_lshlrev_b32_e32 v99, 20, v99
	v_or3_b32 v99, v10, v100, v99
.LBB2_3876:                             ;   in Loop: Header=BB2_3820 Depth=2
	s_or_b32 exec_lo, exec_lo, s29
	v_mul_f32_e32 v10, s28, v99
	v_and_b32_e32 v99, 0x7f800000, v10
	v_cmp_ne_u32_e32 vcc_lo, 0x7f800000, v99
	v_mov_b32_e32 v99, 0x8000
	s_and_saveexec_b32 s29, vcc_lo
	s_cbranch_execz .LBB2_3884
; %bb.3877:                             ;   in Loop: Header=BB2_3820 Depth=2
	v_mov_b32_e32 v99, 0
	s_mov_b32 s40, exec_lo
	v_cmpx_ne_u32_e32 0, v10
	s_cbranch_execz .LBB2_3883
; %bb.3878:                             ;   in Loop: Header=BB2_3820 Depth=2
	v_bfe_u32 v99, v10, 23, 8
	v_and_b32_e32 v100, 0x7fffff, v10
	v_sub_nc_u32_e32 v101, 0x78, v99
	v_cmp_gt_u32_e32 vcc_lo, 0x79, v99
	v_or_b32_e32 v102, 0x800000, v100
	v_cndmask_b32_e32 v101, 0, v101, vcc_lo
	v_cmp_eq_u32_e32 vcc_lo, 0, v99
	v_add_nc_u32_e32 v99, 0xffffff89, v99
	v_cndmask_b32_e64 v101, v101, 0x77, vcc_lo
	v_cndmask_b32_e32 v100, v102, v100, vcc_lo
	v_cndmask_b32_e64 v99, v99, 0xffffff8a, vcc_lo
	v_lshl_add_u32 v102, 0x100000, v101, -1
	v_lshrrev_b32_e32 v103, v101, v100
	v_lshlrev_b32_e64 v113, v101, 0x80000
	v_add_nc_u32_e32 v101, v101, v99
	v_and_b32_e32 v100, v102, v100
	v_bfe_u32 v112, v103, 20, 1
	v_cmp_eq_u32_e64 s13, v100, v113
	v_add_nc_u32_e32 v102, -1, v112
	v_cndmask_b32_e64 v100, 0, v102, s13
	v_lshrrev_b32_e32 v102, 23, v103
	s_mov_b32 s13, exec_lo
	v_add_nc_u32_e32 v100, v100, v103
	v_xor_b32_e32 v102, 1, v102
	v_and_b32_e32 v99, 0xfffff, v100
	v_add_nc_u32_e32 v100, v99, v103
                                        ; implicit-def: $vgpr99
	v_cmpx_ne_u32_e64 v101, v102
	s_xor_b32 s13, exec_lo, s13
; %bb.3879:                             ;   in Loop: Header=BB2_3820 Depth=2
	v_cmp_lt_u32_e32 vcc_lo, 0xffffff, v100
	v_sub_nc_u32_e32 v99, v101, v102
	v_cndmask_b32_e64 v101, 0, 1, vcc_lo
	v_add_co_ci_u32_e64 v99, null, 0, v99, vcc_lo
	v_lshrrev_b32_e32 v100, v101, v100
; %bb.3880:                             ;   in Loop: Header=BB2_3820 Depth=2
	s_andn2_saveexec_b32 s13, s13
; %bb.3881:                             ;   in Loop: Header=BB2_3820 Depth=2
	v_bfe_u32 v99, v100, 23, 1
; %bb.3882:                             ;   in Loop: Header=BB2_3820 Depth=2
	s_or_b32 exec_lo, exec_lo, s13
	v_lshrrev_b32_e32 v100, 20, v100
	v_min_i32_e32 v101, 15, v99
	v_cmp_gt_i32_e32 vcc_lo, 16, v99
	v_and_b32_sdwa v10, v10, v83 dst_sel:DWORD dst_unused:UNUSED_PAD src0_sel:BYTE_3 src1_sel:DWORD
	v_lshlrev_b32_e32 v101, 3, v101
	v_cndmask_b32_e32 v100, 7, v100, vcc_lo
	v_and_b32_e32 v101, 0xf8, v101
	v_and_b32_e32 v102, 7, v100
	v_or_b32_e32 v99, v99, v100
	v_or3_b32 v10, v10, v101, v102
	v_cmp_ne_u32_e32 vcc_lo, 0, v99
	v_lshlrev_b32_e32 v10, 8, v10
	v_cndmask_b32_e32 v99, 0, v10, vcc_lo
.LBB2_3883:                             ;   in Loop: Header=BB2_3820 Depth=2
	s_or_b32 exec_lo, exec_lo, s40
.LBB2_3884:                             ;   in Loop: Header=BB2_3820 Depth=2
	s_or_b32 exec_lo, exec_lo, s29
	v_cmp_gt_i16_sdwa s29, v11, v82 src0_sel:BYTE_0 src1_sel:DWORD
	s_mov_b32 s13, 0
	s_and_saveexec_b32 s40, s29
	s_xor_b32 s29, exec_lo, s40
	s_cbranch_execz .LBB2_4282
; %bb.3885:                             ;   in Loop: Header=BB2_3820 Depth=2
	v_cmp_eq_u16_sdwa s41, v11, v83 src0_sel:BYTE_0 src1_sel:DWORD
	s_mov_b32 s13, -1
	s_and_saveexec_b32 s40, s41
; %bb.3886:                             ;   in Loop: Header=BB2_3820 Depth=2
	s_xor_b32 s13, exec_lo, -1
; %bb.3887:                             ;   in Loop: Header=BB2_3820 Depth=2
	s_or_b32 exec_lo, exec_lo, s40
	s_and_b32 s13, s13, exec_lo
	s_or_saveexec_b32 s29, s29
	v_mov_b32_e32 v10, 0x7f800001
	s_xor_b32 exec_lo, exec_lo, s29
	s_cbranch_execnz .LBB2_4283
.LBB2_3888:                             ;   in Loop: Header=BB2_3820 Depth=2
	s_or_b32 exec_lo, exec_lo, s29
	s_and_saveexec_b32 s29, s13
	s_cbranch_execz .LBB2_3890
.LBB2_3889:                             ;   in Loop: Header=BB2_3820 Depth=2
	v_and_b32_e32 v10, 7, v11
	v_bfe_u32 v102, v11, 3, 4
	v_lshlrev_b32_e32 v103, 24, v11
	v_ffbh_u32_e32 v100, v10
	v_cmp_eq_u32_e32 vcc_lo, 0, v102
	v_min_u32_e32 v100, 32, v100
	v_subrev_nc_u32_e32 v101, 28, v100
	v_sub_nc_u32_e32 v100, 29, v100
	v_lshlrev_b32_e32 v101, v101, v11
	v_cndmask_b32_e32 v100, v102, v100, vcc_lo
	v_and_b32_e32 v101, 7, v101
	v_lshl_add_u32 v100, v100, 23, 0x3b800000
	v_cndmask_b32_e32 v10, v10, v101, vcc_lo
	v_and_b32_e32 v101, 0x80000000, v103
	v_lshlrev_b32_e32 v10, 20, v10
	v_or3_b32 v10, v101, v100, v10
.LBB2_3890:                             ;   in Loop: Header=BB2_3820 Depth=2
	s_or_b32 exec_lo, exec_lo, s29
	v_mul_f32_e32 v10, s28, v10
	v_and_b32_e32 v100, 0x7f800000, v10
	v_cmp_ne_u32_e32 vcc_lo, 0x7f800000, v100
	v_mov_b32_e32 v100, 0x80
	s_and_saveexec_b32 s29, vcc_lo
	s_cbranch_execz .LBB2_3898
; %bb.3891:                             ;   in Loop: Header=BB2_3820 Depth=2
	v_mov_b32_e32 v100, 0
	s_mov_b32 s40, exec_lo
	v_cmpx_ne_u32_e32 0, v10
	s_cbranch_execz .LBB2_3897
; %bb.3892:                             ;   in Loop: Header=BB2_3820 Depth=2
	v_bfe_u32 v100, v10, 23, 8
	v_and_b32_e32 v101, 0x7fffff, v10
	v_sub_nc_u32_e32 v102, 0x78, v100
	v_cmp_gt_u32_e32 vcc_lo, 0x79, v100
	v_or_b32_e32 v103, 0x800000, v101
	v_cndmask_b32_e32 v102, 0, v102, vcc_lo
	v_cmp_eq_u32_e32 vcc_lo, 0, v100
	v_add_nc_u32_e32 v100, 0xffffff89, v100
	v_cndmask_b32_e64 v102, v102, 0x77, vcc_lo
	v_cndmask_b32_e32 v101, v103, v101, vcc_lo
	v_cndmask_b32_e64 v100, v100, 0xffffff8a, vcc_lo
	v_lshl_add_u32 v103, 0x100000, v102, -1
	v_lshrrev_b32_e32 v112, v102, v101
	v_lshlrev_b32_e64 v114, v102, 0x80000
	v_add_nc_u32_e32 v102, v102, v100
	v_and_b32_e32 v101, v103, v101
	v_bfe_u32 v113, v112, 20, 1
	v_cmp_eq_u32_e64 s13, v101, v114
	v_add_nc_u32_e32 v103, -1, v113
	v_cndmask_b32_e64 v101, 0, v103, s13
	v_lshrrev_b32_e32 v103, 23, v112
	s_mov_b32 s13, exec_lo
	v_add_nc_u32_e32 v101, v101, v112
	v_xor_b32_e32 v103, 1, v103
	v_and_b32_e32 v100, 0xfffff, v101
	v_add_nc_u32_e32 v101, v100, v112
                                        ; implicit-def: $vgpr100
	v_cmpx_ne_u32_e64 v102, v103
	s_xor_b32 s13, exec_lo, s13
; %bb.3893:                             ;   in Loop: Header=BB2_3820 Depth=2
	v_cmp_lt_u32_e32 vcc_lo, 0xffffff, v101
	v_sub_nc_u32_e32 v100, v102, v103
	v_cndmask_b32_e64 v102, 0, 1, vcc_lo
	v_add_co_ci_u32_e64 v100, null, 0, v100, vcc_lo
	v_lshrrev_b32_e32 v101, v102, v101
; %bb.3894:                             ;   in Loop: Header=BB2_3820 Depth=2
	s_andn2_saveexec_b32 s13, s13
; %bb.3895:                             ;   in Loop: Header=BB2_3820 Depth=2
	v_bfe_u32 v100, v101, 23, 1
; %bb.3896:                             ;   in Loop: Header=BB2_3820 Depth=2
	s_or_b32 exec_lo, exec_lo, s13
	v_lshrrev_b32_e32 v101, 20, v101
	v_min_i32_e32 v102, 15, v100
	v_cmp_gt_i32_e32 vcc_lo, 16, v100
	v_and_b32_sdwa v10, v10, v83 dst_sel:DWORD dst_unused:UNUSED_PAD src0_sel:BYTE_3 src1_sel:DWORD
	v_lshlrev_b32_e32 v102, 3, v102
	v_cndmask_b32_e32 v101, 7, v101, vcc_lo
	v_and_b32_e32 v102, 0xf8, v102
	v_and_b32_e32 v103, 7, v101
	v_or_b32_e32 v100, v100, v101
	v_or3_b32 v10, v102, v10, v103
	v_cmp_ne_u32_e32 vcc_lo, 0, v100
	v_cndmask_b32_e32 v100, 0, v10, vcc_lo
.LBB2_3897:                             ;   in Loop: Header=BB2_3820 Depth=2
	s_or_b32 exec_lo, exec_lo, s40
.LBB2_3898:                             ;   in Loop: Header=BB2_3820 Depth=2
	s_or_b32 exec_lo, exec_lo, s29
	v_cmp_gt_i16_sdwa s29, v11, v82 src0_sel:BYTE_1 src1_sel:DWORD
	s_mov_b32 s13, 0
	s_and_saveexec_b32 s40, s29
	s_xor_b32 s29, exec_lo, s40
	s_cbranch_execz .LBB2_4284
; %bb.3899:                             ;   in Loop: Header=BB2_3820 Depth=2
	v_cmp_eq_u16_sdwa s41, v11, v83 src0_sel:BYTE_1 src1_sel:DWORD
	s_mov_b32 s13, -1
	s_and_saveexec_b32 s40, s41
; %bb.3900:                             ;   in Loop: Header=BB2_3820 Depth=2
	s_xor_b32 s13, exec_lo, -1
; %bb.3901:                             ;   in Loop: Header=BB2_3820 Depth=2
	s_or_b32 exec_lo, exec_lo, s40
	s_and_b32 s13, s13, exec_lo
	s_or_saveexec_b32 s29, s29
	v_mov_b32_e32 v10, 0x7f800001
	s_xor_b32 exec_lo, exec_lo, s29
	s_cbranch_execnz .LBB2_4285
.LBB2_3902:                             ;   in Loop: Header=BB2_3820 Depth=2
	s_or_b32 exec_lo, exec_lo, s29
	s_and_saveexec_b32 s29, s13
	s_cbranch_execz .LBB2_3904
.LBB2_3903:                             ;   in Loop: Header=BB2_3820 Depth=2
	v_and_b32_sdwa v10, v84, v11 dst_sel:DWORD dst_unused:UNUSED_PAD src0_sel:DWORD src1_sel:BYTE_1
	v_and_b32_e32 v101, 7, v10
	v_bfe_u32 v112, v10, 3, 4
	v_ffbh_u32_e32 v102, v101
	v_cmp_eq_u32_e32 vcc_lo, 0, v112
	v_min_u32_e32 v102, 32, v102
	v_subrev_nc_u32_e32 v103, 28, v102
	v_sub_nc_u32_e32 v102, 29, v102
	v_lshlrev_b32_e32 v10, v103, v10
	v_lshlrev_b32_sdwa v103, v85, v11 dst_sel:DWORD dst_unused:UNUSED_PAD src0_sel:DWORD src1_sel:BYTE_1
	v_cndmask_b32_e32 v102, v112, v102, vcc_lo
	v_and_b32_e32 v10, 7, v10
	v_lshl_add_u32 v102, v102, 23, 0x3b800000
	v_cndmask_b32_e32 v10, v101, v10, vcc_lo
	v_and_b32_e32 v101, 0x80000000, v103
	v_lshlrev_b32_e32 v10, 20, v10
	v_or3_b32 v10, v101, v102, v10
.LBB2_3904:                             ;   in Loop: Header=BB2_3820 Depth=2
	s_or_b32 exec_lo, exec_lo, s29
	v_mul_f32_e32 v10, s28, v10
	v_and_b32_e32 v101, 0x7f800000, v10
	v_cmp_ne_u32_e32 vcc_lo, 0x7f800000, v101
	v_mov_b32_e32 v101, 0x8000
	s_and_saveexec_b32 s29, vcc_lo
	s_cbranch_execz .LBB2_3912
; %bb.3905:                             ;   in Loop: Header=BB2_3820 Depth=2
	v_mov_b32_e32 v101, 0
	s_mov_b32 s40, exec_lo
	v_cmpx_ne_u32_e32 0, v10
	s_cbranch_execz .LBB2_3911
; %bb.3906:                             ;   in Loop: Header=BB2_3820 Depth=2
	v_bfe_u32 v101, v10, 23, 8
	v_and_b32_e32 v102, 0x7fffff, v10
	v_sub_nc_u32_e32 v103, 0x78, v101
	v_cmp_gt_u32_e32 vcc_lo, 0x79, v101
	v_or_b32_e32 v112, 0x800000, v102
	v_cndmask_b32_e32 v103, 0, v103, vcc_lo
	v_cmp_eq_u32_e32 vcc_lo, 0, v101
	v_add_nc_u32_e32 v101, 0xffffff89, v101
	v_cndmask_b32_e64 v103, v103, 0x77, vcc_lo
	v_cndmask_b32_e32 v102, v112, v102, vcc_lo
	v_cndmask_b32_e64 v101, v101, 0xffffff8a, vcc_lo
	v_lshl_add_u32 v112, 0x100000, v103, -1
	v_lshrrev_b32_e32 v113, v103, v102
	v_lshlrev_b32_e64 v115, v103, 0x80000
	v_add_nc_u32_e32 v103, v103, v101
	v_and_b32_e32 v102, v112, v102
	v_bfe_u32 v114, v113, 20, 1
	v_cmp_eq_u32_e64 s13, v102, v115
	v_add_nc_u32_e32 v112, -1, v114
	v_cndmask_b32_e64 v102, 0, v112, s13
	v_lshrrev_b32_e32 v112, 23, v113
	s_mov_b32 s13, exec_lo
	v_add_nc_u32_e32 v102, v102, v113
	v_xor_b32_e32 v112, 1, v112
	v_and_b32_e32 v101, 0xfffff, v102
	v_add_nc_u32_e32 v102, v101, v113
                                        ; implicit-def: $vgpr101
	v_cmpx_ne_u32_e64 v103, v112
	s_xor_b32 s13, exec_lo, s13
; %bb.3907:                             ;   in Loop: Header=BB2_3820 Depth=2
	v_cmp_lt_u32_e32 vcc_lo, 0xffffff, v102
	v_sub_nc_u32_e32 v101, v103, v112
	v_cndmask_b32_e64 v103, 0, 1, vcc_lo
	v_add_co_ci_u32_e64 v101, null, 0, v101, vcc_lo
	v_lshrrev_b32_e32 v102, v103, v102
; %bb.3908:                             ;   in Loop: Header=BB2_3820 Depth=2
	s_andn2_saveexec_b32 s13, s13
; %bb.3909:                             ;   in Loop: Header=BB2_3820 Depth=2
	v_bfe_u32 v101, v102, 23, 1
; %bb.3910:                             ;   in Loop: Header=BB2_3820 Depth=2
	s_or_b32 exec_lo, exec_lo, s13
	v_lshrrev_b32_e32 v102, 20, v102
	v_min_i32_e32 v103, 15, v101
	v_cmp_gt_i32_e32 vcc_lo, 16, v101
	v_and_b32_sdwa v10, v10, v83 dst_sel:DWORD dst_unused:UNUSED_PAD src0_sel:BYTE_3 src1_sel:DWORD
	v_lshlrev_b32_e32 v103, 3, v103
	v_cndmask_b32_e32 v102, 7, v102, vcc_lo
	v_and_b32_e32 v103, 0xf8, v103
	v_and_b32_e32 v112, 7, v102
	v_or_b32_e32 v101, v101, v102
	v_or3_b32 v10, v10, v103, v112
	v_cmp_ne_u32_e32 vcc_lo, 0, v101
	v_lshlrev_b32_e32 v10, 8, v10
	v_cndmask_b32_e32 v101, 0, v10, vcc_lo
.LBB2_3911:                             ;   in Loop: Header=BB2_3820 Depth=2
	s_or_b32 exec_lo, exec_lo, s40
.LBB2_3912:                             ;   in Loop: Header=BB2_3820 Depth=2
	s_or_b32 exec_lo, exec_lo, s29
	v_and_b32_sdwa v102, v11, v86 dst_sel:DWORD dst_unused:UNUSED_PAD src0_sel:WORD_1 src1_sel:DWORD
	s_mov_b32 s13, 0
	s_mov_b32 s29, exec_lo
	v_cmpx_lt_i16_e32 0x7f, v102
	s_xor_b32 s29, exec_lo, s29
	s_cbranch_execz .LBB2_4286
; %bb.3913:                             ;   in Loop: Header=BB2_3820 Depth=2
	s_mov_b32 s13, -1
	s_mov_b32 s40, exec_lo
	v_cmpx_eq_u16_e32 0x80, v102
; %bb.3914:                             ;   in Loop: Header=BB2_3820 Depth=2
	s_xor_b32 s13, exec_lo, -1
; %bb.3915:                             ;   in Loop: Header=BB2_3820 Depth=2
	s_or_b32 exec_lo, exec_lo, s40
	s_and_b32 s13, s13, exec_lo
                                        ; implicit-def: $vgpr102
	s_or_saveexec_b32 s29, s29
	v_mov_b32_e32 v10, 0x7f800001
	s_xor_b32 exec_lo, exec_lo, s29
	s_cbranch_execnz .LBB2_4287
.LBB2_3916:                             ;   in Loop: Header=BB2_3820 Depth=2
	s_or_b32 exec_lo, exec_lo, s29
	s_and_saveexec_b32 s29, s13
	s_cbranch_execz .LBB2_3918
.LBB2_3917:                             ;   in Loop: Header=BB2_3820 Depth=2
	v_bfe_u32 v10, v11, 16, 3
	v_bfe_u32 v112, v11, 19, 4
	v_lshlrev_b32_e32 v113, 8, v11
	v_ffbh_u32_e32 v102, v10
	v_cmp_eq_u32_e32 vcc_lo, 0, v112
	v_min_u32_e32 v102, 32, v102
	v_subrev_nc_u32_e32 v103, 28, v102
	v_sub_nc_u32_e32 v102, 29, v102
	v_lshlrev_b32_sdwa v103, v103, v11 dst_sel:DWORD dst_unused:UNUSED_PAD src0_sel:DWORD src1_sel:WORD_1
	v_cndmask_b32_e32 v102, v112, v102, vcc_lo
	v_and_b32_e32 v103, 7, v103
	v_lshl_add_u32 v102, v102, 23, 0x3b800000
	v_cndmask_b32_e32 v10, v10, v103, vcc_lo
	v_and_b32_e32 v103, 0x80000000, v113
	v_lshlrev_b32_e32 v10, 20, v10
	v_or3_b32 v10, v103, v102, v10
.LBB2_3918:                             ;   in Loop: Header=BB2_3820 Depth=2
	s_or_b32 exec_lo, exec_lo, s29
	v_mul_f32_e32 v10, s28, v10
	v_and_b32_e32 v102, 0x7f800000, v10
	v_cmp_ne_u32_e32 vcc_lo, 0x7f800000, v102
	v_mov_b32_e32 v102, 0x80
	s_and_saveexec_b32 s29, vcc_lo
	s_cbranch_execz .LBB2_3926
; %bb.3919:                             ;   in Loop: Header=BB2_3820 Depth=2
	v_mov_b32_e32 v102, 0
	s_mov_b32 s40, exec_lo
	v_cmpx_ne_u32_e32 0, v10
	s_cbranch_execz .LBB2_3925
; %bb.3920:                             ;   in Loop: Header=BB2_3820 Depth=2
	v_bfe_u32 v102, v10, 23, 8
	v_and_b32_e32 v103, 0x7fffff, v10
	v_sub_nc_u32_e32 v112, 0x78, v102
	v_cmp_gt_u32_e32 vcc_lo, 0x79, v102
	v_or_b32_e32 v113, 0x800000, v103
	v_cndmask_b32_e32 v112, 0, v112, vcc_lo
	v_cmp_eq_u32_e32 vcc_lo, 0, v102
	v_add_nc_u32_e32 v102, 0xffffff89, v102
	v_cndmask_b32_e64 v112, v112, 0x77, vcc_lo
	v_cndmask_b32_e32 v103, v113, v103, vcc_lo
	v_cndmask_b32_e64 v102, v102, 0xffffff8a, vcc_lo
	v_lshl_add_u32 v113, 0x100000, v112, -1
	v_lshrrev_b32_e32 v114, v112, v103
	v_lshlrev_b32_e64 v116, v112, 0x80000
	v_add_nc_u32_e32 v112, v112, v102
	v_and_b32_e32 v103, v113, v103
	v_bfe_u32 v115, v114, 20, 1
	v_cmp_eq_u32_e64 s13, v103, v116
	v_add_nc_u32_e32 v113, -1, v115
	v_cndmask_b32_e64 v103, 0, v113, s13
	v_lshrrev_b32_e32 v113, 23, v114
	s_mov_b32 s13, exec_lo
	v_add_nc_u32_e32 v103, v103, v114
	v_xor_b32_e32 v113, 1, v113
	v_and_b32_e32 v102, 0xfffff, v103
	v_add_nc_u32_e32 v103, v102, v114
                                        ; implicit-def: $vgpr102
	v_cmpx_ne_u32_e64 v112, v113
	s_xor_b32 s13, exec_lo, s13
; %bb.3921:                             ;   in Loop: Header=BB2_3820 Depth=2
	v_cmp_lt_u32_e32 vcc_lo, 0xffffff, v103
	v_sub_nc_u32_e32 v102, v112, v113
	v_cndmask_b32_e64 v112, 0, 1, vcc_lo
	v_add_co_ci_u32_e64 v102, null, 0, v102, vcc_lo
	v_lshrrev_b32_e32 v103, v112, v103
; %bb.3922:                             ;   in Loop: Header=BB2_3820 Depth=2
	s_andn2_saveexec_b32 s13, s13
; %bb.3923:                             ;   in Loop: Header=BB2_3820 Depth=2
	v_bfe_u32 v102, v103, 23, 1
; %bb.3924:                             ;   in Loop: Header=BB2_3820 Depth=2
	s_or_b32 exec_lo, exec_lo, s13
	v_lshrrev_b32_e32 v103, 20, v103
	v_min_i32_e32 v112, 15, v102
	v_cmp_gt_i32_e32 vcc_lo, 16, v102
	v_and_b32_sdwa v10, v10, v83 dst_sel:DWORD dst_unused:UNUSED_PAD src0_sel:BYTE_3 src1_sel:DWORD
	v_lshlrev_b32_e32 v112, 3, v112
	v_cndmask_b32_e32 v103, 7, v103, vcc_lo
	v_and_b32_e32 v112, 0xf8, v112
	v_and_b32_e32 v113, 7, v103
	v_or_b32_e32 v102, v102, v103
	v_or3_b32 v10, v112, v10, v113
	v_cmp_ne_u32_e32 vcc_lo, 0, v102
	v_cndmask_b32_e32 v102, 0, v10, vcc_lo
.LBB2_3925:                             ;   in Loop: Header=BB2_3820 Depth=2
	s_or_b32 exec_lo, exec_lo, s40
.LBB2_3926:                             ;   in Loop: Header=BB2_3820 Depth=2
	s_or_b32 exec_lo, exec_lo, s29
	v_cmp_gt_i16_sdwa s29, v11, v82 src0_sel:BYTE_3 src1_sel:DWORD
	s_mov_b32 s13, 0
	s_and_saveexec_b32 s40, s29
	s_xor_b32 s29, exec_lo, s40
	s_cbranch_execz .LBB2_4288
; %bb.3927:                             ;   in Loop: Header=BB2_3820 Depth=2
	v_cmp_eq_u16_sdwa s41, v11, v83 src0_sel:BYTE_3 src1_sel:DWORD
	s_mov_b32 s13, -1
	s_and_saveexec_b32 s40, s41
; %bb.3928:                             ;   in Loop: Header=BB2_3820 Depth=2
	s_xor_b32 s13, exec_lo, -1
; %bb.3929:                             ;   in Loop: Header=BB2_3820 Depth=2
	s_or_b32 exec_lo, exec_lo, s40
	s_and_b32 s13, s13, exec_lo
	s_or_saveexec_b32 s29, s29
	v_mov_b32_e32 v10, 0x7f800001
	s_xor_b32 exec_lo, exec_lo, s29
	s_cbranch_execnz .LBB2_4289
.LBB2_3930:                             ;   in Loop: Header=BB2_3820 Depth=2
	s_or_b32 exec_lo, exec_lo, s29
	s_and_saveexec_b32 s29, s13
	s_cbranch_execz .LBB2_3932
.LBB2_3931:                             ;   in Loop: Header=BB2_3820 Depth=2
	v_bfe_u32 v10, v11, 24, 3
	v_bfe_u32 v113, v11, 27, 4
	v_ffbh_u32_e32 v103, v10
	v_cmp_eq_u32_e32 vcc_lo, 0, v113
	v_min_u32_e32 v103, 32, v103
	v_subrev_nc_u32_e32 v112, 28, v103
	v_sub_nc_u32_e32 v103, 29, v103
	v_lshlrev_b32_sdwa v112, v112, v11 dst_sel:DWORD dst_unused:UNUSED_PAD src0_sel:DWORD src1_sel:BYTE_3
	v_cndmask_b32_e32 v103, v113, v103, vcc_lo
	v_and_b32_e32 v11, 0x80000000, v11
	v_and_b32_e32 v112, 7, v112
	v_lshl_add_u32 v103, v103, 23, 0x3b800000
	v_cndmask_b32_e32 v10, v10, v112, vcc_lo
	v_lshlrev_b32_e32 v10, 20, v10
	v_or3_b32 v10, v11, v103, v10
.LBB2_3932:                             ;   in Loop: Header=BB2_3820 Depth=2
	s_or_b32 exec_lo, exec_lo, s29
	v_mul_f32_e32 v10, s28, v10
	v_mov_b32_e32 v103, 0x8000
	s_mov_b32 s29, exec_lo
	v_and_b32_e32 v11, 0x7f800000, v10
	v_cmpx_ne_u32_e32 0x7f800000, v11
	s_cbranch_execz .LBB2_3940
; %bb.3933:                             ;   in Loop: Header=BB2_3820 Depth=2
	v_mov_b32_e32 v103, 0
	s_mov_b32 s40, exec_lo
	v_cmpx_ne_u32_e32 0, v10
	s_cbranch_execz .LBB2_3939
; %bb.3934:                             ;   in Loop: Header=BB2_3820 Depth=2
	v_bfe_u32 v11, v10, 23, 8
	v_and_b32_e32 v103, 0x7fffff, v10
	v_sub_nc_u32_e32 v112, 0x78, v11
	v_cmp_gt_u32_e32 vcc_lo, 0x79, v11
	v_or_b32_e32 v113, 0x800000, v103
	v_cndmask_b32_e32 v112, 0, v112, vcc_lo
	v_cmp_eq_u32_e32 vcc_lo, 0, v11
	v_add_nc_u32_e32 v11, 0xffffff89, v11
	v_cndmask_b32_e64 v112, v112, 0x77, vcc_lo
	v_cndmask_b32_e32 v103, v113, v103, vcc_lo
	v_cndmask_b32_e64 v11, v11, 0xffffff8a, vcc_lo
	v_lshl_add_u32 v113, 0x100000, v112, -1
	v_lshrrev_b32_e32 v114, v112, v103
	v_lshlrev_b32_e64 v116, v112, 0x80000
	v_add_nc_u32_e32 v112, v112, v11
	v_and_b32_e32 v103, v113, v103
	v_bfe_u32 v115, v114, 20, 1
	v_cmp_eq_u32_e64 s13, v103, v116
	v_add_nc_u32_e32 v113, -1, v115
	v_cndmask_b32_e64 v103, 0, v113, s13
	v_lshrrev_b32_e32 v113, 23, v114
	s_mov_b32 s13, exec_lo
	v_add_nc_u32_e32 v103, v103, v114
	v_xor_b32_e32 v113, 1, v113
	v_and_b32_e32 v11, 0xfffff, v103
	v_add_nc_u32_e32 v103, v11, v114
                                        ; implicit-def: $vgpr11
	v_cmpx_ne_u32_e64 v112, v113
	s_xor_b32 s13, exec_lo, s13
; %bb.3935:                             ;   in Loop: Header=BB2_3820 Depth=2
	v_cmp_lt_u32_e32 vcc_lo, 0xffffff, v103
	v_sub_nc_u32_e32 v11, v112, v113
	v_cndmask_b32_e64 v112, 0, 1, vcc_lo
	v_add_co_ci_u32_e64 v11, null, 0, v11, vcc_lo
	v_lshrrev_b32_e32 v103, v112, v103
; %bb.3936:                             ;   in Loop: Header=BB2_3820 Depth=2
	s_andn2_saveexec_b32 s13, s13
; %bb.3937:                             ;   in Loop: Header=BB2_3820 Depth=2
	v_bfe_u32 v11, v103, 23, 1
; %bb.3938:                             ;   in Loop: Header=BB2_3820 Depth=2
	s_or_b32 exec_lo, exec_lo, s13
	v_lshrrev_b32_e32 v103, 20, v103
	v_min_i32_e32 v112, 15, v11
	v_cmp_gt_i32_e32 vcc_lo, 16, v11
	v_and_b32_sdwa v10, v10, v83 dst_sel:DWORD dst_unused:UNUSED_PAD src0_sel:BYTE_3 src1_sel:DWORD
	v_lshlrev_b32_e32 v112, 3, v112
	v_cndmask_b32_e32 v103, 7, v103, vcc_lo
	v_and_b32_e32 v112, 0xf8, v112
	v_and_b32_e32 v113, 7, v103
	v_or_b32_e32 v11, v11, v103
	v_or3_b32 v10, v10, v112, v113
	v_cmp_ne_u32_e32 vcc_lo, 0, v11
	v_lshlrev_b32_e32 v10, 8, v10
	v_cndmask_b32_e32 v103, 0, v10, vcc_lo
.LBB2_3939:                             ;   in Loop: Header=BB2_3820 Depth=2
	s_or_b32 exec_lo, exec_lo, s40
.LBB2_3940:                             ;   in Loop: Header=BB2_3820 Depth=2
	s_or_b32 exec_lo, exec_lo, s29
	v_cmp_gt_i16_sdwa s29, v12, v82 src0_sel:BYTE_0 src1_sel:DWORD
	s_mov_b32 s13, 0
	s_and_saveexec_b32 s40, s29
	s_xor_b32 s29, exec_lo, s40
	s_cbranch_execz .LBB2_4290
; %bb.3941:                             ;   in Loop: Header=BB2_3820 Depth=2
	v_cmp_eq_u16_sdwa s41, v12, v83 src0_sel:BYTE_0 src1_sel:DWORD
	s_mov_b32 s13, -1
	s_and_saveexec_b32 s40, s41
; %bb.3942:                             ;   in Loop: Header=BB2_3820 Depth=2
	s_xor_b32 s13, exec_lo, -1
; %bb.3943:                             ;   in Loop: Header=BB2_3820 Depth=2
	s_or_b32 exec_lo, exec_lo, s40
	s_and_b32 s13, s13, exec_lo
	s_or_saveexec_b32 s29, s29
	v_mov_b32_e32 v10, 0x7f800001
	s_xor_b32 exec_lo, exec_lo, s29
	s_cbranch_execnz .LBB2_4291
.LBB2_3944:                             ;   in Loop: Header=BB2_3820 Depth=2
	s_or_b32 exec_lo, exec_lo, s29
	s_and_saveexec_b32 s29, s13
	s_cbranch_execz .LBB2_3946
.LBB2_3945:                             ;   in Loop: Header=BB2_3820 Depth=2
	v_and_b32_e32 v10, 7, v12
	v_bfe_u32 v113, v12, 3, 4
	v_lshlrev_b32_e32 v114, 24, v12
	v_ffbh_u32_e32 v11, v10
	v_cmp_eq_u32_e32 vcc_lo, 0, v113
	v_min_u32_e32 v11, 32, v11
	v_subrev_nc_u32_e32 v112, 28, v11
	v_sub_nc_u32_e32 v11, 29, v11
	v_lshlrev_b32_e32 v112, v112, v12
	v_cndmask_b32_e32 v11, v113, v11, vcc_lo
	v_and_b32_e32 v112, 7, v112
	v_lshl_add_u32 v11, v11, 23, 0x3b800000
	v_cndmask_b32_e32 v10, v10, v112, vcc_lo
	v_and_b32_e32 v112, 0x80000000, v114
	v_lshlrev_b32_e32 v10, 20, v10
	v_or3_b32 v10, v112, v11, v10
.LBB2_3946:                             ;   in Loop: Header=BB2_3820 Depth=2
	s_or_b32 exec_lo, exec_lo, s29
	v_mul_f32_e32 v10, s28, v10
	v_mov_b32_e32 v112, 0x80
	s_mov_b32 s29, exec_lo
	v_and_b32_e32 v11, 0x7f800000, v10
	v_cmpx_ne_u32_e32 0x7f800000, v11
	s_cbranch_execz .LBB2_3954
; %bb.3947:                             ;   in Loop: Header=BB2_3820 Depth=2
	v_mov_b32_e32 v112, 0
	s_mov_b32 s40, exec_lo
	v_cmpx_ne_u32_e32 0, v10
	s_cbranch_execz .LBB2_3953
; %bb.3948:                             ;   in Loop: Header=BB2_3820 Depth=2
	v_bfe_u32 v11, v10, 23, 8
	v_and_b32_e32 v112, 0x7fffff, v10
	v_sub_nc_u32_e32 v113, 0x78, v11
	v_cmp_gt_u32_e32 vcc_lo, 0x79, v11
	v_or_b32_e32 v114, 0x800000, v112
	v_cndmask_b32_e32 v113, 0, v113, vcc_lo
	v_cmp_eq_u32_e32 vcc_lo, 0, v11
	v_add_nc_u32_e32 v11, 0xffffff89, v11
	v_cndmask_b32_e64 v113, v113, 0x77, vcc_lo
	v_cndmask_b32_e32 v112, v114, v112, vcc_lo
	v_cndmask_b32_e64 v11, v11, 0xffffff8a, vcc_lo
	v_lshl_add_u32 v114, 0x100000, v113, -1
	v_lshrrev_b32_e32 v115, v113, v112
	v_lshlrev_b32_e64 v117, v113, 0x80000
	v_add_nc_u32_e32 v113, v113, v11
	v_and_b32_e32 v112, v114, v112
	v_bfe_u32 v116, v115, 20, 1
	v_cmp_eq_u32_e64 s13, v112, v117
	v_add_nc_u32_e32 v114, -1, v116
	v_cndmask_b32_e64 v112, 0, v114, s13
	v_lshrrev_b32_e32 v114, 23, v115
	s_mov_b32 s13, exec_lo
	v_add_nc_u32_e32 v112, v112, v115
	v_xor_b32_e32 v114, 1, v114
	v_and_b32_e32 v11, 0xfffff, v112
	v_add_nc_u32_e32 v112, v11, v115
                                        ; implicit-def: $vgpr11
	v_cmpx_ne_u32_e64 v113, v114
	s_xor_b32 s13, exec_lo, s13
; %bb.3949:                             ;   in Loop: Header=BB2_3820 Depth=2
	v_cmp_lt_u32_e32 vcc_lo, 0xffffff, v112
	v_sub_nc_u32_e32 v11, v113, v114
	v_cndmask_b32_e64 v113, 0, 1, vcc_lo
	v_add_co_ci_u32_e64 v11, null, 0, v11, vcc_lo
	v_lshrrev_b32_e32 v112, v113, v112
; %bb.3950:                             ;   in Loop: Header=BB2_3820 Depth=2
	s_andn2_saveexec_b32 s13, s13
; %bb.3951:                             ;   in Loop: Header=BB2_3820 Depth=2
	v_bfe_u32 v11, v112, 23, 1
; %bb.3952:                             ;   in Loop: Header=BB2_3820 Depth=2
	s_or_b32 exec_lo, exec_lo, s13
	v_lshrrev_b32_e32 v112, 20, v112
	v_min_i32_e32 v113, 15, v11
	v_cmp_gt_i32_e32 vcc_lo, 16, v11
	v_and_b32_sdwa v10, v10, v83 dst_sel:DWORD dst_unused:UNUSED_PAD src0_sel:BYTE_3 src1_sel:DWORD
	v_lshlrev_b32_e32 v113, 3, v113
	v_cndmask_b32_e32 v112, 7, v112, vcc_lo
	v_and_b32_e32 v113, 0xf8, v113
	v_and_b32_e32 v114, 7, v112
	v_or_b32_e32 v11, v11, v112
	v_or3_b32 v10, v113, v10, v114
	v_cmp_ne_u32_e32 vcc_lo, 0, v11
	v_cndmask_b32_e32 v112, 0, v10, vcc_lo
.LBB2_3953:                             ;   in Loop: Header=BB2_3820 Depth=2
	s_or_b32 exec_lo, exec_lo, s40
.LBB2_3954:                             ;   in Loop: Header=BB2_3820 Depth=2
	s_or_b32 exec_lo, exec_lo, s29
	v_cmp_gt_i16_sdwa s29, v12, v82 src0_sel:BYTE_1 src1_sel:DWORD
	s_mov_b32 s13, 0
	s_and_saveexec_b32 s40, s29
	s_xor_b32 s29, exec_lo, s40
	s_cbranch_execz .LBB2_4292
; %bb.3955:                             ;   in Loop: Header=BB2_3820 Depth=2
	v_cmp_eq_u16_sdwa s41, v12, v83 src0_sel:BYTE_1 src1_sel:DWORD
	s_mov_b32 s13, -1
	s_and_saveexec_b32 s40, s41
; %bb.3956:                             ;   in Loop: Header=BB2_3820 Depth=2
	s_xor_b32 s13, exec_lo, -1
; %bb.3957:                             ;   in Loop: Header=BB2_3820 Depth=2
	s_or_b32 exec_lo, exec_lo, s40
	s_and_b32 s13, s13, exec_lo
	s_or_saveexec_b32 s29, s29
	v_mov_b32_e32 v10, 0x7f800001
	s_xor_b32 exec_lo, exec_lo, s29
	s_cbranch_execnz .LBB2_4293
.LBB2_3958:                             ;   in Loop: Header=BB2_3820 Depth=2
	s_or_b32 exec_lo, exec_lo, s29
	s_and_saveexec_b32 s29, s13
	s_cbranch_execz .LBB2_3960
.LBB2_3959:                             ;   in Loop: Header=BB2_3820 Depth=2
	v_and_b32_sdwa v10, v84, v12 dst_sel:DWORD dst_unused:UNUSED_PAD src0_sel:DWORD src1_sel:BYTE_1
	v_and_b32_e32 v11, 7, v10
	v_bfe_u32 v115, v10, 3, 4
	v_ffbh_u32_e32 v113, v11
	v_cmp_eq_u32_e32 vcc_lo, 0, v115
	v_min_u32_e32 v113, 32, v113
	v_subrev_nc_u32_e32 v114, 28, v113
	v_sub_nc_u32_e32 v113, 29, v113
	v_lshlrev_b32_e32 v10, v114, v10
	v_lshlrev_b32_sdwa v114, v85, v12 dst_sel:DWORD dst_unused:UNUSED_PAD src0_sel:DWORD src1_sel:BYTE_1
	v_cndmask_b32_e32 v113, v115, v113, vcc_lo
	v_and_b32_e32 v10, 7, v10
	v_lshl_add_u32 v113, v113, 23, 0x3b800000
	v_cndmask_b32_e32 v10, v11, v10, vcc_lo
	v_and_b32_e32 v11, 0x80000000, v114
	v_lshlrev_b32_e32 v10, 20, v10
	v_or3_b32 v10, v11, v113, v10
.LBB2_3960:                             ;   in Loop: Header=BB2_3820 Depth=2
	s_or_b32 exec_lo, exec_lo, s29
	v_mul_f32_e32 v10, s28, v10
	v_mov_b32_e32 v113, 0x8000
	s_mov_b32 s29, exec_lo
	v_and_b32_e32 v11, 0x7f800000, v10
	v_cmpx_ne_u32_e32 0x7f800000, v11
	s_cbranch_execz .LBB2_3968
; %bb.3961:                             ;   in Loop: Header=BB2_3820 Depth=2
	v_mov_b32_e32 v113, 0
	s_mov_b32 s40, exec_lo
	v_cmpx_ne_u32_e32 0, v10
	s_cbranch_execz .LBB2_3967
; %bb.3962:                             ;   in Loop: Header=BB2_3820 Depth=2
	v_bfe_u32 v11, v10, 23, 8
	v_and_b32_e32 v113, 0x7fffff, v10
	v_sub_nc_u32_e32 v114, 0x78, v11
	v_cmp_gt_u32_e32 vcc_lo, 0x79, v11
	v_or_b32_e32 v115, 0x800000, v113
	v_cndmask_b32_e32 v114, 0, v114, vcc_lo
	v_cmp_eq_u32_e32 vcc_lo, 0, v11
	v_add_nc_u32_e32 v11, 0xffffff89, v11
	v_cndmask_b32_e64 v114, v114, 0x77, vcc_lo
	v_cndmask_b32_e32 v113, v115, v113, vcc_lo
	v_cndmask_b32_e64 v11, v11, 0xffffff8a, vcc_lo
	v_lshl_add_u32 v115, 0x100000, v114, -1
	v_lshrrev_b32_e32 v116, v114, v113
	v_lshlrev_b32_e64 v118, v114, 0x80000
	v_add_nc_u32_e32 v114, v114, v11
	v_and_b32_e32 v113, v115, v113
	v_bfe_u32 v117, v116, 20, 1
	v_cmp_eq_u32_e64 s13, v113, v118
	v_add_nc_u32_e32 v115, -1, v117
	v_cndmask_b32_e64 v113, 0, v115, s13
	v_lshrrev_b32_e32 v115, 23, v116
	s_mov_b32 s13, exec_lo
	v_add_nc_u32_e32 v113, v113, v116
	v_xor_b32_e32 v115, 1, v115
	v_and_b32_e32 v11, 0xfffff, v113
	v_add_nc_u32_e32 v113, v11, v116
                                        ; implicit-def: $vgpr11
	v_cmpx_ne_u32_e64 v114, v115
	s_xor_b32 s13, exec_lo, s13
; %bb.3963:                             ;   in Loop: Header=BB2_3820 Depth=2
	v_cmp_lt_u32_e32 vcc_lo, 0xffffff, v113
	v_sub_nc_u32_e32 v11, v114, v115
	v_cndmask_b32_e64 v114, 0, 1, vcc_lo
	v_add_co_ci_u32_e64 v11, null, 0, v11, vcc_lo
	v_lshrrev_b32_e32 v113, v114, v113
; %bb.3964:                             ;   in Loop: Header=BB2_3820 Depth=2
	s_andn2_saveexec_b32 s13, s13
; %bb.3965:                             ;   in Loop: Header=BB2_3820 Depth=2
	v_bfe_u32 v11, v113, 23, 1
; %bb.3966:                             ;   in Loop: Header=BB2_3820 Depth=2
	s_or_b32 exec_lo, exec_lo, s13
	v_lshrrev_b32_e32 v113, 20, v113
	v_min_i32_e32 v114, 15, v11
	v_cmp_gt_i32_e32 vcc_lo, 16, v11
	v_and_b32_sdwa v10, v10, v83 dst_sel:DWORD dst_unused:UNUSED_PAD src0_sel:BYTE_3 src1_sel:DWORD
	v_lshlrev_b32_e32 v114, 3, v114
	v_cndmask_b32_e32 v113, 7, v113, vcc_lo
	v_and_b32_e32 v114, 0xf8, v114
	v_and_b32_e32 v115, 7, v113
	v_or_b32_e32 v11, v11, v113
	v_or3_b32 v10, v10, v114, v115
	v_cmp_ne_u32_e32 vcc_lo, 0, v11
	v_lshlrev_b32_e32 v10, 8, v10
	v_cndmask_b32_e32 v113, 0, v10, vcc_lo
.LBB2_3967:                             ;   in Loop: Header=BB2_3820 Depth=2
	s_or_b32 exec_lo, exec_lo, s40
.LBB2_3968:                             ;   in Loop: Header=BB2_3820 Depth=2
	s_or_b32 exec_lo, exec_lo, s29
	v_and_b32_sdwa v11, v12, v86 dst_sel:DWORD dst_unused:UNUSED_PAD src0_sel:WORD_1 src1_sel:DWORD
	s_mov_b32 s13, 0
	s_mov_b32 s29, exec_lo
	v_cmpx_lt_i16_e32 0x7f, v11
	s_xor_b32 s29, exec_lo, s29
	s_cbranch_execz .LBB2_4294
; %bb.3969:                             ;   in Loop: Header=BB2_3820 Depth=2
	s_mov_b32 s13, -1
	s_mov_b32 s40, exec_lo
	v_cmpx_eq_u16_e32 0x80, v11
; %bb.3970:                             ;   in Loop: Header=BB2_3820 Depth=2
	s_xor_b32 s13, exec_lo, -1
; %bb.3971:                             ;   in Loop: Header=BB2_3820 Depth=2
	s_or_b32 exec_lo, exec_lo, s40
	s_and_b32 s13, s13, exec_lo
                                        ; implicit-def: $vgpr11
	s_or_saveexec_b32 s29, s29
	v_mov_b32_e32 v10, 0x7f800001
	s_xor_b32 exec_lo, exec_lo, s29
	s_cbranch_execnz .LBB2_4295
.LBB2_3972:                             ;   in Loop: Header=BB2_3820 Depth=2
	s_or_b32 exec_lo, exec_lo, s29
	s_and_saveexec_b32 s29, s13
	s_cbranch_execz .LBB2_3974
.LBB2_3973:                             ;   in Loop: Header=BB2_3820 Depth=2
	v_bfe_u32 v10, v12, 16, 3
	v_bfe_u32 v115, v12, 19, 4
	v_lshlrev_b32_e32 v116, 8, v12
	v_ffbh_u32_e32 v11, v10
	v_cmp_eq_u32_e32 vcc_lo, 0, v115
	v_min_u32_e32 v11, 32, v11
	v_subrev_nc_u32_e32 v114, 28, v11
	v_sub_nc_u32_e32 v11, 29, v11
	v_lshlrev_b32_sdwa v114, v114, v12 dst_sel:DWORD dst_unused:UNUSED_PAD src0_sel:DWORD src1_sel:WORD_1
	v_cndmask_b32_e32 v11, v115, v11, vcc_lo
	v_and_b32_e32 v114, 7, v114
	v_lshl_add_u32 v11, v11, 23, 0x3b800000
	v_cndmask_b32_e32 v10, v10, v114, vcc_lo
	v_and_b32_e32 v114, 0x80000000, v116
	v_lshlrev_b32_e32 v10, 20, v10
	v_or3_b32 v10, v114, v11, v10
.LBB2_3974:                             ;   in Loop: Header=BB2_3820 Depth=2
	s_or_b32 exec_lo, exec_lo, s29
	v_mul_f32_e32 v10, s28, v10
	v_mov_b32_e32 v114, 0x80
	s_mov_b32 s29, exec_lo
	v_and_b32_e32 v11, 0x7f800000, v10
	v_cmpx_ne_u32_e32 0x7f800000, v11
	s_cbranch_execz .LBB2_3982
; %bb.3975:                             ;   in Loop: Header=BB2_3820 Depth=2
	v_mov_b32_e32 v114, 0
	s_mov_b32 s40, exec_lo
	v_cmpx_ne_u32_e32 0, v10
	s_cbranch_execz .LBB2_3981
; %bb.3976:                             ;   in Loop: Header=BB2_3820 Depth=2
	v_bfe_u32 v11, v10, 23, 8
	v_and_b32_e32 v114, 0x7fffff, v10
	v_sub_nc_u32_e32 v115, 0x78, v11
	v_cmp_gt_u32_e32 vcc_lo, 0x79, v11
	v_or_b32_e32 v116, 0x800000, v114
	v_cndmask_b32_e32 v115, 0, v115, vcc_lo
	v_cmp_eq_u32_e32 vcc_lo, 0, v11
	v_add_nc_u32_e32 v11, 0xffffff89, v11
	v_cndmask_b32_e64 v115, v115, 0x77, vcc_lo
	v_cndmask_b32_e32 v114, v116, v114, vcc_lo
	v_cndmask_b32_e64 v11, v11, 0xffffff8a, vcc_lo
	v_lshl_add_u32 v116, 0x100000, v115, -1
	v_lshrrev_b32_e32 v117, v115, v114
	v_lshlrev_b32_e64 v119, v115, 0x80000
	v_add_nc_u32_e32 v115, v115, v11
	v_and_b32_e32 v114, v116, v114
	v_bfe_u32 v118, v117, 20, 1
	v_cmp_eq_u32_e64 s13, v114, v119
	v_add_nc_u32_e32 v116, -1, v118
	v_cndmask_b32_e64 v114, 0, v116, s13
	v_lshrrev_b32_e32 v116, 23, v117
	s_mov_b32 s13, exec_lo
	v_add_nc_u32_e32 v114, v114, v117
	v_xor_b32_e32 v116, 1, v116
	v_and_b32_e32 v11, 0xfffff, v114
	v_add_nc_u32_e32 v114, v11, v117
                                        ; implicit-def: $vgpr11
	v_cmpx_ne_u32_e64 v115, v116
	s_xor_b32 s13, exec_lo, s13
; %bb.3977:                             ;   in Loop: Header=BB2_3820 Depth=2
	v_cmp_lt_u32_e32 vcc_lo, 0xffffff, v114
	v_sub_nc_u32_e32 v11, v115, v116
	v_cndmask_b32_e64 v115, 0, 1, vcc_lo
	v_add_co_ci_u32_e64 v11, null, 0, v11, vcc_lo
	v_lshrrev_b32_e32 v114, v115, v114
; %bb.3978:                             ;   in Loop: Header=BB2_3820 Depth=2
	s_andn2_saveexec_b32 s13, s13
; %bb.3979:                             ;   in Loop: Header=BB2_3820 Depth=2
	v_bfe_u32 v11, v114, 23, 1
; %bb.3980:                             ;   in Loop: Header=BB2_3820 Depth=2
	s_or_b32 exec_lo, exec_lo, s13
	v_lshrrev_b32_e32 v114, 20, v114
	v_min_i32_e32 v115, 15, v11
	v_cmp_gt_i32_e32 vcc_lo, 16, v11
	v_and_b32_sdwa v10, v10, v83 dst_sel:DWORD dst_unused:UNUSED_PAD src0_sel:BYTE_3 src1_sel:DWORD
	v_lshlrev_b32_e32 v115, 3, v115
	v_cndmask_b32_e32 v114, 7, v114, vcc_lo
	v_and_b32_e32 v115, 0xf8, v115
	v_and_b32_e32 v116, 7, v114
	v_or_b32_e32 v11, v11, v114
	v_or3_b32 v10, v115, v10, v116
	v_cmp_ne_u32_e32 vcc_lo, 0, v11
	v_cndmask_b32_e32 v114, 0, v10, vcc_lo
.LBB2_3981:                             ;   in Loop: Header=BB2_3820 Depth=2
	s_or_b32 exec_lo, exec_lo, s40
.LBB2_3982:                             ;   in Loop: Header=BB2_3820 Depth=2
	s_or_b32 exec_lo, exec_lo, s29
	v_cmp_gt_i16_sdwa s29, v12, v82 src0_sel:BYTE_3 src1_sel:DWORD
	s_mov_b32 s13, 0
	s_and_saveexec_b32 s40, s29
	s_xor_b32 s29, exec_lo, s40
	s_cbranch_execz .LBB2_4296
; %bb.3983:                             ;   in Loop: Header=BB2_3820 Depth=2
	v_cmp_eq_u16_sdwa s41, v12, v83 src0_sel:BYTE_3 src1_sel:DWORD
	s_mov_b32 s13, -1
	s_and_saveexec_b32 s40, s41
; %bb.3984:                             ;   in Loop: Header=BB2_3820 Depth=2
	s_xor_b32 s13, exec_lo, -1
; %bb.3985:                             ;   in Loop: Header=BB2_3820 Depth=2
	s_or_b32 exec_lo, exec_lo, s40
	s_and_b32 s13, s13, exec_lo
	s_or_saveexec_b32 s29, s29
	v_mov_b32_e32 v10, 0x7f800001
	s_xor_b32 exec_lo, exec_lo, s29
	s_cbranch_execnz .LBB2_4297
.LBB2_3986:                             ;   in Loop: Header=BB2_3820 Depth=2
	s_or_b32 exec_lo, exec_lo, s29
	s_and_saveexec_b32 s29, s13
	s_cbranch_execz .LBB2_3988
.LBB2_3987:                             ;   in Loop: Header=BB2_3820 Depth=2
	v_bfe_u32 v10, v12, 24, 3
	v_bfe_u32 v116, v12, 27, 4
	v_ffbh_u32_e32 v11, v10
	v_cmp_eq_u32_e32 vcc_lo, 0, v116
	v_min_u32_e32 v11, 32, v11
	v_subrev_nc_u32_e32 v115, 28, v11
	v_sub_nc_u32_e32 v11, 29, v11
	v_lshlrev_b32_sdwa v115, v115, v12 dst_sel:DWORD dst_unused:UNUSED_PAD src0_sel:DWORD src1_sel:BYTE_3
	v_cndmask_b32_e32 v11, v116, v11, vcc_lo
	v_and_b32_e32 v12, 0x80000000, v12
	v_and_b32_e32 v115, 7, v115
	v_lshl_add_u32 v11, v11, 23, 0x3b800000
	v_cndmask_b32_e32 v10, v10, v115, vcc_lo
	v_lshlrev_b32_e32 v10, 20, v10
	v_or3_b32 v10, v12, v11, v10
.LBB2_3988:                             ;   in Loop: Header=BB2_3820 Depth=2
	s_or_b32 exec_lo, exec_lo, s29
	v_mul_f32_e32 v10, s28, v10
	v_mov_b32_e32 v115, 0x8000
	s_mov_b32 s29, exec_lo
	v_and_b32_e32 v11, 0x7f800000, v10
	v_cmpx_ne_u32_e32 0x7f800000, v11
	s_cbranch_execz .LBB2_3996
; %bb.3989:                             ;   in Loop: Header=BB2_3820 Depth=2
	v_mov_b32_e32 v115, 0
	s_mov_b32 s40, exec_lo
	v_cmpx_ne_u32_e32 0, v10
	s_cbranch_execz .LBB2_3995
; %bb.3990:                             ;   in Loop: Header=BB2_3820 Depth=2
	v_bfe_u32 v11, v10, 23, 8
	v_and_b32_e32 v12, 0x7fffff, v10
	v_sub_nc_u32_e32 v115, 0x78, v11
	v_cmp_gt_u32_e32 vcc_lo, 0x79, v11
	v_or_b32_e32 v116, 0x800000, v12
	v_cndmask_b32_e32 v115, 0, v115, vcc_lo
	v_cmp_eq_u32_e32 vcc_lo, 0, v11
	v_add_nc_u32_e32 v11, 0xffffff89, v11
	v_cndmask_b32_e64 v115, v115, 0x77, vcc_lo
	v_cndmask_b32_e32 v12, v116, v12, vcc_lo
	v_cndmask_b32_e64 v11, v11, 0xffffff8a, vcc_lo
	v_lshl_add_u32 v116, 0x100000, v115, -1
	v_lshrrev_b32_e32 v117, v115, v12
	v_lshlrev_b32_e64 v119, v115, 0x80000
	v_add_nc_u32_e32 v115, v115, v11
	v_and_b32_e32 v12, v116, v12
	v_bfe_u32 v118, v117, 20, 1
	v_cmp_eq_u32_e64 s13, v12, v119
	v_add_nc_u32_e32 v116, -1, v118
	v_cndmask_b32_e64 v12, 0, v116, s13
	v_lshrrev_b32_e32 v116, 23, v117
	s_mov_b32 s13, exec_lo
	v_add_nc_u32_e32 v12, v12, v117
	v_xor_b32_e32 v116, 1, v116
	v_and_b32_e32 v11, 0xfffff, v12
	v_add_nc_u32_e32 v12, v11, v117
                                        ; implicit-def: $vgpr11
	v_cmpx_ne_u32_e64 v115, v116
	s_xor_b32 s13, exec_lo, s13
; %bb.3991:                             ;   in Loop: Header=BB2_3820 Depth=2
	v_cmp_lt_u32_e32 vcc_lo, 0xffffff, v12
	v_sub_nc_u32_e32 v11, v115, v116
	v_cndmask_b32_e64 v115, 0, 1, vcc_lo
	v_add_co_ci_u32_e64 v11, null, 0, v11, vcc_lo
	v_lshrrev_b32_e32 v12, v115, v12
; %bb.3992:                             ;   in Loop: Header=BB2_3820 Depth=2
	s_andn2_saveexec_b32 s13, s13
; %bb.3993:                             ;   in Loop: Header=BB2_3820 Depth=2
	v_bfe_u32 v11, v12, 23, 1
; %bb.3994:                             ;   in Loop: Header=BB2_3820 Depth=2
	s_or_b32 exec_lo, exec_lo, s13
	v_lshrrev_b32_e32 v12, 20, v12
	v_min_i32_e32 v115, 15, v11
	v_cmp_gt_i32_e32 vcc_lo, 16, v11
	v_and_b32_sdwa v10, v10, v83 dst_sel:DWORD dst_unused:UNUSED_PAD src0_sel:BYTE_3 src1_sel:DWORD
	v_lshlrev_b32_e32 v115, 3, v115
	v_cndmask_b32_e32 v12, 7, v12, vcc_lo
	v_and_b32_e32 v115, 0xf8, v115
	v_and_b32_e32 v116, 7, v12
	v_or_b32_e32 v11, v11, v12
	v_or3_b32 v10, v10, v115, v116
	v_cmp_ne_u32_e32 vcc_lo, 0, v11
	v_lshlrev_b32_e32 v10, 8, v10
	v_cndmask_b32_e32 v115, 0, v10, vcc_lo
.LBB2_3995:                             ;   in Loop: Header=BB2_3820 Depth=2
	s_or_b32 exec_lo, exec_lo, s40
.LBB2_3996:                             ;   in Loop: Header=BB2_3820 Depth=2
	s_or_b32 exec_lo, exec_lo, s29
	v_cmp_gt_i16_sdwa s29, v13, v82 src0_sel:BYTE_0 src1_sel:DWORD
	s_mov_b32 s13, 0
	s_and_saveexec_b32 s40, s29
	s_xor_b32 s29, exec_lo, s40
	s_cbranch_execz .LBB2_4298
; %bb.3997:                             ;   in Loop: Header=BB2_3820 Depth=2
	v_cmp_eq_u16_sdwa s41, v13, v83 src0_sel:BYTE_0 src1_sel:DWORD
	s_mov_b32 s13, -1
	s_and_saveexec_b32 s40, s41
; %bb.3998:                             ;   in Loop: Header=BB2_3820 Depth=2
	s_xor_b32 s13, exec_lo, -1
; %bb.3999:                             ;   in Loop: Header=BB2_3820 Depth=2
	s_or_b32 exec_lo, exec_lo, s40
	s_and_b32 s13, s13, exec_lo
	s_or_saveexec_b32 s29, s29
	v_mov_b32_e32 v10, 0x7f800001
	s_xor_b32 exec_lo, exec_lo, s29
	s_cbranch_execnz .LBB2_4299
.LBB2_4000:                             ;   in Loop: Header=BB2_3820 Depth=2
	s_or_b32 exec_lo, exec_lo, s29
	s_and_saveexec_b32 s29, s13
	s_cbranch_execz .LBB2_4002
.LBB2_4001:                             ;   in Loop: Header=BB2_3820 Depth=2
	v_and_b32_e32 v10, 7, v13
	v_bfe_u32 v116, v13, 3, 4
	v_lshlrev_b32_e32 v117, 24, v13
	v_ffbh_u32_e32 v11, v10
	v_cmp_eq_u32_e32 vcc_lo, 0, v116
	v_min_u32_e32 v11, 32, v11
	v_subrev_nc_u32_e32 v12, 28, v11
	v_sub_nc_u32_e32 v11, 29, v11
	v_lshlrev_b32_e32 v12, v12, v13
	v_cndmask_b32_e32 v11, v116, v11, vcc_lo
	v_and_b32_e32 v12, 7, v12
	v_lshl_add_u32 v11, v11, 23, 0x3b800000
	v_cndmask_b32_e32 v10, v10, v12, vcc_lo
	v_and_b32_e32 v12, 0x80000000, v117
	v_lshlrev_b32_e32 v10, 20, v10
	v_or3_b32 v10, v12, v11, v10
.LBB2_4002:                             ;   in Loop: Header=BB2_3820 Depth=2
	s_or_b32 exec_lo, exec_lo, s29
	v_mul_f32_e32 v10, s28, v10
	v_mov_b32_e32 v116, 0x80
	s_mov_b32 s29, exec_lo
	v_and_b32_e32 v11, 0x7f800000, v10
	v_cmpx_ne_u32_e32 0x7f800000, v11
	s_cbranch_execz .LBB2_4010
; %bb.4003:                             ;   in Loop: Header=BB2_3820 Depth=2
	v_mov_b32_e32 v116, 0
	s_mov_b32 s40, exec_lo
	v_cmpx_ne_u32_e32 0, v10
	s_cbranch_execz .LBB2_4009
; %bb.4004:                             ;   in Loop: Header=BB2_3820 Depth=2
	v_bfe_u32 v11, v10, 23, 8
	v_and_b32_e32 v12, 0x7fffff, v10
	v_sub_nc_u32_e32 v116, 0x78, v11
	v_cmp_gt_u32_e32 vcc_lo, 0x79, v11
	v_or_b32_e32 v117, 0x800000, v12
	v_cndmask_b32_e32 v116, 0, v116, vcc_lo
	v_cmp_eq_u32_e32 vcc_lo, 0, v11
	v_add_nc_u32_e32 v11, 0xffffff89, v11
	v_cndmask_b32_e64 v116, v116, 0x77, vcc_lo
	v_cndmask_b32_e32 v12, v117, v12, vcc_lo
	v_cndmask_b32_e64 v11, v11, 0xffffff8a, vcc_lo
	v_lshl_add_u32 v117, 0x100000, v116, -1
	v_lshrrev_b32_e32 v118, v116, v12
	v_lshlrev_b32_e64 v40, v116, 0x80000
	v_add_nc_u32_e32 v116, v116, v11
	v_and_b32_e32 v12, v117, v12
	v_bfe_u32 v119, v118, 20, 1
	v_cmp_eq_u32_e64 s13, v12, v40
	v_add_nc_u32_e32 v117, -1, v119
	v_cndmask_b32_e64 v12, 0, v117, s13
	v_lshrrev_b32_e32 v117, 23, v118
	s_mov_b32 s13, exec_lo
	v_add_nc_u32_e32 v12, v12, v118
	v_xor_b32_e32 v117, 1, v117
	v_and_b32_e32 v11, 0xfffff, v12
	v_add_nc_u32_e32 v12, v11, v118
                                        ; implicit-def: $vgpr11
	v_cmpx_ne_u32_e64 v116, v117
	s_xor_b32 s13, exec_lo, s13
; %bb.4005:                             ;   in Loop: Header=BB2_3820 Depth=2
	v_cmp_lt_u32_e32 vcc_lo, 0xffffff, v12
	v_sub_nc_u32_e32 v11, v116, v117
	v_cndmask_b32_e64 v116, 0, 1, vcc_lo
	v_add_co_ci_u32_e64 v11, null, 0, v11, vcc_lo
	v_lshrrev_b32_e32 v12, v116, v12
; %bb.4006:                             ;   in Loop: Header=BB2_3820 Depth=2
	s_andn2_saveexec_b32 s13, s13
; %bb.4007:                             ;   in Loop: Header=BB2_3820 Depth=2
	v_bfe_u32 v11, v12, 23, 1
; %bb.4008:                             ;   in Loop: Header=BB2_3820 Depth=2
	s_or_b32 exec_lo, exec_lo, s13
	v_lshrrev_b32_e32 v12, 20, v12
	v_min_i32_e32 v116, 15, v11
	v_cmp_gt_i32_e32 vcc_lo, 16, v11
	v_and_b32_sdwa v10, v10, v83 dst_sel:DWORD dst_unused:UNUSED_PAD src0_sel:BYTE_3 src1_sel:DWORD
	v_lshlrev_b32_e32 v116, 3, v116
	v_cndmask_b32_e32 v12, 7, v12, vcc_lo
	v_and_b32_e32 v116, 0xf8, v116
	v_and_b32_e32 v117, 7, v12
	v_or_b32_e32 v11, v11, v12
	v_or3_b32 v10, v116, v10, v117
	v_cmp_ne_u32_e32 vcc_lo, 0, v11
	v_cndmask_b32_e32 v116, 0, v10, vcc_lo
.LBB2_4009:                             ;   in Loop: Header=BB2_3820 Depth=2
	s_or_b32 exec_lo, exec_lo, s40
.LBB2_4010:                             ;   in Loop: Header=BB2_3820 Depth=2
	s_or_b32 exec_lo, exec_lo, s29
	v_cmp_gt_i16_sdwa s29, v13, v82 src0_sel:BYTE_1 src1_sel:DWORD
	s_mov_b32 s13, 0
	s_and_saveexec_b32 s40, s29
	s_xor_b32 s29, exec_lo, s40
	s_cbranch_execz .LBB2_4300
; %bb.4011:                             ;   in Loop: Header=BB2_3820 Depth=2
	v_cmp_eq_u16_sdwa s41, v13, v83 src0_sel:BYTE_1 src1_sel:DWORD
	s_mov_b32 s13, -1
	s_and_saveexec_b32 s40, s41
; %bb.4012:                             ;   in Loop: Header=BB2_3820 Depth=2
	s_xor_b32 s13, exec_lo, -1
; %bb.4013:                             ;   in Loop: Header=BB2_3820 Depth=2
	s_or_b32 exec_lo, exec_lo, s40
	s_and_b32 s13, s13, exec_lo
	s_or_saveexec_b32 s29, s29
	v_mov_b32_e32 v10, 0x7f800001
	s_xor_b32 exec_lo, exec_lo, s29
	s_cbranch_execnz .LBB2_4301
.LBB2_4014:                             ;   in Loop: Header=BB2_3820 Depth=2
	s_or_b32 exec_lo, exec_lo, s29
	s_and_saveexec_b32 s29, s13
	s_cbranch_execz .LBB2_4016
.LBB2_4015:                             ;   in Loop: Header=BB2_3820 Depth=2
	v_and_b32_sdwa v10, v84, v13 dst_sel:DWORD dst_unused:UNUSED_PAD src0_sel:DWORD src1_sel:BYTE_1
	v_and_b32_e32 v11, 7, v10
	v_bfe_u32 v118, v10, 3, 4
	v_ffbh_u32_e32 v12, v11
	v_cmp_eq_u32_e32 vcc_lo, 0, v118
	v_min_u32_e32 v12, 32, v12
	v_subrev_nc_u32_e32 v117, 28, v12
	v_sub_nc_u32_e32 v12, 29, v12
	v_lshlrev_b32_e32 v10, v117, v10
	v_lshlrev_b32_sdwa v117, v85, v13 dst_sel:DWORD dst_unused:UNUSED_PAD src0_sel:DWORD src1_sel:BYTE_1
	v_cndmask_b32_e32 v12, v118, v12, vcc_lo
	v_and_b32_e32 v10, 7, v10
	v_lshl_add_u32 v12, v12, 23, 0x3b800000
	v_cndmask_b32_e32 v10, v11, v10, vcc_lo
	v_and_b32_e32 v11, 0x80000000, v117
	v_lshlrev_b32_e32 v10, 20, v10
	v_or3_b32 v10, v11, v12, v10
.LBB2_4016:                             ;   in Loop: Header=BB2_3820 Depth=2
	s_or_b32 exec_lo, exec_lo, s29
	v_mul_f32_e32 v10, s28, v10
	v_mov_b32_e32 v117, 0x8000
	s_mov_b32 s29, exec_lo
	v_and_b32_e32 v11, 0x7f800000, v10
	v_cmpx_ne_u32_e32 0x7f800000, v11
	s_cbranch_execz .LBB2_4024
; %bb.4017:                             ;   in Loop: Header=BB2_3820 Depth=2
	v_mov_b32_e32 v117, 0
	s_mov_b32 s40, exec_lo
	v_cmpx_ne_u32_e32 0, v10
	s_cbranch_execz .LBB2_4023
; %bb.4018:                             ;   in Loop: Header=BB2_3820 Depth=2
	v_bfe_u32 v11, v10, 23, 8
	v_and_b32_e32 v12, 0x7fffff, v10
	v_sub_nc_u32_e32 v117, 0x78, v11
	v_cmp_gt_u32_e32 vcc_lo, 0x79, v11
	v_or_b32_e32 v118, 0x800000, v12
	v_cndmask_b32_e32 v117, 0, v117, vcc_lo
	v_cmp_eq_u32_e32 vcc_lo, 0, v11
	v_add_nc_u32_e32 v11, 0xffffff89, v11
	v_cndmask_b32_e64 v117, v117, 0x77, vcc_lo
	v_cndmask_b32_e32 v12, v118, v12, vcc_lo
	v_cndmask_b32_e64 v11, v11, 0xffffff8a, vcc_lo
	v_lshl_add_u32 v118, 0x100000, v117, -1
	v_lshrrev_b32_e32 v119, v117, v12
	v_lshlrev_b32_e64 v41, v117, 0x80000
	v_add_nc_u32_e32 v117, v117, v11
	v_and_b32_e32 v12, v118, v12
	v_bfe_u32 v40, v119, 20, 1
	v_cmp_eq_u32_e64 s13, v12, v41
	v_add_nc_u32_e32 v118, -1, v40
	v_cndmask_b32_e64 v12, 0, v118, s13
	v_lshrrev_b32_e32 v118, 23, v119
	s_mov_b32 s13, exec_lo
	v_add_nc_u32_e32 v12, v12, v119
	v_xor_b32_e32 v118, 1, v118
	v_and_b32_e32 v11, 0xfffff, v12
	v_add_nc_u32_e32 v12, v11, v119
                                        ; implicit-def: $vgpr11
	v_cmpx_ne_u32_e64 v117, v118
	s_xor_b32 s13, exec_lo, s13
; %bb.4019:                             ;   in Loop: Header=BB2_3820 Depth=2
	v_cmp_lt_u32_e32 vcc_lo, 0xffffff, v12
	v_sub_nc_u32_e32 v11, v117, v118
	v_cndmask_b32_e64 v117, 0, 1, vcc_lo
	v_add_co_ci_u32_e64 v11, null, 0, v11, vcc_lo
	v_lshrrev_b32_e32 v12, v117, v12
; %bb.4020:                             ;   in Loop: Header=BB2_3820 Depth=2
	s_andn2_saveexec_b32 s13, s13
; %bb.4021:                             ;   in Loop: Header=BB2_3820 Depth=2
	v_bfe_u32 v11, v12, 23, 1
; %bb.4022:                             ;   in Loop: Header=BB2_3820 Depth=2
	s_or_b32 exec_lo, exec_lo, s13
	v_lshrrev_b32_e32 v12, 20, v12
	v_min_i32_e32 v117, 15, v11
	v_cmp_gt_i32_e32 vcc_lo, 16, v11
	v_and_b32_sdwa v10, v10, v83 dst_sel:DWORD dst_unused:UNUSED_PAD src0_sel:BYTE_3 src1_sel:DWORD
	v_lshlrev_b32_e32 v117, 3, v117
	v_cndmask_b32_e32 v12, 7, v12, vcc_lo
	v_and_b32_e32 v117, 0xf8, v117
	v_and_b32_e32 v118, 7, v12
	v_or_b32_e32 v11, v11, v12
	v_or3_b32 v10, v10, v117, v118
	v_cmp_ne_u32_e32 vcc_lo, 0, v11
	v_lshlrev_b32_e32 v10, 8, v10
	v_cndmask_b32_e32 v117, 0, v10, vcc_lo
.LBB2_4023:                             ;   in Loop: Header=BB2_3820 Depth=2
	s_or_b32 exec_lo, exec_lo, s40
.LBB2_4024:                             ;   in Loop: Header=BB2_3820 Depth=2
	s_or_b32 exec_lo, exec_lo, s29
	v_and_b32_sdwa v11, v13, v86 dst_sel:DWORD dst_unused:UNUSED_PAD src0_sel:WORD_1 src1_sel:DWORD
	s_mov_b32 s13, 0
	s_mov_b32 s29, exec_lo
	v_cmpx_lt_i16_e32 0x7f, v11
	s_xor_b32 s29, exec_lo, s29
	s_cbranch_execz .LBB2_4302
; %bb.4025:                             ;   in Loop: Header=BB2_3820 Depth=2
	s_mov_b32 s13, -1
	s_mov_b32 s40, exec_lo
	v_cmpx_eq_u16_e32 0x80, v11
; %bb.4026:                             ;   in Loop: Header=BB2_3820 Depth=2
	s_xor_b32 s13, exec_lo, -1
; %bb.4027:                             ;   in Loop: Header=BB2_3820 Depth=2
	s_or_b32 exec_lo, exec_lo, s40
	s_and_b32 s13, s13, exec_lo
                                        ; implicit-def: $vgpr11
	s_or_saveexec_b32 s29, s29
	v_mov_b32_e32 v10, 0x7f800001
	s_xor_b32 exec_lo, exec_lo, s29
	s_cbranch_execnz .LBB2_4303
.LBB2_4028:                             ;   in Loop: Header=BB2_3820 Depth=2
	s_or_b32 exec_lo, exec_lo, s29
	s_and_saveexec_b32 s29, s13
	s_cbranch_execz .LBB2_4030
.LBB2_4029:                             ;   in Loop: Header=BB2_3820 Depth=2
	v_bfe_u32 v10, v13, 16, 3
	v_bfe_u32 v118, v13, 19, 4
	v_lshlrev_b32_e32 v119, 8, v13
	v_ffbh_u32_e32 v11, v10
	v_cmp_eq_u32_e32 vcc_lo, 0, v118
	v_min_u32_e32 v11, 32, v11
	v_subrev_nc_u32_e32 v12, 28, v11
	v_sub_nc_u32_e32 v11, 29, v11
	v_lshlrev_b32_sdwa v12, v12, v13 dst_sel:DWORD dst_unused:UNUSED_PAD src0_sel:DWORD src1_sel:WORD_1
	v_cndmask_b32_e32 v11, v118, v11, vcc_lo
	v_and_b32_e32 v12, 7, v12
	v_lshl_add_u32 v11, v11, 23, 0x3b800000
	v_cndmask_b32_e32 v10, v10, v12, vcc_lo
	v_and_b32_e32 v12, 0x80000000, v119
	v_lshlrev_b32_e32 v10, 20, v10
	v_or3_b32 v10, v12, v11, v10
.LBB2_4030:                             ;   in Loop: Header=BB2_3820 Depth=2
	s_or_b32 exec_lo, exec_lo, s29
	v_mul_f32_e32 v10, s28, v10
	v_mov_b32_e32 v118, 0x80
	s_mov_b32 s29, exec_lo
	v_and_b32_e32 v11, 0x7f800000, v10
	v_cmpx_ne_u32_e32 0x7f800000, v11
	s_cbranch_execz .LBB2_4038
; %bb.4031:                             ;   in Loop: Header=BB2_3820 Depth=2
	v_mov_b32_e32 v118, 0
	s_mov_b32 s40, exec_lo
	v_cmpx_ne_u32_e32 0, v10
	s_cbranch_execz .LBB2_4037
; %bb.4032:                             ;   in Loop: Header=BB2_3820 Depth=2
	v_bfe_u32 v11, v10, 23, 8
	v_and_b32_e32 v12, 0x7fffff, v10
	v_sub_nc_u32_e32 v118, 0x78, v11
	v_cmp_gt_u32_e32 vcc_lo, 0x79, v11
	v_or_b32_e32 v119, 0x800000, v12
	v_cndmask_b32_e32 v118, 0, v118, vcc_lo
	v_cmp_eq_u32_e32 vcc_lo, 0, v11
	v_add_nc_u32_e32 v11, 0xffffff89, v11
	v_cndmask_b32_e64 v118, v118, 0x77, vcc_lo
	v_cndmask_b32_e32 v12, v119, v12, vcc_lo
	v_cndmask_b32_e64 v11, v11, 0xffffff8a, vcc_lo
	v_lshl_add_u32 v119, 0x100000, v118, -1
	v_lshrrev_b32_e32 v40, v118, v12
	v_lshlrev_b32_e64 v42, v118, 0x80000
	v_add_nc_u32_e32 v118, v118, v11
	v_and_b32_e32 v12, v119, v12
	v_bfe_u32 v41, v40, 20, 1
	v_cmp_eq_u32_e64 s13, v12, v42
	v_add_nc_u32_e32 v119, -1, v41
	v_cndmask_b32_e64 v12, 0, v119, s13
	v_lshrrev_b32_e32 v119, 23, v40
	s_mov_b32 s13, exec_lo
	v_add_nc_u32_e32 v12, v12, v40
	v_xor_b32_e32 v119, 1, v119
	v_and_b32_e32 v11, 0xfffff, v12
	v_add_nc_u32_e32 v12, v11, v40
                                        ; implicit-def: $vgpr11
	v_cmpx_ne_u32_e64 v118, v119
	s_xor_b32 s13, exec_lo, s13
; %bb.4033:                             ;   in Loop: Header=BB2_3820 Depth=2
	v_cmp_lt_u32_e32 vcc_lo, 0xffffff, v12
	v_sub_nc_u32_e32 v11, v118, v119
	v_cndmask_b32_e64 v118, 0, 1, vcc_lo
	v_add_co_ci_u32_e64 v11, null, 0, v11, vcc_lo
	v_lshrrev_b32_e32 v12, v118, v12
; %bb.4034:                             ;   in Loop: Header=BB2_3820 Depth=2
	s_andn2_saveexec_b32 s13, s13
; %bb.4035:                             ;   in Loop: Header=BB2_3820 Depth=2
	v_bfe_u32 v11, v12, 23, 1
; %bb.4036:                             ;   in Loop: Header=BB2_3820 Depth=2
	s_or_b32 exec_lo, exec_lo, s13
	v_lshrrev_b32_e32 v12, 20, v12
	v_min_i32_e32 v118, 15, v11
	v_cmp_gt_i32_e32 vcc_lo, 16, v11
	v_and_b32_sdwa v10, v10, v83 dst_sel:DWORD dst_unused:UNUSED_PAD src0_sel:BYTE_3 src1_sel:DWORD
	v_lshlrev_b32_e32 v118, 3, v118
	v_cndmask_b32_e32 v12, 7, v12, vcc_lo
	v_and_b32_e32 v118, 0xf8, v118
	v_and_b32_e32 v119, 7, v12
	v_or_b32_e32 v11, v11, v12
	v_or3_b32 v10, v118, v10, v119
	v_cmp_ne_u32_e32 vcc_lo, 0, v11
	v_cndmask_b32_e32 v118, 0, v10, vcc_lo
.LBB2_4037:                             ;   in Loop: Header=BB2_3820 Depth=2
	s_or_b32 exec_lo, exec_lo, s40
.LBB2_4038:                             ;   in Loop: Header=BB2_3820 Depth=2
	s_or_b32 exec_lo, exec_lo, s29
	v_cmp_gt_i16_sdwa s29, v13, v82 src0_sel:BYTE_3 src1_sel:DWORD
	s_mov_b32 s13, 0
	s_and_saveexec_b32 s40, s29
	s_xor_b32 s29, exec_lo, s40
	s_cbranch_execz .LBB2_4304
; %bb.4039:                             ;   in Loop: Header=BB2_3820 Depth=2
	v_cmp_eq_u16_sdwa s41, v13, v83 src0_sel:BYTE_3 src1_sel:DWORD
	s_mov_b32 s13, -1
	s_and_saveexec_b32 s40, s41
; %bb.4040:                             ;   in Loop: Header=BB2_3820 Depth=2
	s_xor_b32 s13, exec_lo, -1
; %bb.4041:                             ;   in Loop: Header=BB2_3820 Depth=2
	s_or_b32 exec_lo, exec_lo, s40
	s_and_b32 s13, s13, exec_lo
	s_or_saveexec_b32 s29, s29
	v_mov_b32_e32 v10, 0x7f800001
	s_xor_b32 exec_lo, exec_lo, s29
	s_cbranch_execnz .LBB2_4305
.LBB2_4042:                             ;   in Loop: Header=BB2_3820 Depth=2
	s_or_b32 exec_lo, exec_lo, s29
	s_and_saveexec_b32 s29, s13
	s_cbranch_execz .LBB2_4044
.LBB2_4043:                             ;   in Loop: Header=BB2_3820 Depth=2
	v_bfe_u32 v10, v13, 24, 3
	v_bfe_u32 v119, v13, 27, 4
	v_ffbh_u32_e32 v11, v10
	v_cmp_eq_u32_e32 vcc_lo, 0, v119
	v_min_u32_e32 v11, 32, v11
	v_subrev_nc_u32_e32 v12, 28, v11
	v_sub_nc_u32_e32 v11, 29, v11
	v_lshlrev_b32_sdwa v12, v12, v13 dst_sel:DWORD dst_unused:UNUSED_PAD src0_sel:DWORD src1_sel:BYTE_3
	v_cndmask_b32_e32 v11, v119, v11, vcc_lo
	v_and_b32_e32 v12, 7, v12
	v_lshl_add_u32 v11, v11, 23, 0x3b800000
	v_cndmask_b32_e32 v10, v10, v12, vcc_lo
	v_and_b32_e32 v12, 0x80000000, v13
	v_lshlrev_b32_e32 v10, 20, v10
	v_or3_b32 v10, v12, v11, v10
.LBB2_4044:                             ;   in Loop: Header=BB2_3820 Depth=2
	s_or_b32 exec_lo, exec_lo, s29
	v_mul_f32_e32 v10, s28, v10
	v_mov_b32_e32 v119, 0x8000
	s_mov_b32 s29, exec_lo
	v_and_b32_e32 v11, 0x7f800000, v10
	v_cmpx_ne_u32_e32 0x7f800000, v11
	s_cbranch_execz .LBB2_4052
; %bb.4045:                             ;   in Loop: Header=BB2_3820 Depth=2
	v_mov_b32_e32 v119, 0
	s_mov_b32 s40, exec_lo
	v_cmpx_ne_u32_e32 0, v10
	s_cbranch_execz .LBB2_4051
; %bb.4046:                             ;   in Loop: Header=BB2_3820 Depth=2
	v_bfe_u32 v11, v10, 23, 8
	v_and_b32_e32 v12, 0x7fffff, v10
	v_sub_nc_u32_e32 v13, 0x78, v11
	v_cmp_gt_u32_e32 vcc_lo, 0x79, v11
	v_or_b32_e32 v119, 0x800000, v12
	v_cndmask_b32_e32 v13, 0, v13, vcc_lo
	v_cmp_eq_u32_e32 vcc_lo, 0, v11
	v_add_nc_u32_e32 v11, 0xffffff89, v11
	v_cndmask_b32_e64 v13, v13, 0x77, vcc_lo
	v_cndmask_b32_e32 v12, v119, v12, vcc_lo
	v_cndmask_b32_e64 v11, v11, 0xffffff8a, vcc_lo
	v_lshl_add_u32 v119, 0x100000, v13, -1
	v_lshrrev_b32_e32 v40, v13, v12
	v_lshlrev_b32_e64 v42, v13, 0x80000
	v_add_nc_u32_e32 v13, v13, v11
	v_and_b32_e32 v12, v119, v12
	v_bfe_u32 v41, v40, 20, 1
	v_cmp_eq_u32_e64 s13, v12, v42
	v_add_nc_u32_e32 v119, -1, v41
	v_cndmask_b32_e64 v12, 0, v119, s13
	v_lshrrev_b32_e32 v119, 23, v40
	s_mov_b32 s13, exec_lo
	v_add_nc_u32_e32 v12, v12, v40
	v_xor_b32_e32 v119, 1, v119
	v_and_b32_e32 v11, 0xfffff, v12
	v_add_nc_u32_e32 v12, v11, v40
                                        ; implicit-def: $vgpr11
	v_cmpx_ne_u32_e64 v13, v119
	s_xor_b32 s13, exec_lo, s13
; %bb.4047:                             ;   in Loop: Header=BB2_3820 Depth=2
	v_cmp_lt_u32_e32 vcc_lo, 0xffffff, v12
	v_sub_nc_u32_e32 v11, v13, v119
	v_cndmask_b32_e64 v13, 0, 1, vcc_lo
	v_add_co_ci_u32_e64 v11, null, 0, v11, vcc_lo
	v_lshrrev_b32_e32 v12, v13, v12
; %bb.4048:                             ;   in Loop: Header=BB2_3820 Depth=2
	s_andn2_saveexec_b32 s13, s13
; %bb.4049:                             ;   in Loop: Header=BB2_3820 Depth=2
	v_bfe_u32 v11, v12, 23, 1
; %bb.4050:                             ;   in Loop: Header=BB2_3820 Depth=2
	s_or_b32 exec_lo, exec_lo, s13
	v_lshrrev_b32_e32 v12, 20, v12
	v_min_i32_e32 v13, 15, v11
	v_cmp_gt_i32_e32 vcc_lo, 16, v11
	v_and_b32_sdwa v10, v10, v83 dst_sel:DWORD dst_unused:UNUSED_PAD src0_sel:BYTE_3 src1_sel:DWORD
	v_lshlrev_b32_e32 v13, 3, v13
	v_cndmask_b32_e32 v12, 7, v12, vcc_lo
	v_and_b32_e32 v13, 0xf8, v13
	v_and_b32_e32 v119, 7, v12
	v_or_b32_e32 v11, v11, v12
	v_or3_b32 v10, v10, v13, v119
	v_cmp_ne_u32_e32 vcc_lo, 0, v11
	v_lshlrev_b32_e32 v10, 8, v10
	v_cndmask_b32_e32 v119, 0, v10, vcc_lo
.LBB2_4051:                             ;   in Loop: Header=BB2_3820 Depth=2
	s_or_b32 exec_lo, exec_lo, s40
.LBB2_4052:                             ;   in Loop: Header=BB2_3820 Depth=2
	s_or_b32 exec_lo, exec_lo, s29
	global_load_dwordx4 v[10:13], v[54:55], off offset:512 slc
	s_mov_b32 s13, 0
	s_waitcnt vmcnt(0)
	v_cmp_gt_i16_sdwa s29, v10, v82 src0_sel:BYTE_0 src1_sel:DWORD
	s_and_saveexec_b32 s40, s29
	s_xor_b32 s29, exec_lo, s40
	s_cbranch_execz .LBB2_4306
; %bb.4053:                             ;   in Loop: Header=BB2_3820 Depth=2
	v_cmp_eq_u16_sdwa s41, v10, v83 src0_sel:BYTE_0 src1_sel:DWORD
	s_mov_b32 s13, -1
	s_and_saveexec_b32 s40, s41
; %bb.4054:                             ;   in Loop: Header=BB2_3820 Depth=2
	s_xor_b32 s13, exec_lo, -1
; %bb.4055:                             ;   in Loop: Header=BB2_3820 Depth=2
	s_or_b32 exec_lo, exec_lo, s40
	s_and_b32 s13, s13, exec_lo
	s_or_saveexec_b32 s29, s29
	v_mov_b32_e32 v54, 0x7f800001
	s_xor_b32 exec_lo, exec_lo, s29
	s_cbranch_execnz .LBB2_4307
.LBB2_4056:                             ;   in Loop: Header=BB2_3820 Depth=2
	s_or_b32 exec_lo, exec_lo, s29
	s_and_saveexec_b32 s29, s13
	s_cbranch_execz .LBB2_4058
.LBB2_4057:                             ;   in Loop: Header=BB2_3820 Depth=2
	v_and_b32_e32 v54, 7, v10
	v_bfe_u32 v41, v10, 3, 4
	v_lshlrev_b32_e32 v42, 24, v10
	v_ffbh_u32_e32 v55, v54
	v_cmp_eq_u32_e32 vcc_lo, 0, v41
	v_min_u32_e32 v55, 32, v55
	v_subrev_nc_u32_e32 v40, 28, v55
	v_sub_nc_u32_e32 v55, 29, v55
	v_lshlrev_b32_e32 v40, v40, v10
	v_cndmask_b32_e32 v55, v41, v55, vcc_lo
	v_and_b32_e32 v40, 7, v40
	v_lshl_add_u32 v55, v55, 23, 0x3b800000
	v_cndmask_b32_e32 v54, v54, v40, vcc_lo
	v_and_b32_e32 v40, 0x80000000, v42
	v_lshlrev_b32_e32 v54, 20, v54
	v_or3_b32 v54, v40, v55, v54
.LBB2_4058:                             ;   in Loop: Header=BB2_3820 Depth=2
	s_or_b32 exec_lo, exec_lo, s29
	v_mul_f32_e32 v55, s28, v54
	v_and_b32_e32 v54, 0x7f800000, v55
	v_cmp_ne_u32_e32 vcc_lo, 0x7f800000, v54
	v_mov_b32_e32 v54, 0x80
	s_and_saveexec_b32 s29, vcc_lo
	s_cbranch_execz .LBB2_4066
; %bb.4059:                             ;   in Loop: Header=BB2_3820 Depth=2
	v_mov_b32_e32 v54, 0
	s_mov_b32 s40, exec_lo
	v_cmpx_ne_u32_e32 0, v55
	s_cbranch_execz .LBB2_4065
; %bb.4060:                             ;   in Loop: Header=BB2_3820 Depth=2
	v_bfe_u32 v54, v55, 23, 8
	v_and_b32_e32 v40, 0x7fffff, v55
	v_sub_nc_u32_e32 v41, 0x78, v54
	v_cmp_gt_u32_e32 vcc_lo, 0x79, v54
	v_or_b32_e32 v42, 0x800000, v40
	v_cndmask_b32_e32 v41, 0, v41, vcc_lo
	v_cmp_eq_u32_e32 vcc_lo, 0, v54
	v_add_nc_u32_e32 v54, 0xffffff89, v54
	v_cndmask_b32_e64 v41, v41, 0x77, vcc_lo
	v_cndmask_b32_e32 v40, v42, v40, vcc_lo
	v_cndmask_b32_e64 v54, v54, 0xffffff8a, vcc_lo
	v_lshl_add_u32 v42, 0x100000, v41, -1
	v_lshrrev_b32_e32 v43, v41, v40
	v_lshlrev_b32_e64 v45, v41, 0x80000
	v_add_nc_u32_e32 v41, v41, v54
	v_and_b32_e32 v40, v42, v40
	v_bfe_u32 v44, v43, 20, 1
	v_cmp_eq_u32_e64 s13, v40, v45
	v_add_nc_u32_e32 v42, -1, v44
	v_cndmask_b32_e64 v40, 0, v42, s13
	v_lshrrev_b32_e32 v42, 23, v43
	s_mov_b32 s13, exec_lo
	v_add_nc_u32_e32 v40, v40, v43
	v_xor_b32_e32 v42, 1, v42
	v_and_b32_e32 v54, 0xfffff, v40
	v_add_nc_u32_e32 v40, v54, v43
                                        ; implicit-def: $vgpr54
	v_cmpx_ne_u32_e64 v41, v42
	s_xor_b32 s13, exec_lo, s13
; %bb.4061:                             ;   in Loop: Header=BB2_3820 Depth=2
	v_cmp_lt_u32_e32 vcc_lo, 0xffffff, v40
	v_sub_nc_u32_e32 v54, v41, v42
	v_cndmask_b32_e64 v41, 0, 1, vcc_lo
	v_add_co_ci_u32_e64 v54, null, 0, v54, vcc_lo
	v_lshrrev_b32_e32 v40, v41, v40
; %bb.4062:                             ;   in Loop: Header=BB2_3820 Depth=2
	s_andn2_saveexec_b32 s13, s13
; %bb.4063:                             ;   in Loop: Header=BB2_3820 Depth=2
	v_bfe_u32 v54, v40, 23, 1
; %bb.4064:                             ;   in Loop: Header=BB2_3820 Depth=2
	s_or_b32 exec_lo, exec_lo, s13
	v_lshrrev_b32_e32 v40, 20, v40
	v_min_i32_e32 v41, 15, v54
	v_cmp_gt_i32_e32 vcc_lo, 16, v54
	v_and_b32_sdwa v55, v55, v83 dst_sel:DWORD dst_unused:UNUSED_PAD src0_sel:BYTE_3 src1_sel:DWORD
	v_lshlrev_b32_e32 v41, 3, v41
	v_cndmask_b32_e32 v40, 7, v40, vcc_lo
	v_and_b32_e32 v41, 0xf8, v41
	v_and_b32_e32 v42, 7, v40
	v_or_b32_e32 v54, v54, v40
	v_or3_b32 v55, v41, v55, v42
	v_cmp_ne_u32_e32 vcc_lo, 0, v54
	v_cndmask_b32_e32 v54, 0, v55, vcc_lo
.LBB2_4065:                             ;   in Loop: Header=BB2_3820 Depth=2
	s_or_b32 exec_lo, exec_lo, s40
.LBB2_4066:                             ;   in Loop: Header=BB2_3820 Depth=2
	s_or_b32 exec_lo, exec_lo, s29
	v_cmp_gt_i16_sdwa s29, v10, v82 src0_sel:BYTE_1 src1_sel:DWORD
	s_mov_b32 s13, 0
	s_and_saveexec_b32 s40, s29
	s_xor_b32 s29, exec_lo, s40
	s_cbranch_execz .LBB2_4308
; %bb.4067:                             ;   in Loop: Header=BB2_3820 Depth=2
	v_cmp_eq_u16_sdwa s41, v10, v83 src0_sel:BYTE_1 src1_sel:DWORD
	s_mov_b32 s13, -1
	s_and_saveexec_b32 s40, s41
; %bb.4068:                             ;   in Loop: Header=BB2_3820 Depth=2
	s_xor_b32 s13, exec_lo, -1
; %bb.4069:                             ;   in Loop: Header=BB2_3820 Depth=2
	s_or_b32 exec_lo, exec_lo, s40
	s_and_b32 s13, s13, exec_lo
	s_or_saveexec_b32 s29, s29
	v_mov_b32_e32 v55, 0x7f800001
	s_xor_b32 exec_lo, exec_lo, s29
	s_cbranch_execnz .LBB2_4309
.LBB2_4070:                             ;   in Loop: Header=BB2_3820 Depth=2
	s_or_b32 exec_lo, exec_lo, s29
	s_and_saveexec_b32 s29, s13
	s_cbranch_execz .LBB2_4072
.LBB2_4071:                             ;   in Loop: Header=BB2_3820 Depth=2
	v_and_b32_sdwa v55, v84, v10 dst_sel:DWORD dst_unused:UNUSED_PAD src0_sel:DWORD src1_sel:BYTE_1
	v_and_b32_e32 v40, 7, v55
	v_bfe_u32 v43, v55, 3, 4
	v_ffbh_u32_e32 v41, v40
	v_cmp_eq_u32_e32 vcc_lo, 0, v43
	v_min_u32_e32 v41, 32, v41
	v_subrev_nc_u32_e32 v42, 28, v41
	v_sub_nc_u32_e32 v41, 29, v41
	v_lshlrev_b32_e32 v55, v42, v55
	v_lshlrev_b32_sdwa v42, v85, v10 dst_sel:DWORD dst_unused:UNUSED_PAD src0_sel:DWORD src1_sel:BYTE_1
	v_cndmask_b32_e32 v41, v43, v41, vcc_lo
	v_and_b32_e32 v55, 7, v55
	v_lshl_add_u32 v41, v41, 23, 0x3b800000
	v_cndmask_b32_e32 v55, v40, v55, vcc_lo
	v_and_b32_e32 v40, 0x80000000, v42
	v_lshlrev_b32_e32 v55, 20, v55
	v_or3_b32 v55, v40, v41, v55
.LBB2_4072:                             ;   in Loop: Header=BB2_3820 Depth=2
	s_or_b32 exec_lo, exec_lo, s29
	v_mul_f32_e32 v40, s28, v55
	v_and_b32_e32 v55, 0x7f800000, v40
	v_cmp_ne_u32_e32 vcc_lo, 0x7f800000, v55
	v_mov_b32_e32 v55, 0x8000
	s_and_saveexec_b32 s29, vcc_lo
	s_cbranch_execz .LBB2_4080
; %bb.4073:                             ;   in Loop: Header=BB2_3820 Depth=2
	v_mov_b32_e32 v55, 0
	s_mov_b32 s40, exec_lo
	v_cmpx_ne_u32_e32 0, v40
	s_cbranch_execz .LBB2_4079
; %bb.4074:                             ;   in Loop: Header=BB2_3820 Depth=2
	v_bfe_u32 v55, v40, 23, 8
	v_and_b32_e32 v41, 0x7fffff, v40
	v_sub_nc_u32_e32 v42, 0x78, v55
	v_cmp_gt_u32_e32 vcc_lo, 0x79, v55
	v_or_b32_e32 v43, 0x800000, v41
	v_cndmask_b32_e32 v42, 0, v42, vcc_lo
	v_cmp_eq_u32_e32 vcc_lo, 0, v55
	v_add_nc_u32_e32 v55, 0xffffff89, v55
	v_cndmask_b32_e64 v42, v42, 0x77, vcc_lo
	v_cndmask_b32_e32 v41, v43, v41, vcc_lo
	v_cndmask_b32_e64 v55, v55, 0xffffff8a, vcc_lo
	v_lshl_add_u32 v43, 0x100000, v42, -1
	v_lshrrev_b32_e32 v44, v42, v41
	v_lshlrev_b32_e64 v46, v42, 0x80000
	v_add_nc_u32_e32 v42, v42, v55
	v_and_b32_e32 v41, v43, v41
	v_bfe_u32 v45, v44, 20, 1
	v_cmp_eq_u32_e64 s13, v41, v46
	v_add_nc_u32_e32 v43, -1, v45
	v_cndmask_b32_e64 v41, 0, v43, s13
	v_lshrrev_b32_e32 v43, 23, v44
	s_mov_b32 s13, exec_lo
	v_add_nc_u32_e32 v41, v41, v44
	v_xor_b32_e32 v43, 1, v43
	v_and_b32_e32 v55, 0xfffff, v41
	v_add_nc_u32_e32 v41, v55, v44
                                        ; implicit-def: $vgpr55
	v_cmpx_ne_u32_e64 v42, v43
	s_xor_b32 s13, exec_lo, s13
; %bb.4075:                             ;   in Loop: Header=BB2_3820 Depth=2
	v_cmp_lt_u32_e32 vcc_lo, 0xffffff, v41
	v_sub_nc_u32_e32 v55, v42, v43
	v_cndmask_b32_e64 v42, 0, 1, vcc_lo
	v_add_co_ci_u32_e64 v55, null, 0, v55, vcc_lo
	v_lshrrev_b32_e32 v41, v42, v41
; %bb.4076:                             ;   in Loop: Header=BB2_3820 Depth=2
	s_andn2_saveexec_b32 s13, s13
; %bb.4077:                             ;   in Loop: Header=BB2_3820 Depth=2
	v_bfe_u32 v55, v41, 23, 1
; %bb.4078:                             ;   in Loop: Header=BB2_3820 Depth=2
	s_or_b32 exec_lo, exec_lo, s13
	v_lshrrev_b32_e32 v41, 20, v41
	v_min_i32_e32 v42, 15, v55
	v_cmp_gt_i32_e32 vcc_lo, 16, v55
	v_and_b32_sdwa v40, v40, v83 dst_sel:DWORD dst_unused:UNUSED_PAD src0_sel:BYTE_3 src1_sel:DWORD
	v_lshlrev_b32_e32 v42, 3, v42
	v_cndmask_b32_e32 v41, 7, v41, vcc_lo
	v_and_b32_e32 v42, 0xf8, v42
	v_and_b32_e32 v43, 7, v41
	v_or_b32_e32 v55, v55, v41
	v_or3_b32 v40, v40, v42, v43
	v_cmp_ne_u32_e32 vcc_lo, 0, v55
	v_lshlrev_b32_e32 v40, 8, v40
	v_cndmask_b32_e32 v55, 0, v40, vcc_lo
.LBB2_4079:                             ;   in Loop: Header=BB2_3820 Depth=2
	s_or_b32 exec_lo, exec_lo, s40
.LBB2_4080:                             ;   in Loop: Header=BB2_3820 Depth=2
	s_or_b32 exec_lo, exec_lo, s29
	v_and_b32_sdwa v41, v10, v86 dst_sel:DWORD dst_unused:UNUSED_PAD src0_sel:WORD_1 src1_sel:DWORD
	s_mov_b32 s13, 0
	s_mov_b32 s29, exec_lo
	v_cmpx_lt_i16_e32 0x7f, v41
	s_xor_b32 s29, exec_lo, s29
	s_cbranch_execz .LBB2_4310
; %bb.4081:                             ;   in Loop: Header=BB2_3820 Depth=2
	s_mov_b32 s13, -1
	s_mov_b32 s40, exec_lo
	v_cmpx_eq_u16_e32 0x80, v41
; %bb.4082:                             ;   in Loop: Header=BB2_3820 Depth=2
	s_xor_b32 s13, exec_lo, -1
; %bb.4083:                             ;   in Loop: Header=BB2_3820 Depth=2
	s_or_b32 exec_lo, exec_lo, s40
	s_and_b32 s13, s13, exec_lo
                                        ; implicit-def: $vgpr41
	s_or_saveexec_b32 s29, s29
	v_mov_b32_e32 v40, 0x7f800001
	s_xor_b32 exec_lo, exec_lo, s29
	s_cbranch_execnz .LBB2_4311
.LBB2_4084:                             ;   in Loop: Header=BB2_3820 Depth=2
	s_or_b32 exec_lo, exec_lo, s29
	s_and_saveexec_b32 s29, s13
	s_cbranch_execz .LBB2_4086
.LBB2_4085:                             ;   in Loop: Header=BB2_3820 Depth=2
	v_bfe_u32 v40, v10, 16, 3
	v_bfe_u32 v43, v10, 19, 4
	v_lshlrev_b32_e32 v44, 8, v10
	v_ffbh_u32_e32 v41, v40
	v_cmp_eq_u32_e32 vcc_lo, 0, v43
	v_min_u32_e32 v41, 32, v41
	v_subrev_nc_u32_e32 v42, 28, v41
	v_sub_nc_u32_e32 v41, 29, v41
	v_lshlrev_b32_sdwa v42, v42, v10 dst_sel:DWORD dst_unused:UNUSED_PAD src0_sel:DWORD src1_sel:WORD_1
	v_cndmask_b32_e32 v41, v43, v41, vcc_lo
	v_and_b32_e32 v42, 7, v42
	v_lshl_add_u32 v41, v41, 23, 0x3b800000
	v_cndmask_b32_e32 v40, v40, v42, vcc_lo
	v_and_b32_e32 v42, 0x80000000, v44
	v_lshlrev_b32_e32 v40, 20, v40
	v_or3_b32 v40, v42, v41, v40
.LBB2_4086:                             ;   in Loop: Header=BB2_3820 Depth=2
	s_or_b32 exec_lo, exec_lo, s29
	v_mul_f32_e32 v41, s28, v40
	v_and_b32_e32 v40, 0x7f800000, v41
	v_cmp_ne_u32_e32 vcc_lo, 0x7f800000, v40
	v_mov_b32_e32 v40, 0x80
	s_and_saveexec_b32 s29, vcc_lo
	s_cbranch_execz .LBB2_4094
; %bb.4087:                             ;   in Loop: Header=BB2_3820 Depth=2
	v_mov_b32_e32 v40, 0
	s_mov_b32 s40, exec_lo
	v_cmpx_ne_u32_e32 0, v41
	s_cbranch_execz .LBB2_4093
; %bb.4088:                             ;   in Loop: Header=BB2_3820 Depth=2
	v_bfe_u32 v40, v41, 23, 8
	v_and_b32_e32 v42, 0x7fffff, v41
	v_sub_nc_u32_e32 v43, 0x78, v40
	v_cmp_gt_u32_e32 vcc_lo, 0x79, v40
	v_or_b32_e32 v44, 0x800000, v42
	v_cndmask_b32_e32 v43, 0, v43, vcc_lo
	v_cmp_eq_u32_e32 vcc_lo, 0, v40
	v_add_nc_u32_e32 v40, 0xffffff89, v40
	v_cndmask_b32_e64 v43, v43, 0x77, vcc_lo
	v_cndmask_b32_e32 v42, v44, v42, vcc_lo
	v_cndmask_b32_e64 v40, v40, 0xffffff8a, vcc_lo
	v_lshl_add_u32 v44, 0x100000, v43, -1
	v_lshrrev_b32_e32 v45, v43, v42
	v_lshlrev_b32_e64 v47, v43, 0x80000
	v_add_nc_u32_e32 v43, v43, v40
	v_and_b32_e32 v42, v44, v42
	v_bfe_u32 v46, v45, 20, 1
	v_cmp_eq_u32_e64 s13, v42, v47
	v_add_nc_u32_e32 v44, -1, v46
	v_cndmask_b32_e64 v42, 0, v44, s13
	v_lshrrev_b32_e32 v44, 23, v45
	s_mov_b32 s13, exec_lo
	v_add_nc_u32_e32 v42, v42, v45
	v_xor_b32_e32 v44, 1, v44
	v_and_b32_e32 v40, 0xfffff, v42
	v_add_nc_u32_e32 v42, v40, v45
                                        ; implicit-def: $vgpr40
	v_cmpx_ne_u32_e64 v43, v44
	s_xor_b32 s13, exec_lo, s13
; %bb.4089:                             ;   in Loop: Header=BB2_3820 Depth=2
	v_cmp_lt_u32_e32 vcc_lo, 0xffffff, v42
	v_sub_nc_u32_e32 v40, v43, v44
	v_cndmask_b32_e64 v43, 0, 1, vcc_lo
	v_add_co_ci_u32_e64 v40, null, 0, v40, vcc_lo
	v_lshrrev_b32_e32 v42, v43, v42
; %bb.4090:                             ;   in Loop: Header=BB2_3820 Depth=2
	s_andn2_saveexec_b32 s13, s13
; %bb.4091:                             ;   in Loop: Header=BB2_3820 Depth=2
	v_bfe_u32 v40, v42, 23, 1
; %bb.4092:                             ;   in Loop: Header=BB2_3820 Depth=2
	s_or_b32 exec_lo, exec_lo, s13
	v_lshrrev_b32_e32 v42, 20, v42
	v_min_i32_e32 v43, 15, v40
	v_cmp_gt_i32_e32 vcc_lo, 16, v40
	v_and_b32_sdwa v41, v41, v83 dst_sel:DWORD dst_unused:UNUSED_PAD src0_sel:BYTE_3 src1_sel:DWORD
	v_lshlrev_b32_e32 v43, 3, v43
	v_cndmask_b32_e32 v42, 7, v42, vcc_lo
	v_and_b32_e32 v43, 0xf8, v43
	v_and_b32_e32 v44, 7, v42
	v_or_b32_e32 v40, v40, v42
	v_or3_b32 v41, v43, v41, v44
	v_cmp_ne_u32_e32 vcc_lo, 0, v40
	v_cndmask_b32_e32 v40, 0, v41, vcc_lo
.LBB2_4093:                             ;   in Loop: Header=BB2_3820 Depth=2
	s_or_b32 exec_lo, exec_lo, s40
.LBB2_4094:                             ;   in Loop: Header=BB2_3820 Depth=2
	s_or_b32 exec_lo, exec_lo, s29
	v_cmp_gt_i16_sdwa s29, v10, v82 src0_sel:BYTE_3 src1_sel:DWORD
	s_mov_b32 s13, 0
	s_and_saveexec_b32 s40, s29
	s_xor_b32 s29, exec_lo, s40
	s_cbranch_execz .LBB2_4312
; %bb.4095:                             ;   in Loop: Header=BB2_3820 Depth=2
	v_cmp_eq_u16_sdwa s41, v10, v83 src0_sel:BYTE_3 src1_sel:DWORD
	s_mov_b32 s13, -1
	s_and_saveexec_b32 s40, s41
; %bb.4096:                             ;   in Loop: Header=BB2_3820 Depth=2
	s_xor_b32 s13, exec_lo, -1
; %bb.4097:                             ;   in Loop: Header=BB2_3820 Depth=2
	s_or_b32 exec_lo, exec_lo, s40
	s_and_b32 s13, s13, exec_lo
	s_or_saveexec_b32 s29, s29
	v_mov_b32_e32 v41, 0x7f800001
	s_xor_b32 exec_lo, exec_lo, s29
	s_cbranch_execnz .LBB2_4313
.LBB2_4098:                             ;   in Loop: Header=BB2_3820 Depth=2
	s_or_b32 exec_lo, exec_lo, s29
	s_and_saveexec_b32 s29, s13
	s_cbranch_execz .LBB2_4100
.LBB2_4099:                             ;   in Loop: Header=BB2_3820 Depth=2
	v_bfe_u32 v41, v10, 24, 3
	v_bfe_u32 v44, v10, 27, 4
	v_ffbh_u32_e32 v42, v41
	v_cmp_eq_u32_e32 vcc_lo, 0, v44
	v_min_u32_e32 v42, 32, v42
	v_subrev_nc_u32_e32 v43, 28, v42
	v_sub_nc_u32_e32 v42, 29, v42
	v_lshlrev_b32_sdwa v43, v43, v10 dst_sel:DWORD dst_unused:UNUSED_PAD src0_sel:DWORD src1_sel:BYTE_3
	v_cndmask_b32_e32 v42, v44, v42, vcc_lo
	v_and_b32_e32 v10, 0x80000000, v10
	v_and_b32_e32 v43, 7, v43
	v_lshl_add_u32 v42, v42, 23, 0x3b800000
	v_cndmask_b32_e32 v41, v41, v43, vcc_lo
	v_lshlrev_b32_e32 v41, 20, v41
	v_or3_b32 v41, v10, v42, v41
.LBB2_4100:                             ;   in Loop: Header=BB2_3820 Depth=2
	s_or_b32 exec_lo, exec_lo, s29
	v_mul_f32_e32 v41, s28, v41
	v_and_b32_e32 v10, 0x7f800000, v41
	v_cmp_ne_u32_e32 vcc_lo, 0x7f800000, v10
	v_mov_b32_e32 v10, 0x8000
	s_and_saveexec_b32 s29, vcc_lo
	s_cbranch_execz .LBB2_4108
; %bb.4101:                             ;   in Loop: Header=BB2_3820 Depth=2
	v_mov_b32_e32 v10, 0
	s_mov_b32 s40, exec_lo
	v_cmpx_ne_u32_e32 0, v41
	s_cbranch_execz .LBB2_4107
; %bb.4102:                             ;   in Loop: Header=BB2_3820 Depth=2
	v_bfe_u32 v10, v41, 23, 8
	v_and_b32_e32 v42, 0x7fffff, v41
	v_sub_nc_u32_e32 v43, 0x78, v10
	v_cmp_gt_u32_e32 vcc_lo, 0x79, v10
	v_or_b32_e32 v44, 0x800000, v42
	v_cndmask_b32_e32 v43, 0, v43, vcc_lo
	v_cmp_eq_u32_e32 vcc_lo, 0, v10
	v_add_nc_u32_e32 v10, 0xffffff89, v10
	v_cndmask_b32_e64 v43, v43, 0x77, vcc_lo
	v_cndmask_b32_e32 v42, v44, v42, vcc_lo
	v_cndmask_b32_e64 v10, v10, 0xffffff8a, vcc_lo
	v_lshl_add_u32 v44, 0x100000, v43, -1
	v_lshrrev_b32_e32 v45, v43, v42
	v_lshlrev_b32_e64 v47, v43, 0x80000
	v_add_nc_u32_e32 v43, v43, v10
	v_and_b32_e32 v42, v44, v42
	v_bfe_u32 v46, v45, 20, 1
	v_cmp_eq_u32_e64 s13, v42, v47
	v_add_nc_u32_e32 v44, -1, v46
	v_cndmask_b32_e64 v42, 0, v44, s13
	v_lshrrev_b32_e32 v44, 23, v45
	s_mov_b32 s13, exec_lo
	v_add_nc_u32_e32 v42, v42, v45
	v_xor_b32_e32 v44, 1, v44
	v_and_b32_e32 v10, 0xfffff, v42
	v_add_nc_u32_e32 v42, v10, v45
                                        ; implicit-def: $vgpr10
	v_cmpx_ne_u32_e64 v43, v44
	s_xor_b32 s13, exec_lo, s13
; %bb.4103:                             ;   in Loop: Header=BB2_3820 Depth=2
	v_cmp_lt_u32_e32 vcc_lo, 0xffffff, v42
	v_sub_nc_u32_e32 v10, v43, v44
	v_cndmask_b32_e64 v43, 0, 1, vcc_lo
	v_add_co_ci_u32_e64 v10, null, 0, v10, vcc_lo
	v_lshrrev_b32_e32 v42, v43, v42
; %bb.4104:                             ;   in Loop: Header=BB2_3820 Depth=2
	s_andn2_saveexec_b32 s13, s13
; %bb.4105:                             ;   in Loop: Header=BB2_3820 Depth=2
	v_bfe_u32 v10, v42, 23, 1
; %bb.4106:                             ;   in Loop: Header=BB2_3820 Depth=2
	s_or_b32 exec_lo, exec_lo, s13
	v_lshrrev_b32_e32 v42, 20, v42
	v_min_i32_e32 v43, 15, v10
	v_cmp_gt_i32_e32 vcc_lo, 16, v10
	v_and_b32_sdwa v41, v41, v83 dst_sel:DWORD dst_unused:UNUSED_PAD src0_sel:BYTE_3 src1_sel:DWORD
	v_lshlrev_b32_e32 v43, 3, v43
	v_cndmask_b32_e32 v42, 7, v42, vcc_lo
	v_and_b32_e32 v43, 0xf8, v43
	v_and_b32_e32 v44, 7, v42
	v_or_b32_e32 v10, v10, v42
	v_or3_b32 v41, v41, v43, v44
	v_cmp_ne_u32_e32 vcc_lo, 0, v10
	v_lshlrev_b32_e32 v41, 8, v41
	v_cndmask_b32_e32 v10, 0, v41, vcc_lo
.LBB2_4107:                             ;   in Loop: Header=BB2_3820 Depth=2
	s_or_b32 exec_lo, exec_lo, s40
.LBB2_4108:                             ;   in Loop: Header=BB2_3820 Depth=2
	s_or_b32 exec_lo, exec_lo, s29
	v_cmp_gt_i16_sdwa s29, v11, v82 src0_sel:BYTE_0 src1_sel:DWORD
	s_mov_b32 s13, 0
	s_and_saveexec_b32 s40, s29
	s_xor_b32 s29, exec_lo, s40
	s_cbranch_execz .LBB2_4314
; %bb.4109:                             ;   in Loop: Header=BB2_3820 Depth=2
	v_cmp_eq_u16_sdwa s41, v11, v83 src0_sel:BYTE_0 src1_sel:DWORD
	s_mov_b32 s13, -1
	s_and_saveexec_b32 s40, s41
; %bb.4110:                             ;   in Loop: Header=BB2_3820 Depth=2
	s_xor_b32 s13, exec_lo, -1
; %bb.4111:                             ;   in Loop: Header=BB2_3820 Depth=2
	s_or_b32 exec_lo, exec_lo, s40
	s_and_b32 s13, s13, exec_lo
	s_or_saveexec_b32 s29, s29
	v_mov_b32_e32 v41, 0x7f800001
	s_xor_b32 exec_lo, exec_lo, s29
	s_cbranch_execnz .LBB2_4315
.LBB2_4112:                             ;   in Loop: Header=BB2_3820 Depth=2
	s_or_b32 exec_lo, exec_lo, s29
	s_and_saveexec_b32 s29, s13
	s_cbranch_execz .LBB2_4114
.LBB2_4113:                             ;   in Loop: Header=BB2_3820 Depth=2
	v_and_b32_e32 v41, 7, v11
	v_bfe_u32 v44, v11, 3, 4
	v_lshlrev_b32_e32 v45, 24, v11
	v_ffbh_u32_e32 v42, v41
	v_cmp_eq_u32_e32 vcc_lo, 0, v44
	v_min_u32_e32 v42, 32, v42
	v_subrev_nc_u32_e32 v43, 28, v42
	v_sub_nc_u32_e32 v42, 29, v42
	v_lshlrev_b32_e32 v43, v43, v11
	v_cndmask_b32_e32 v42, v44, v42, vcc_lo
	v_and_b32_e32 v43, 7, v43
	v_lshl_add_u32 v42, v42, 23, 0x3b800000
	v_cndmask_b32_e32 v41, v41, v43, vcc_lo
	v_and_b32_e32 v43, 0x80000000, v45
	v_lshlrev_b32_e32 v41, 20, v41
	v_or3_b32 v41, v43, v42, v41
.LBB2_4114:                             ;   in Loop: Header=BB2_3820 Depth=2
	s_or_b32 exec_lo, exec_lo, s29
	v_mul_f32_e32 v42, s28, v41
	v_and_b32_e32 v41, 0x7f800000, v42
	v_cmp_ne_u32_e32 vcc_lo, 0x7f800000, v41
	v_mov_b32_e32 v41, 0x80
	s_and_saveexec_b32 s29, vcc_lo
	s_cbranch_execz .LBB2_4122
; %bb.4115:                             ;   in Loop: Header=BB2_3820 Depth=2
	v_mov_b32_e32 v41, 0
	s_mov_b32 s40, exec_lo
	v_cmpx_ne_u32_e32 0, v42
	s_cbranch_execz .LBB2_4121
; %bb.4116:                             ;   in Loop: Header=BB2_3820 Depth=2
	v_bfe_u32 v41, v42, 23, 8
	v_and_b32_e32 v43, 0x7fffff, v42
	v_sub_nc_u32_e32 v44, 0x78, v41
	v_cmp_gt_u32_e32 vcc_lo, 0x79, v41
	v_or_b32_e32 v45, 0x800000, v43
	v_cndmask_b32_e32 v44, 0, v44, vcc_lo
	v_cmp_eq_u32_e32 vcc_lo, 0, v41
	v_add_nc_u32_e32 v41, 0xffffff89, v41
	v_cndmask_b32_e64 v44, v44, 0x77, vcc_lo
	v_cndmask_b32_e32 v43, v45, v43, vcc_lo
	v_cndmask_b32_e64 v41, v41, 0xffffff8a, vcc_lo
	v_lshl_add_u32 v45, 0x100000, v44, -1
	v_lshrrev_b32_e32 v46, v44, v43
	v_lshlrev_b32_e64 v56, v44, 0x80000
	v_add_nc_u32_e32 v44, v44, v41
	v_and_b32_e32 v43, v45, v43
	v_bfe_u32 v47, v46, 20, 1
	v_cmp_eq_u32_e64 s13, v43, v56
	v_add_nc_u32_e32 v45, -1, v47
	v_cndmask_b32_e64 v43, 0, v45, s13
	v_lshrrev_b32_e32 v45, 23, v46
	s_mov_b32 s13, exec_lo
	v_add_nc_u32_e32 v43, v43, v46
	v_xor_b32_e32 v45, 1, v45
	v_and_b32_e32 v41, 0xfffff, v43
	v_add_nc_u32_e32 v43, v41, v46
                                        ; implicit-def: $vgpr41
	v_cmpx_ne_u32_e64 v44, v45
	s_xor_b32 s13, exec_lo, s13
; %bb.4117:                             ;   in Loop: Header=BB2_3820 Depth=2
	v_cmp_lt_u32_e32 vcc_lo, 0xffffff, v43
	v_sub_nc_u32_e32 v41, v44, v45
	v_cndmask_b32_e64 v44, 0, 1, vcc_lo
	v_add_co_ci_u32_e64 v41, null, 0, v41, vcc_lo
	v_lshrrev_b32_e32 v43, v44, v43
; %bb.4118:                             ;   in Loop: Header=BB2_3820 Depth=2
	s_andn2_saveexec_b32 s13, s13
; %bb.4119:                             ;   in Loop: Header=BB2_3820 Depth=2
	v_bfe_u32 v41, v43, 23, 1
; %bb.4120:                             ;   in Loop: Header=BB2_3820 Depth=2
	s_or_b32 exec_lo, exec_lo, s13
	v_lshrrev_b32_e32 v43, 20, v43
	v_min_i32_e32 v44, 15, v41
	v_cmp_gt_i32_e32 vcc_lo, 16, v41
	v_and_b32_sdwa v42, v42, v83 dst_sel:DWORD dst_unused:UNUSED_PAD src0_sel:BYTE_3 src1_sel:DWORD
	v_lshlrev_b32_e32 v44, 3, v44
	v_cndmask_b32_e32 v43, 7, v43, vcc_lo
	v_and_b32_e32 v44, 0xf8, v44
	v_and_b32_e32 v45, 7, v43
	v_or_b32_e32 v41, v41, v43
	v_or3_b32 v42, v44, v42, v45
	v_cmp_ne_u32_e32 vcc_lo, 0, v41
	v_cndmask_b32_e32 v41, 0, v42, vcc_lo
.LBB2_4121:                             ;   in Loop: Header=BB2_3820 Depth=2
	s_or_b32 exec_lo, exec_lo, s40
.LBB2_4122:                             ;   in Loop: Header=BB2_3820 Depth=2
	s_or_b32 exec_lo, exec_lo, s29
	v_cmp_gt_i16_sdwa s29, v11, v82 src0_sel:BYTE_1 src1_sel:DWORD
	s_mov_b32 s13, 0
	s_and_saveexec_b32 s40, s29
	s_xor_b32 s29, exec_lo, s40
	s_cbranch_execz .LBB2_4316
; %bb.4123:                             ;   in Loop: Header=BB2_3820 Depth=2
	v_cmp_eq_u16_sdwa s41, v11, v83 src0_sel:BYTE_1 src1_sel:DWORD
	s_mov_b32 s13, -1
	s_and_saveexec_b32 s40, s41
; %bb.4124:                             ;   in Loop: Header=BB2_3820 Depth=2
	s_xor_b32 s13, exec_lo, -1
; %bb.4125:                             ;   in Loop: Header=BB2_3820 Depth=2
	s_or_b32 exec_lo, exec_lo, s40
	s_and_b32 s13, s13, exec_lo
	s_or_saveexec_b32 s29, s29
	v_mov_b32_e32 v42, 0x7f800001
	s_xor_b32 exec_lo, exec_lo, s29
	s_cbranch_execnz .LBB2_4317
.LBB2_4126:                             ;   in Loop: Header=BB2_3820 Depth=2
	s_or_b32 exec_lo, exec_lo, s29
	s_and_saveexec_b32 s29, s13
	s_cbranch_execz .LBB2_4128
.LBB2_4127:                             ;   in Loop: Header=BB2_3820 Depth=2
	v_and_b32_sdwa v42, v84, v11 dst_sel:DWORD dst_unused:UNUSED_PAD src0_sel:DWORD src1_sel:BYTE_1
	v_and_b32_e32 v43, 7, v42
	v_bfe_u32 v46, v42, 3, 4
	v_ffbh_u32_e32 v44, v43
	v_cmp_eq_u32_e32 vcc_lo, 0, v46
	v_min_u32_e32 v44, 32, v44
	v_subrev_nc_u32_e32 v45, 28, v44
	v_sub_nc_u32_e32 v44, 29, v44
	v_lshlrev_b32_e32 v42, v45, v42
	v_lshlrev_b32_sdwa v45, v85, v11 dst_sel:DWORD dst_unused:UNUSED_PAD src0_sel:DWORD src1_sel:BYTE_1
	v_cndmask_b32_e32 v44, v46, v44, vcc_lo
	v_and_b32_e32 v42, 7, v42
	v_lshl_add_u32 v44, v44, 23, 0x3b800000
	v_cndmask_b32_e32 v42, v43, v42, vcc_lo
	v_and_b32_e32 v43, 0x80000000, v45
	v_lshlrev_b32_e32 v42, 20, v42
	v_or3_b32 v42, v43, v44, v42
.LBB2_4128:                             ;   in Loop: Header=BB2_3820 Depth=2
	s_or_b32 exec_lo, exec_lo, s29
	v_mul_f32_e32 v43, s28, v42
	v_and_b32_e32 v42, 0x7f800000, v43
	v_cmp_ne_u32_e32 vcc_lo, 0x7f800000, v42
	v_mov_b32_e32 v42, 0x8000
	s_and_saveexec_b32 s29, vcc_lo
	s_cbranch_execz .LBB2_4136
; %bb.4129:                             ;   in Loop: Header=BB2_3820 Depth=2
	v_mov_b32_e32 v42, 0
	s_mov_b32 s40, exec_lo
	v_cmpx_ne_u32_e32 0, v43
	s_cbranch_execz .LBB2_4135
; %bb.4130:                             ;   in Loop: Header=BB2_3820 Depth=2
	v_bfe_u32 v42, v43, 23, 8
	v_and_b32_e32 v44, 0x7fffff, v43
	v_sub_nc_u32_e32 v45, 0x78, v42
	v_cmp_gt_u32_e32 vcc_lo, 0x79, v42
	v_or_b32_e32 v46, 0x800000, v44
	v_cndmask_b32_e32 v45, 0, v45, vcc_lo
	v_cmp_eq_u32_e32 vcc_lo, 0, v42
	v_add_nc_u32_e32 v42, 0xffffff89, v42
	v_cndmask_b32_e64 v45, v45, 0x77, vcc_lo
	v_cndmask_b32_e32 v44, v46, v44, vcc_lo
	v_cndmask_b32_e64 v42, v42, 0xffffff8a, vcc_lo
	v_lshl_add_u32 v46, 0x100000, v45, -1
	v_lshrrev_b32_e32 v47, v45, v44
	v_lshlrev_b32_e64 v57, v45, 0x80000
	v_add_nc_u32_e32 v45, v45, v42
	v_and_b32_e32 v44, v46, v44
	v_bfe_u32 v56, v47, 20, 1
	v_cmp_eq_u32_e64 s13, v44, v57
	v_add_nc_u32_e32 v46, -1, v56
	v_cndmask_b32_e64 v44, 0, v46, s13
	v_lshrrev_b32_e32 v46, 23, v47
	s_mov_b32 s13, exec_lo
	v_add_nc_u32_e32 v44, v44, v47
	v_xor_b32_e32 v46, 1, v46
	v_and_b32_e32 v42, 0xfffff, v44
	v_add_nc_u32_e32 v44, v42, v47
                                        ; implicit-def: $vgpr42
	v_cmpx_ne_u32_e64 v45, v46
	s_xor_b32 s13, exec_lo, s13
; %bb.4131:                             ;   in Loop: Header=BB2_3820 Depth=2
	v_cmp_lt_u32_e32 vcc_lo, 0xffffff, v44
	v_sub_nc_u32_e32 v42, v45, v46
	v_cndmask_b32_e64 v45, 0, 1, vcc_lo
	v_add_co_ci_u32_e64 v42, null, 0, v42, vcc_lo
	v_lshrrev_b32_e32 v44, v45, v44
; %bb.4132:                             ;   in Loop: Header=BB2_3820 Depth=2
	s_andn2_saveexec_b32 s13, s13
; %bb.4133:                             ;   in Loop: Header=BB2_3820 Depth=2
	v_bfe_u32 v42, v44, 23, 1
; %bb.4134:                             ;   in Loop: Header=BB2_3820 Depth=2
	s_or_b32 exec_lo, exec_lo, s13
	v_lshrrev_b32_e32 v44, 20, v44
	v_min_i32_e32 v45, 15, v42
	v_cmp_gt_i32_e32 vcc_lo, 16, v42
	v_and_b32_sdwa v43, v43, v83 dst_sel:DWORD dst_unused:UNUSED_PAD src0_sel:BYTE_3 src1_sel:DWORD
	v_lshlrev_b32_e32 v45, 3, v45
	v_cndmask_b32_e32 v44, 7, v44, vcc_lo
	v_and_b32_e32 v45, 0xf8, v45
	v_and_b32_e32 v46, 7, v44
	v_or_b32_e32 v42, v42, v44
	v_or3_b32 v43, v43, v45, v46
	v_cmp_ne_u32_e32 vcc_lo, 0, v42
	v_lshlrev_b32_e32 v43, 8, v43
	v_cndmask_b32_e32 v42, 0, v43, vcc_lo
.LBB2_4135:                             ;   in Loop: Header=BB2_3820 Depth=2
	s_or_b32 exec_lo, exec_lo, s40
.LBB2_4136:                             ;   in Loop: Header=BB2_3820 Depth=2
	s_or_b32 exec_lo, exec_lo, s29
	v_and_b32_sdwa v44, v11, v86 dst_sel:DWORD dst_unused:UNUSED_PAD src0_sel:WORD_1 src1_sel:DWORD
	s_mov_b32 s13, 0
	s_mov_b32 s29, exec_lo
	v_cmpx_lt_i16_e32 0x7f, v44
	s_xor_b32 s29, exec_lo, s29
	s_cbranch_execz .LBB2_4318
; %bb.4137:                             ;   in Loop: Header=BB2_3820 Depth=2
	s_mov_b32 s13, -1
	s_mov_b32 s40, exec_lo
	v_cmpx_eq_u16_e32 0x80, v44
; %bb.4138:                             ;   in Loop: Header=BB2_3820 Depth=2
	s_xor_b32 s13, exec_lo, -1
; %bb.4139:                             ;   in Loop: Header=BB2_3820 Depth=2
	s_or_b32 exec_lo, exec_lo, s40
	s_and_b32 s13, s13, exec_lo
                                        ; implicit-def: $vgpr44
	s_or_saveexec_b32 s29, s29
	v_mov_b32_e32 v43, 0x7f800001
	s_xor_b32 exec_lo, exec_lo, s29
	s_cbranch_execnz .LBB2_4319
.LBB2_4140:                             ;   in Loop: Header=BB2_3820 Depth=2
	s_or_b32 exec_lo, exec_lo, s29
	s_and_saveexec_b32 s29, s13
	s_cbranch_execz .LBB2_4142
.LBB2_4141:                             ;   in Loop: Header=BB2_3820 Depth=2
	v_bfe_u32 v43, v11, 16, 3
	v_bfe_u32 v46, v11, 19, 4
	v_lshlrev_b32_e32 v47, 8, v11
	v_ffbh_u32_e32 v44, v43
	v_cmp_eq_u32_e32 vcc_lo, 0, v46
	v_min_u32_e32 v44, 32, v44
	v_subrev_nc_u32_e32 v45, 28, v44
	v_sub_nc_u32_e32 v44, 29, v44
	v_lshlrev_b32_sdwa v45, v45, v11 dst_sel:DWORD dst_unused:UNUSED_PAD src0_sel:DWORD src1_sel:WORD_1
	v_cndmask_b32_e32 v44, v46, v44, vcc_lo
	v_and_b32_e32 v45, 7, v45
	v_lshl_add_u32 v44, v44, 23, 0x3b800000
	v_cndmask_b32_e32 v43, v43, v45, vcc_lo
	v_and_b32_e32 v45, 0x80000000, v47
	v_lshlrev_b32_e32 v43, 20, v43
	v_or3_b32 v43, v45, v44, v43
.LBB2_4142:                             ;   in Loop: Header=BB2_3820 Depth=2
	s_or_b32 exec_lo, exec_lo, s29
	v_mul_f32_e32 v44, s28, v43
	v_and_b32_e32 v43, 0x7f800000, v44
	v_cmp_ne_u32_e32 vcc_lo, 0x7f800000, v43
	v_mov_b32_e32 v43, 0x80
	s_and_saveexec_b32 s29, vcc_lo
	s_cbranch_execz .LBB2_4150
; %bb.4143:                             ;   in Loop: Header=BB2_3820 Depth=2
	v_mov_b32_e32 v43, 0
	s_mov_b32 s40, exec_lo
	v_cmpx_ne_u32_e32 0, v44
	s_cbranch_execz .LBB2_4149
; %bb.4144:                             ;   in Loop: Header=BB2_3820 Depth=2
	v_bfe_u32 v43, v44, 23, 8
	v_and_b32_e32 v45, 0x7fffff, v44
	v_sub_nc_u32_e32 v46, 0x78, v43
	v_cmp_gt_u32_e32 vcc_lo, 0x79, v43
	v_or_b32_e32 v47, 0x800000, v45
	v_cndmask_b32_e32 v46, 0, v46, vcc_lo
	v_cmp_eq_u32_e32 vcc_lo, 0, v43
	v_add_nc_u32_e32 v43, 0xffffff89, v43
	v_cndmask_b32_e64 v46, v46, 0x77, vcc_lo
	v_cndmask_b32_e32 v45, v47, v45, vcc_lo
	v_cndmask_b32_e64 v43, v43, 0xffffff8a, vcc_lo
	v_lshl_add_u32 v47, 0x100000, v46, -1
	v_lshrrev_b32_e32 v56, v46, v45
	v_lshlrev_b32_e64 v58, v46, 0x80000
	v_add_nc_u32_e32 v46, v46, v43
	v_and_b32_e32 v45, v47, v45
	v_bfe_u32 v57, v56, 20, 1
	v_cmp_eq_u32_e64 s13, v45, v58
	v_add_nc_u32_e32 v47, -1, v57
	v_cndmask_b32_e64 v45, 0, v47, s13
	v_lshrrev_b32_e32 v47, 23, v56
	s_mov_b32 s13, exec_lo
	v_add_nc_u32_e32 v45, v45, v56
	v_xor_b32_e32 v47, 1, v47
	v_and_b32_e32 v43, 0xfffff, v45
	v_add_nc_u32_e32 v45, v43, v56
                                        ; implicit-def: $vgpr43
	v_cmpx_ne_u32_e64 v46, v47
	s_xor_b32 s13, exec_lo, s13
; %bb.4145:                             ;   in Loop: Header=BB2_3820 Depth=2
	v_cmp_lt_u32_e32 vcc_lo, 0xffffff, v45
	v_sub_nc_u32_e32 v43, v46, v47
	v_cndmask_b32_e64 v46, 0, 1, vcc_lo
	v_add_co_ci_u32_e64 v43, null, 0, v43, vcc_lo
	v_lshrrev_b32_e32 v45, v46, v45
; %bb.4146:                             ;   in Loop: Header=BB2_3820 Depth=2
	s_andn2_saveexec_b32 s13, s13
; %bb.4147:                             ;   in Loop: Header=BB2_3820 Depth=2
	v_bfe_u32 v43, v45, 23, 1
; %bb.4148:                             ;   in Loop: Header=BB2_3820 Depth=2
	s_or_b32 exec_lo, exec_lo, s13
	v_lshrrev_b32_e32 v45, 20, v45
	v_min_i32_e32 v46, 15, v43
	v_cmp_gt_i32_e32 vcc_lo, 16, v43
	v_and_b32_sdwa v44, v44, v83 dst_sel:DWORD dst_unused:UNUSED_PAD src0_sel:BYTE_3 src1_sel:DWORD
	v_lshlrev_b32_e32 v46, 3, v46
	v_cndmask_b32_e32 v45, 7, v45, vcc_lo
	v_and_b32_e32 v46, 0xf8, v46
	v_and_b32_e32 v47, 7, v45
	v_or_b32_e32 v43, v43, v45
	v_or3_b32 v44, v46, v44, v47
	v_cmp_ne_u32_e32 vcc_lo, 0, v43
	v_cndmask_b32_e32 v43, 0, v44, vcc_lo
.LBB2_4149:                             ;   in Loop: Header=BB2_3820 Depth=2
	s_or_b32 exec_lo, exec_lo, s40
.LBB2_4150:                             ;   in Loop: Header=BB2_3820 Depth=2
	s_or_b32 exec_lo, exec_lo, s29
	v_cmp_gt_i16_sdwa s29, v11, v82 src0_sel:BYTE_3 src1_sel:DWORD
	s_mov_b32 s13, 0
	s_and_saveexec_b32 s40, s29
	s_xor_b32 s29, exec_lo, s40
	s_cbranch_execz .LBB2_4320
; %bb.4151:                             ;   in Loop: Header=BB2_3820 Depth=2
	v_cmp_eq_u16_sdwa s41, v11, v83 src0_sel:BYTE_3 src1_sel:DWORD
	s_mov_b32 s13, -1
	s_and_saveexec_b32 s40, s41
; %bb.4152:                             ;   in Loop: Header=BB2_3820 Depth=2
	s_xor_b32 s13, exec_lo, -1
; %bb.4153:                             ;   in Loop: Header=BB2_3820 Depth=2
	s_or_b32 exec_lo, exec_lo, s40
	s_and_b32 s13, s13, exec_lo
	s_or_saveexec_b32 s29, s29
	v_mov_b32_e32 v44, 0x7f800001
	s_xor_b32 exec_lo, exec_lo, s29
	s_cbranch_execnz .LBB2_4321
.LBB2_4154:                             ;   in Loop: Header=BB2_3820 Depth=2
	s_or_b32 exec_lo, exec_lo, s29
	s_and_saveexec_b32 s29, s13
	s_cbranch_execz .LBB2_4156
.LBB2_4155:                             ;   in Loop: Header=BB2_3820 Depth=2
	v_bfe_u32 v44, v11, 24, 3
	v_bfe_u32 v47, v11, 27, 4
	v_ffbh_u32_e32 v45, v44
	v_cmp_eq_u32_e32 vcc_lo, 0, v47
	v_min_u32_e32 v45, 32, v45
	v_subrev_nc_u32_e32 v46, 28, v45
	v_sub_nc_u32_e32 v45, 29, v45
	v_lshlrev_b32_sdwa v46, v46, v11 dst_sel:DWORD dst_unused:UNUSED_PAD src0_sel:DWORD src1_sel:BYTE_3
	v_cndmask_b32_e32 v45, v47, v45, vcc_lo
	v_and_b32_e32 v11, 0x80000000, v11
	v_and_b32_e32 v46, 7, v46
	v_lshl_add_u32 v45, v45, 23, 0x3b800000
	v_cndmask_b32_e32 v44, v44, v46, vcc_lo
	v_lshlrev_b32_e32 v44, 20, v44
	v_or3_b32 v44, v11, v45, v44
.LBB2_4156:                             ;   in Loop: Header=BB2_3820 Depth=2
	s_or_b32 exec_lo, exec_lo, s29
	v_mul_f32_e32 v44, s28, v44
	v_and_b32_e32 v11, 0x7f800000, v44
	v_cmp_ne_u32_e32 vcc_lo, 0x7f800000, v11
	v_mov_b32_e32 v11, 0x8000
	s_and_saveexec_b32 s29, vcc_lo
	s_cbranch_execz .LBB2_4164
; %bb.4157:                             ;   in Loop: Header=BB2_3820 Depth=2
	v_mov_b32_e32 v11, 0
	s_mov_b32 s40, exec_lo
	v_cmpx_ne_u32_e32 0, v44
	s_cbranch_execz .LBB2_4163
; %bb.4158:                             ;   in Loop: Header=BB2_3820 Depth=2
	v_bfe_u32 v11, v44, 23, 8
	v_and_b32_e32 v45, 0x7fffff, v44
	v_sub_nc_u32_e32 v46, 0x78, v11
	v_cmp_gt_u32_e32 vcc_lo, 0x79, v11
	v_or_b32_e32 v47, 0x800000, v45
	v_cndmask_b32_e32 v46, 0, v46, vcc_lo
	v_cmp_eq_u32_e32 vcc_lo, 0, v11
	v_add_nc_u32_e32 v11, 0xffffff89, v11
	v_cndmask_b32_e64 v46, v46, 0x77, vcc_lo
	v_cndmask_b32_e32 v45, v47, v45, vcc_lo
	v_cndmask_b32_e64 v11, v11, 0xffffff8a, vcc_lo
	v_lshl_add_u32 v47, 0x100000, v46, -1
	v_lshrrev_b32_e32 v56, v46, v45
	v_lshlrev_b32_e64 v58, v46, 0x80000
	v_add_nc_u32_e32 v46, v46, v11
	v_and_b32_e32 v45, v47, v45
	v_bfe_u32 v57, v56, 20, 1
	v_cmp_eq_u32_e64 s13, v45, v58
	v_add_nc_u32_e32 v47, -1, v57
	v_cndmask_b32_e64 v45, 0, v47, s13
	v_lshrrev_b32_e32 v47, 23, v56
	s_mov_b32 s13, exec_lo
	v_add_nc_u32_e32 v45, v45, v56
	v_xor_b32_e32 v47, 1, v47
	v_and_b32_e32 v11, 0xfffff, v45
	v_add_nc_u32_e32 v45, v11, v56
                                        ; implicit-def: $vgpr11
	v_cmpx_ne_u32_e64 v46, v47
	s_xor_b32 s13, exec_lo, s13
; %bb.4159:                             ;   in Loop: Header=BB2_3820 Depth=2
	v_cmp_lt_u32_e32 vcc_lo, 0xffffff, v45
	v_sub_nc_u32_e32 v11, v46, v47
	v_cndmask_b32_e64 v46, 0, 1, vcc_lo
	v_add_co_ci_u32_e64 v11, null, 0, v11, vcc_lo
	v_lshrrev_b32_e32 v45, v46, v45
; %bb.4160:                             ;   in Loop: Header=BB2_3820 Depth=2
	s_andn2_saveexec_b32 s13, s13
; %bb.4161:                             ;   in Loop: Header=BB2_3820 Depth=2
	v_bfe_u32 v11, v45, 23, 1
; %bb.4162:                             ;   in Loop: Header=BB2_3820 Depth=2
	s_or_b32 exec_lo, exec_lo, s13
	v_lshrrev_b32_e32 v45, 20, v45
	v_min_i32_e32 v46, 15, v11
	v_cmp_gt_i32_e32 vcc_lo, 16, v11
	v_and_b32_sdwa v44, v44, v83 dst_sel:DWORD dst_unused:UNUSED_PAD src0_sel:BYTE_3 src1_sel:DWORD
	v_lshlrev_b32_e32 v46, 3, v46
	v_cndmask_b32_e32 v45, 7, v45, vcc_lo
	v_and_b32_e32 v46, 0xf8, v46
	v_and_b32_e32 v47, 7, v45
	v_or_b32_e32 v11, v11, v45
	v_or3_b32 v44, v44, v46, v47
	v_cmp_ne_u32_e32 vcc_lo, 0, v11
	v_lshlrev_b32_e32 v44, 8, v44
	v_cndmask_b32_e32 v11, 0, v44, vcc_lo
.LBB2_4163:                             ;   in Loop: Header=BB2_3820 Depth=2
	s_or_b32 exec_lo, exec_lo, s40
.LBB2_4164:                             ;   in Loop: Header=BB2_3820 Depth=2
	s_or_b32 exec_lo, exec_lo, s29
	v_cmp_gt_i16_sdwa s29, v12, v82 src0_sel:BYTE_0 src1_sel:DWORD
	s_mov_b32 s13, 0
	s_and_saveexec_b32 s40, s29
	s_xor_b32 s29, exec_lo, s40
	s_cbranch_execz .LBB2_4322
; %bb.4165:                             ;   in Loop: Header=BB2_3820 Depth=2
	v_cmp_eq_u16_sdwa s41, v12, v83 src0_sel:BYTE_0 src1_sel:DWORD
	s_mov_b32 s13, -1
	s_and_saveexec_b32 s40, s41
; %bb.4166:                             ;   in Loop: Header=BB2_3820 Depth=2
	s_xor_b32 s13, exec_lo, -1
; %bb.4167:                             ;   in Loop: Header=BB2_3820 Depth=2
	s_or_b32 exec_lo, exec_lo, s40
	s_and_b32 s13, s13, exec_lo
	s_or_saveexec_b32 s29, s29
	v_mov_b32_e32 v44, 0x7f800001
	s_xor_b32 exec_lo, exec_lo, s29
	s_cbranch_execnz .LBB2_4323
.LBB2_4168:                             ;   in Loop: Header=BB2_3820 Depth=2
	s_or_b32 exec_lo, exec_lo, s29
	s_and_saveexec_b32 s29, s13
	s_cbranch_execz .LBB2_4170
.LBB2_4169:                             ;   in Loop: Header=BB2_3820 Depth=2
	v_and_b32_e32 v44, 7, v12
	v_bfe_u32 v47, v12, 3, 4
	v_lshlrev_b32_e32 v56, 24, v12
	v_ffbh_u32_e32 v45, v44
	v_cmp_eq_u32_e32 vcc_lo, 0, v47
	v_min_u32_e32 v45, 32, v45
	v_subrev_nc_u32_e32 v46, 28, v45
	v_sub_nc_u32_e32 v45, 29, v45
	v_lshlrev_b32_e32 v46, v46, v12
	v_cndmask_b32_e32 v45, v47, v45, vcc_lo
	v_and_b32_e32 v46, 7, v46
	v_lshl_add_u32 v45, v45, 23, 0x3b800000
	v_cndmask_b32_e32 v44, v44, v46, vcc_lo
	v_and_b32_e32 v46, 0x80000000, v56
	v_lshlrev_b32_e32 v44, 20, v44
	v_or3_b32 v44, v46, v45, v44
.LBB2_4170:                             ;   in Loop: Header=BB2_3820 Depth=2
	s_or_b32 exec_lo, exec_lo, s29
	v_mul_f32_e32 v45, s28, v44
	v_and_b32_e32 v44, 0x7f800000, v45
	v_cmp_ne_u32_e32 vcc_lo, 0x7f800000, v44
	v_mov_b32_e32 v44, 0x80
	s_and_saveexec_b32 s29, vcc_lo
	s_cbranch_execz .LBB2_4178
; %bb.4171:                             ;   in Loop: Header=BB2_3820 Depth=2
	v_mov_b32_e32 v44, 0
	s_mov_b32 s40, exec_lo
	v_cmpx_ne_u32_e32 0, v45
	s_cbranch_execz .LBB2_4177
; %bb.4172:                             ;   in Loop: Header=BB2_3820 Depth=2
	v_bfe_u32 v44, v45, 23, 8
	v_and_b32_e32 v46, 0x7fffff, v45
	v_sub_nc_u32_e32 v47, 0x78, v44
	v_cmp_gt_u32_e32 vcc_lo, 0x79, v44
	v_or_b32_e32 v56, 0x800000, v46
	v_cndmask_b32_e32 v47, 0, v47, vcc_lo
	v_cmp_eq_u32_e32 vcc_lo, 0, v44
	v_add_nc_u32_e32 v44, 0xffffff89, v44
	v_cndmask_b32_e64 v47, v47, 0x77, vcc_lo
	v_cndmask_b32_e32 v46, v56, v46, vcc_lo
	v_cndmask_b32_e64 v44, v44, 0xffffff8a, vcc_lo
	v_lshl_add_u32 v56, 0x100000, v47, -1
	v_lshrrev_b32_e32 v57, v47, v46
	v_lshlrev_b32_e64 v59, v47, 0x80000
	v_add_nc_u32_e32 v47, v47, v44
	v_and_b32_e32 v46, v56, v46
	v_bfe_u32 v58, v57, 20, 1
	v_cmp_eq_u32_e64 s13, v46, v59
	v_add_nc_u32_e32 v56, -1, v58
	v_cndmask_b32_e64 v46, 0, v56, s13
	v_lshrrev_b32_e32 v56, 23, v57
	s_mov_b32 s13, exec_lo
	v_add_nc_u32_e32 v46, v46, v57
	v_xor_b32_e32 v56, 1, v56
	v_and_b32_e32 v44, 0xfffff, v46
	v_add_nc_u32_e32 v46, v44, v57
                                        ; implicit-def: $vgpr44
	v_cmpx_ne_u32_e64 v47, v56
	s_xor_b32 s13, exec_lo, s13
; %bb.4173:                             ;   in Loop: Header=BB2_3820 Depth=2
	v_cmp_lt_u32_e32 vcc_lo, 0xffffff, v46
	v_sub_nc_u32_e32 v44, v47, v56
	v_cndmask_b32_e64 v47, 0, 1, vcc_lo
	v_add_co_ci_u32_e64 v44, null, 0, v44, vcc_lo
	v_lshrrev_b32_e32 v46, v47, v46
; %bb.4174:                             ;   in Loop: Header=BB2_3820 Depth=2
	s_andn2_saveexec_b32 s13, s13
; %bb.4175:                             ;   in Loop: Header=BB2_3820 Depth=2
	v_bfe_u32 v44, v46, 23, 1
; %bb.4176:                             ;   in Loop: Header=BB2_3820 Depth=2
	s_or_b32 exec_lo, exec_lo, s13
	v_lshrrev_b32_e32 v46, 20, v46
	v_min_i32_e32 v47, 15, v44
	v_cmp_gt_i32_e32 vcc_lo, 16, v44
	v_and_b32_sdwa v45, v45, v83 dst_sel:DWORD dst_unused:UNUSED_PAD src0_sel:BYTE_3 src1_sel:DWORD
	v_lshlrev_b32_e32 v47, 3, v47
	v_cndmask_b32_e32 v46, 7, v46, vcc_lo
	v_and_b32_e32 v47, 0xf8, v47
	v_and_b32_e32 v56, 7, v46
	v_or_b32_e32 v44, v44, v46
	v_or3_b32 v45, v47, v45, v56
	v_cmp_ne_u32_e32 vcc_lo, 0, v44
	v_cndmask_b32_e32 v44, 0, v45, vcc_lo
.LBB2_4177:                             ;   in Loop: Header=BB2_3820 Depth=2
	s_or_b32 exec_lo, exec_lo, s40
.LBB2_4178:                             ;   in Loop: Header=BB2_3820 Depth=2
	s_or_b32 exec_lo, exec_lo, s29
	v_cmp_gt_i16_sdwa s29, v12, v82 src0_sel:BYTE_1 src1_sel:DWORD
	s_mov_b32 s13, 0
	s_and_saveexec_b32 s40, s29
	s_xor_b32 s29, exec_lo, s40
	s_cbranch_execz .LBB2_4324
; %bb.4179:                             ;   in Loop: Header=BB2_3820 Depth=2
	v_cmp_eq_u16_sdwa s41, v12, v83 src0_sel:BYTE_1 src1_sel:DWORD
	s_mov_b32 s13, -1
	s_and_saveexec_b32 s40, s41
; %bb.4180:                             ;   in Loop: Header=BB2_3820 Depth=2
	s_xor_b32 s13, exec_lo, -1
; %bb.4181:                             ;   in Loop: Header=BB2_3820 Depth=2
	s_or_b32 exec_lo, exec_lo, s40
	s_and_b32 s13, s13, exec_lo
	s_or_saveexec_b32 s29, s29
	v_mov_b32_e32 v45, 0x7f800001
	s_xor_b32 exec_lo, exec_lo, s29
	s_cbranch_execnz .LBB2_4325
.LBB2_4182:                             ;   in Loop: Header=BB2_3820 Depth=2
	s_or_b32 exec_lo, exec_lo, s29
	s_and_saveexec_b32 s29, s13
	s_cbranch_execz .LBB2_4184
.LBB2_4183:                             ;   in Loop: Header=BB2_3820 Depth=2
	v_and_b32_sdwa v45, v84, v12 dst_sel:DWORD dst_unused:UNUSED_PAD src0_sel:DWORD src1_sel:BYTE_1
	v_and_b32_e32 v46, 7, v45
	v_bfe_u32 v57, v45, 3, 4
	v_ffbh_u32_e32 v47, v46
	v_cmp_eq_u32_e32 vcc_lo, 0, v57
	v_min_u32_e32 v47, 32, v47
	v_subrev_nc_u32_e32 v56, 28, v47
	v_sub_nc_u32_e32 v47, 29, v47
	v_lshlrev_b32_e32 v45, v56, v45
	v_lshlrev_b32_sdwa v56, v85, v12 dst_sel:DWORD dst_unused:UNUSED_PAD src0_sel:DWORD src1_sel:BYTE_1
	v_cndmask_b32_e32 v47, v57, v47, vcc_lo
	v_and_b32_e32 v45, 7, v45
	v_lshl_add_u32 v47, v47, 23, 0x3b800000
	v_cndmask_b32_e32 v45, v46, v45, vcc_lo
	v_and_b32_e32 v46, 0x80000000, v56
	v_lshlrev_b32_e32 v45, 20, v45
	v_or3_b32 v45, v46, v47, v45
.LBB2_4184:                             ;   in Loop: Header=BB2_3820 Depth=2
	s_or_b32 exec_lo, exec_lo, s29
	v_mul_f32_e32 v46, s28, v45
	v_and_b32_e32 v45, 0x7f800000, v46
	v_cmp_ne_u32_e32 vcc_lo, 0x7f800000, v45
	v_mov_b32_e32 v45, 0x8000
	s_and_saveexec_b32 s29, vcc_lo
	s_cbranch_execz .LBB2_4192
; %bb.4185:                             ;   in Loop: Header=BB2_3820 Depth=2
	v_mov_b32_e32 v45, 0
	s_mov_b32 s40, exec_lo
	v_cmpx_ne_u32_e32 0, v46
	s_cbranch_execz .LBB2_4191
; %bb.4186:                             ;   in Loop: Header=BB2_3820 Depth=2
	v_bfe_u32 v45, v46, 23, 8
	v_and_b32_e32 v47, 0x7fffff, v46
	v_sub_nc_u32_e32 v56, 0x78, v45
	v_cmp_gt_u32_e32 vcc_lo, 0x79, v45
	v_or_b32_e32 v57, 0x800000, v47
	v_cndmask_b32_e32 v56, 0, v56, vcc_lo
	v_cmp_eq_u32_e32 vcc_lo, 0, v45
	v_add_nc_u32_e32 v45, 0xffffff89, v45
	v_cndmask_b32_e64 v56, v56, 0x77, vcc_lo
	v_cndmask_b32_e32 v47, v57, v47, vcc_lo
	v_cndmask_b32_e64 v45, v45, 0xffffff8a, vcc_lo
	v_lshl_add_u32 v57, 0x100000, v56, -1
	v_lshrrev_b32_e32 v58, v56, v47
	v_lshlrev_b32_e64 v60, v56, 0x80000
	v_add_nc_u32_e32 v56, v56, v45
	v_and_b32_e32 v47, v57, v47
	v_bfe_u32 v59, v58, 20, 1
	v_cmp_eq_u32_e64 s13, v47, v60
	v_add_nc_u32_e32 v57, -1, v59
	v_cndmask_b32_e64 v47, 0, v57, s13
	v_lshrrev_b32_e32 v57, 23, v58
	s_mov_b32 s13, exec_lo
	v_add_nc_u32_e32 v47, v47, v58
	v_xor_b32_e32 v57, 1, v57
	v_and_b32_e32 v45, 0xfffff, v47
	v_add_nc_u32_e32 v47, v45, v58
                                        ; implicit-def: $vgpr45
	v_cmpx_ne_u32_e64 v56, v57
	s_xor_b32 s13, exec_lo, s13
; %bb.4187:                             ;   in Loop: Header=BB2_3820 Depth=2
	v_cmp_lt_u32_e32 vcc_lo, 0xffffff, v47
	v_sub_nc_u32_e32 v45, v56, v57
	v_cndmask_b32_e64 v56, 0, 1, vcc_lo
	v_add_co_ci_u32_e64 v45, null, 0, v45, vcc_lo
	v_lshrrev_b32_e32 v47, v56, v47
; %bb.4188:                             ;   in Loop: Header=BB2_3820 Depth=2
	s_andn2_saveexec_b32 s13, s13
; %bb.4189:                             ;   in Loop: Header=BB2_3820 Depth=2
	v_bfe_u32 v45, v47, 23, 1
; %bb.4190:                             ;   in Loop: Header=BB2_3820 Depth=2
	s_or_b32 exec_lo, exec_lo, s13
	v_lshrrev_b32_e32 v47, 20, v47
	v_min_i32_e32 v56, 15, v45
	v_cmp_gt_i32_e32 vcc_lo, 16, v45
	v_and_b32_sdwa v46, v46, v83 dst_sel:DWORD dst_unused:UNUSED_PAD src0_sel:BYTE_3 src1_sel:DWORD
	v_lshlrev_b32_e32 v56, 3, v56
	v_cndmask_b32_e32 v47, 7, v47, vcc_lo
	v_and_b32_e32 v56, 0xf8, v56
	v_and_b32_e32 v57, 7, v47
	v_or_b32_e32 v45, v45, v47
	v_or3_b32 v46, v46, v56, v57
	v_cmp_ne_u32_e32 vcc_lo, 0, v45
	v_lshlrev_b32_e32 v46, 8, v46
	v_cndmask_b32_e32 v45, 0, v46, vcc_lo
.LBB2_4191:                             ;   in Loop: Header=BB2_3820 Depth=2
	s_or_b32 exec_lo, exec_lo, s40
.LBB2_4192:                             ;   in Loop: Header=BB2_3820 Depth=2
	s_or_b32 exec_lo, exec_lo, s29
	v_and_b32_sdwa v47, v12, v86 dst_sel:DWORD dst_unused:UNUSED_PAD src0_sel:WORD_1 src1_sel:DWORD
	s_mov_b32 s13, 0
	s_mov_b32 s29, exec_lo
	v_cmpx_lt_i16_e32 0x7f, v47
	s_xor_b32 s29, exec_lo, s29
	s_cbranch_execz .LBB2_4326
; %bb.4193:                             ;   in Loop: Header=BB2_3820 Depth=2
	s_mov_b32 s13, -1
	s_mov_b32 s40, exec_lo
	v_cmpx_eq_u16_e32 0x80, v47
; %bb.4194:                             ;   in Loop: Header=BB2_3820 Depth=2
	s_xor_b32 s13, exec_lo, -1
; %bb.4195:                             ;   in Loop: Header=BB2_3820 Depth=2
	s_or_b32 exec_lo, exec_lo, s40
	s_and_b32 s13, s13, exec_lo
                                        ; implicit-def: $vgpr47
	s_or_saveexec_b32 s29, s29
	v_mov_b32_e32 v46, 0x7f800001
	s_xor_b32 exec_lo, exec_lo, s29
	s_cbranch_execnz .LBB2_4327
.LBB2_4196:                             ;   in Loop: Header=BB2_3820 Depth=2
	s_or_b32 exec_lo, exec_lo, s29
	s_and_saveexec_b32 s29, s13
	s_cbranch_execz .LBB2_4198
.LBB2_4197:                             ;   in Loop: Header=BB2_3820 Depth=2
	v_bfe_u32 v46, v12, 16, 3
	v_bfe_u32 v57, v12, 19, 4
	v_lshlrev_b32_e32 v58, 8, v12
	v_ffbh_u32_e32 v47, v46
	v_cmp_eq_u32_e32 vcc_lo, 0, v57
	v_min_u32_e32 v47, 32, v47
	v_subrev_nc_u32_e32 v56, 28, v47
	v_sub_nc_u32_e32 v47, 29, v47
	v_lshlrev_b32_sdwa v56, v56, v12 dst_sel:DWORD dst_unused:UNUSED_PAD src0_sel:DWORD src1_sel:WORD_1
	v_cndmask_b32_e32 v47, v57, v47, vcc_lo
	v_and_b32_e32 v56, 7, v56
	v_lshl_add_u32 v47, v47, 23, 0x3b800000
	v_cndmask_b32_e32 v46, v46, v56, vcc_lo
	v_and_b32_e32 v56, 0x80000000, v58
	v_lshlrev_b32_e32 v46, 20, v46
	v_or3_b32 v46, v56, v47, v46
.LBB2_4198:                             ;   in Loop: Header=BB2_3820 Depth=2
	s_or_b32 exec_lo, exec_lo, s29
	v_mul_f32_e32 v47, s28, v46
	v_and_b32_e32 v46, 0x7f800000, v47
	v_cmp_ne_u32_e32 vcc_lo, 0x7f800000, v46
	v_mov_b32_e32 v46, 0x80
	s_and_saveexec_b32 s29, vcc_lo
	s_cbranch_execz .LBB2_4206
; %bb.4199:                             ;   in Loop: Header=BB2_3820 Depth=2
	v_mov_b32_e32 v46, 0
	s_mov_b32 s40, exec_lo
	v_cmpx_ne_u32_e32 0, v47
	s_cbranch_execz .LBB2_4205
; %bb.4200:                             ;   in Loop: Header=BB2_3820 Depth=2
	v_bfe_u32 v46, v47, 23, 8
	v_and_b32_e32 v56, 0x7fffff, v47
	v_sub_nc_u32_e32 v57, 0x78, v46
	v_cmp_gt_u32_e32 vcc_lo, 0x79, v46
	v_or_b32_e32 v58, 0x800000, v56
	v_cndmask_b32_e32 v57, 0, v57, vcc_lo
	v_cmp_eq_u32_e32 vcc_lo, 0, v46
	v_add_nc_u32_e32 v46, 0xffffff89, v46
	v_cndmask_b32_e64 v57, v57, 0x77, vcc_lo
	v_cndmask_b32_e32 v56, v58, v56, vcc_lo
	v_cndmask_b32_e64 v46, v46, 0xffffff8a, vcc_lo
	v_lshl_add_u32 v58, 0x100000, v57, -1
	v_lshrrev_b32_e32 v59, v57, v56
	v_lshlrev_b32_e64 v61, v57, 0x80000
	v_add_nc_u32_e32 v57, v57, v46
	v_and_b32_e32 v56, v58, v56
	v_bfe_u32 v60, v59, 20, 1
	v_cmp_eq_u32_e64 s13, v56, v61
	v_add_nc_u32_e32 v58, -1, v60
	v_cndmask_b32_e64 v56, 0, v58, s13
	v_lshrrev_b32_e32 v58, 23, v59
	s_mov_b32 s13, exec_lo
	v_add_nc_u32_e32 v56, v56, v59
	v_xor_b32_e32 v58, 1, v58
	v_and_b32_e32 v46, 0xfffff, v56
	v_add_nc_u32_e32 v56, v46, v59
                                        ; implicit-def: $vgpr46
	v_cmpx_ne_u32_e64 v57, v58
	s_xor_b32 s13, exec_lo, s13
; %bb.4201:                             ;   in Loop: Header=BB2_3820 Depth=2
	v_cmp_lt_u32_e32 vcc_lo, 0xffffff, v56
	v_sub_nc_u32_e32 v46, v57, v58
	v_cndmask_b32_e64 v57, 0, 1, vcc_lo
	v_add_co_ci_u32_e64 v46, null, 0, v46, vcc_lo
	v_lshrrev_b32_e32 v56, v57, v56
; %bb.4202:                             ;   in Loop: Header=BB2_3820 Depth=2
	s_andn2_saveexec_b32 s13, s13
; %bb.4203:                             ;   in Loop: Header=BB2_3820 Depth=2
	v_bfe_u32 v46, v56, 23, 1
; %bb.4204:                             ;   in Loop: Header=BB2_3820 Depth=2
	s_or_b32 exec_lo, exec_lo, s13
	v_lshrrev_b32_e32 v56, 20, v56
	v_min_i32_e32 v57, 15, v46
	v_cmp_gt_i32_e32 vcc_lo, 16, v46
	v_and_b32_sdwa v47, v47, v83 dst_sel:DWORD dst_unused:UNUSED_PAD src0_sel:BYTE_3 src1_sel:DWORD
	v_lshlrev_b32_e32 v57, 3, v57
	v_cndmask_b32_e32 v56, 7, v56, vcc_lo
	v_and_b32_e32 v57, 0xf8, v57
	v_and_b32_e32 v58, 7, v56
	v_or_b32_e32 v46, v46, v56
	v_or3_b32 v47, v57, v47, v58
	v_cmp_ne_u32_e32 vcc_lo, 0, v46
	v_cndmask_b32_e32 v46, 0, v47, vcc_lo
.LBB2_4205:                             ;   in Loop: Header=BB2_3820 Depth=2
	s_or_b32 exec_lo, exec_lo, s40
.LBB2_4206:                             ;   in Loop: Header=BB2_3820 Depth=2
	s_or_b32 exec_lo, exec_lo, s29
	v_cmp_gt_i16_sdwa s29, v12, v82 src0_sel:BYTE_3 src1_sel:DWORD
	s_mov_b32 s13, 0
	s_and_saveexec_b32 s40, s29
	s_xor_b32 s29, exec_lo, s40
	s_cbranch_execz .LBB2_4328
; %bb.4207:                             ;   in Loop: Header=BB2_3820 Depth=2
	v_cmp_eq_u16_sdwa s41, v12, v83 src0_sel:BYTE_3 src1_sel:DWORD
	s_mov_b32 s13, -1
	s_and_saveexec_b32 s40, s41
; %bb.4208:                             ;   in Loop: Header=BB2_3820 Depth=2
	s_xor_b32 s13, exec_lo, -1
; %bb.4209:                             ;   in Loop: Header=BB2_3820 Depth=2
	s_or_b32 exec_lo, exec_lo, s40
	s_and_b32 s13, s13, exec_lo
	s_or_saveexec_b32 s29, s29
	v_mov_b32_e32 v47, 0x7f800001
	s_xor_b32 exec_lo, exec_lo, s29
	s_cbranch_execnz .LBB2_4329
.LBB2_4210:                             ;   in Loop: Header=BB2_3820 Depth=2
	s_or_b32 exec_lo, exec_lo, s29
	s_and_saveexec_b32 s29, s13
	s_cbranch_execz .LBB2_4212
.LBB2_4211:                             ;   in Loop: Header=BB2_3820 Depth=2
	v_bfe_u32 v47, v12, 24, 3
	v_bfe_u32 v58, v12, 27, 4
	v_ffbh_u32_e32 v56, v47
	v_cmp_eq_u32_e32 vcc_lo, 0, v58
	v_min_u32_e32 v56, 32, v56
	v_subrev_nc_u32_e32 v57, 28, v56
	v_sub_nc_u32_e32 v56, 29, v56
	v_lshlrev_b32_sdwa v57, v57, v12 dst_sel:DWORD dst_unused:UNUSED_PAD src0_sel:DWORD src1_sel:BYTE_3
	v_cndmask_b32_e32 v56, v58, v56, vcc_lo
	v_and_b32_e32 v12, 0x80000000, v12
	v_and_b32_e32 v57, 7, v57
	v_lshl_add_u32 v56, v56, 23, 0x3b800000
	v_cndmask_b32_e32 v47, v47, v57, vcc_lo
	v_lshlrev_b32_e32 v47, 20, v47
	v_or3_b32 v47, v12, v56, v47
.LBB2_4212:                             ;   in Loop: Header=BB2_3820 Depth=2
	s_or_b32 exec_lo, exec_lo, s29
	v_mul_f32_e32 v47, s28, v47
	v_and_b32_e32 v12, 0x7f800000, v47
	v_cmp_ne_u32_e32 vcc_lo, 0x7f800000, v12
	v_mov_b32_e32 v12, 0x8000
	s_and_saveexec_b32 s29, vcc_lo
	s_cbranch_execz .LBB2_4220
; %bb.4213:                             ;   in Loop: Header=BB2_3820 Depth=2
	v_mov_b32_e32 v12, 0
	s_mov_b32 s40, exec_lo
	v_cmpx_ne_u32_e32 0, v47
	s_cbranch_execz .LBB2_4219
; %bb.4214:                             ;   in Loop: Header=BB2_3820 Depth=2
	v_bfe_u32 v12, v47, 23, 8
	v_and_b32_e32 v56, 0x7fffff, v47
	v_sub_nc_u32_e32 v57, 0x78, v12
	v_cmp_gt_u32_e32 vcc_lo, 0x79, v12
	v_or_b32_e32 v58, 0x800000, v56
	v_cndmask_b32_e32 v57, 0, v57, vcc_lo
	v_cmp_eq_u32_e32 vcc_lo, 0, v12
	v_add_nc_u32_e32 v12, 0xffffff89, v12
	v_cndmask_b32_e64 v57, v57, 0x77, vcc_lo
	v_cndmask_b32_e32 v56, v58, v56, vcc_lo
	v_cndmask_b32_e64 v12, v12, 0xffffff8a, vcc_lo
	v_lshl_add_u32 v58, 0x100000, v57, -1
	v_lshrrev_b32_e32 v59, v57, v56
	v_lshlrev_b32_e64 v61, v57, 0x80000
	v_add_nc_u32_e32 v57, v57, v12
	v_and_b32_e32 v56, v58, v56
	v_bfe_u32 v60, v59, 20, 1
	v_cmp_eq_u32_e64 s13, v56, v61
	v_add_nc_u32_e32 v58, -1, v60
	v_cndmask_b32_e64 v56, 0, v58, s13
	v_lshrrev_b32_e32 v58, 23, v59
	s_mov_b32 s13, exec_lo
	v_add_nc_u32_e32 v56, v56, v59
	v_xor_b32_e32 v58, 1, v58
	v_and_b32_e32 v12, 0xfffff, v56
	v_add_nc_u32_e32 v56, v12, v59
                                        ; implicit-def: $vgpr12
	v_cmpx_ne_u32_e64 v57, v58
	s_xor_b32 s13, exec_lo, s13
; %bb.4215:                             ;   in Loop: Header=BB2_3820 Depth=2
	v_cmp_lt_u32_e32 vcc_lo, 0xffffff, v56
	v_sub_nc_u32_e32 v12, v57, v58
	v_cndmask_b32_e64 v57, 0, 1, vcc_lo
	v_add_co_ci_u32_e64 v12, null, 0, v12, vcc_lo
	v_lshrrev_b32_e32 v56, v57, v56
; %bb.4216:                             ;   in Loop: Header=BB2_3820 Depth=2
	s_andn2_saveexec_b32 s13, s13
; %bb.4217:                             ;   in Loop: Header=BB2_3820 Depth=2
	v_bfe_u32 v12, v56, 23, 1
; %bb.4218:                             ;   in Loop: Header=BB2_3820 Depth=2
	s_or_b32 exec_lo, exec_lo, s13
	v_lshrrev_b32_e32 v56, 20, v56
	v_min_i32_e32 v57, 15, v12
	v_cmp_gt_i32_e32 vcc_lo, 16, v12
	v_and_b32_sdwa v47, v47, v83 dst_sel:DWORD dst_unused:UNUSED_PAD src0_sel:BYTE_3 src1_sel:DWORD
	v_lshlrev_b32_e32 v57, 3, v57
	v_cndmask_b32_e32 v56, 7, v56, vcc_lo
	v_and_b32_e32 v57, 0xf8, v57
	v_and_b32_e32 v58, 7, v56
	v_or_b32_e32 v12, v12, v56
	v_or3_b32 v47, v47, v57, v58
	v_cmp_ne_u32_e32 vcc_lo, 0, v12
	v_lshlrev_b32_e32 v47, 8, v47
	v_cndmask_b32_e32 v12, 0, v47, vcc_lo
.LBB2_4219:                             ;   in Loop: Header=BB2_3820 Depth=2
	s_or_b32 exec_lo, exec_lo, s40
.LBB2_4220:                             ;   in Loop: Header=BB2_3820 Depth=2
	s_or_b32 exec_lo, exec_lo, s29
	v_cmp_gt_i16_sdwa s29, v13, v82 src0_sel:BYTE_0 src1_sel:DWORD
	s_mov_b32 s13, 0
	s_and_saveexec_b32 s40, s29
	s_xor_b32 s29, exec_lo, s40
	s_cbranch_execz .LBB2_4330
; %bb.4221:                             ;   in Loop: Header=BB2_3820 Depth=2
	v_cmp_eq_u16_sdwa s41, v13, v83 src0_sel:BYTE_0 src1_sel:DWORD
	s_mov_b32 s13, -1
	s_and_saveexec_b32 s40, s41
; %bb.4222:                             ;   in Loop: Header=BB2_3820 Depth=2
	s_xor_b32 s13, exec_lo, -1
; %bb.4223:                             ;   in Loop: Header=BB2_3820 Depth=2
	s_or_b32 exec_lo, exec_lo, s40
	s_and_b32 s13, s13, exec_lo
	s_or_saveexec_b32 s29, s29
	v_mov_b32_e32 v47, 0x7f800001
	s_xor_b32 exec_lo, exec_lo, s29
	s_cbranch_execnz .LBB2_4331
.LBB2_4224:                             ;   in Loop: Header=BB2_3820 Depth=2
	s_or_b32 exec_lo, exec_lo, s29
	s_and_saveexec_b32 s29, s13
	s_cbranch_execz .LBB2_4226
.LBB2_4225:                             ;   in Loop: Header=BB2_3820 Depth=2
	v_and_b32_e32 v47, 7, v13
	v_bfe_u32 v58, v13, 3, 4
	v_lshlrev_b32_e32 v59, 24, v13
	v_ffbh_u32_e32 v56, v47
	v_cmp_eq_u32_e32 vcc_lo, 0, v58
	v_min_u32_e32 v56, 32, v56
	v_subrev_nc_u32_e32 v57, 28, v56
	v_sub_nc_u32_e32 v56, 29, v56
	v_lshlrev_b32_e32 v57, v57, v13
	v_cndmask_b32_e32 v56, v58, v56, vcc_lo
	v_and_b32_e32 v57, 7, v57
	v_lshl_add_u32 v56, v56, 23, 0x3b800000
	v_cndmask_b32_e32 v47, v47, v57, vcc_lo
	v_and_b32_e32 v57, 0x80000000, v59
	v_lshlrev_b32_e32 v47, 20, v47
	v_or3_b32 v47, v57, v56, v47
.LBB2_4226:                             ;   in Loop: Header=BB2_3820 Depth=2
	s_or_b32 exec_lo, exec_lo, s29
	v_mul_f32_e32 v56, s28, v47
	v_and_b32_e32 v47, 0x7f800000, v56
	v_cmp_ne_u32_e32 vcc_lo, 0x7f800000, v47
	v_mov_b32_e32 v47, 0x80
	s_and_saveexec_b32 s29, vcc_lo
	s_cbranch_execz .LBB2_4234
; %bb.4227:                             ;   in Loop: Header=BB2_3820 Depth=2
	v_mov_b32_e32 v47, 0
	s_mov_b32 s40, exec_lo
	v_cmpx_ne_u32_e32 0, v56
	s_cbranch_execz .LBB2_4233
; %bb.4228:                             ;   in Loop: Header=BB2_3820 Depth=2
	v_bfe_u32 v47, v56, 23, 8
	v_and_b32_e32 v57, 0x7fffff, v56
	v_sub_nc_u32_e32 v58, 0x78, v47
	v_cmp_gt_u32_e32 vcc_lo, 0x79, v47
	v_or_b32_e32 v59, 0x800000, v57
	v_cndmask_b32_e32 v58, 0, v58, vcc_lo
	v_cmp_eq_u32_e32 vcc_lo, 0, v47
	v_add_nc_u32_e32 v47, 0xffffff89, v47
	v_cndmask_b32_e64 v58, v58, 0x77, vcc_lo
	v_cndmask_b32_e32 v57, v59, v57, vcc_lo
	v_cndmask_b32_e64 v47, v47, 0xffffff8a, vcc_lo
	v_lshl_add_u32 v59, 0x100000, v58, -1
	v_lshrrev_b32_e32 v60, v58, v57
	v_lshlrev_b32_e64 v62, v58, 0x80000
	v_add_nc_u32_e32 v58, v58, v47
	v_and_b32_e32 v57, v59, v57
	v_bfe_u32 v61, v60, 20, 1
	v_cmp_eq_u32_e64 s13, v57, v62
	v_add_nc_u32_e32 v59, -1, v61
	v_cndmask_b32_e64 v57, 0, v59, s13
	v_lshrrev_b32_e32 v59, 23, v60
	s_mov_b32 s13, exec_lo
	v_add_nc_u32_e32 v57, v57, v60
	v_xor_b32_e32 v59, 1, v59
	v_and_b32_e32 v47, 0xfffff, v57
	v_add_nc_u32_e32 v57, v47, v60
                                        ; implicit-def: $vgpr47
	v_cmpx_ne_u32_e64 v58, v59
	s_xor_b32 s13, exec_lo, s13
; %bb.4229:                             ;   in Loop: Header=BB2_3820 Depth=2
	v_cmp_lt_u32_e32 vcc_lo, 0xffffff, v57
	v_sub_nc_u32_e32 v47, v58, v59
	v_cndmask_b32_e64 v58, 0, 1, vcc_lo
	v_add_co_ci_u32_e64 v47, null, 0, v47, vcc_lo
	v_lshrrev_b32_e32 v57, v58, v57
; %bb.4230:                             ;   in Loop: Header=BB2_3820 Depth=2
	s_andn2_saveexec_b32 s13, s13
; %bb.4231:                             ;   in Loop: Header=BB2_3820 Depth=2
	v_bfe_u32 v47, v57, 23, 1
; %bb.4232:                             ;   in Loop: Header=BB2_3820 Depth=2
	s_or_b32 exec_lo, exec_lo, s13
	v_lshrrev_b32_e32 v57, 20, v57
	v_min_i32_e32 v58, 15, v47
	v_cmp_gt_i32_e32 vcc_lo, 16, v47
	v_and_b32_sdwa v56, v56, v83 dst_sel:DWORD dst_unused:UNUSED_PAD src0_sel:BYTE_3 src1_sel:DWORD
	v_lshlrev_b32_e32 v58, 3, v58
	v_cndmask_b32_e32 v57, 7, v57, vcc_lo
	v_and_b32_e32 v58, 0xf8, v58
	v_and_b32_e32 v59, 7, v57
	v_or_b32_e32 v47, v47, v57
	v_or3_b32 v56, v58, v56, v59
	v_cmp_ne_u32_e32 vcc_lo, 0, v47
	v_cndmask_b32_e32 v47, 0, v56, vcc_lo
.LBB2_4233:                             ;   in Loop: Header=BB2_3820 Depth=2
	s_or_b32 exec_lo, exec_lo, s40
.LBB2_4234:                             ;   in Loop: Header=BB2_3820 Depth=2
	s_or_b32 exec_lo, exec_lo, s29
	v_cmp_gt_i16_sdwa s29, v13, v82 src0_sel:BYTE_1 src1_sel:DWORD
	s_mov_b32 s13, 0
	s_and_saveexec_b32 s40, s29
	s_xor_b32 s29, exec_lo, s40
	s_cbranch_execz .LBB2_4332
; %bb.4235:                             ;   in Loop: Header=BB2_3820 Depth=2
	v_cmp_eq_u16_sdwa s41, v13, v83 src0_sel:BYTE_1 src1_sel:DWORD
	s_mov_b32 s13, -1
	s_and_saveexec_b32 s40, s41
; %bb.4236:                             ;   in Loop: Header=BB2_3820 Depth=2
	s_xor_b32 s13, exec_lo, -1
; %bb.4237:                             ;   in Loop: Header=BB2_3820 Depth=2
	s_or_b32 exec_lo, exec_lo, s40
	s_and_b32 s13, s13, exec_lo
	s_or_saveexec_b32 s29, s29
	v_mov_b32_e32 v56, 0x7f800001
	s_xor_b32 exec_lo, exec_lo, s29
	s_cbranch_execnz .LBB2_4333
.LBB2_4238:                             ;   in Loop: Header=BB2_3820 Depth=2
	s_or_b32 exec_lo, exec_lo, s29
	s_and_saveexec_b32 s29, s13
	s_cbranch_execz .LBB2_4240
.LBB2_4239:                             ;   in Loop: Header=BB2_3820 Depth=2
	v_and_b32_sdwa v56, v84, v13 dst_sel:DWORD dst_unused:UNUSED_PAD src0_sel:DWORD src1_sel:BYTE_1
	v_and_b32_e32 v57, 7, v56
	v_bfe_u32 v60, v56, 3, 4
	v_ffbh_u32_e32 v58, v57
	v_cmp_eq_u32_e32 vcc_lo, 0, v60
	v_min_u32_e32 v58, 32, v58
	v_subrev_nc_u32_e32 v59, 28, v58
	v_sub_nc_u32_e32 v58, 29, v58
	v_lshlrev_b32_e32 v56, v59, v56
	v_lshlrev_b32_sdwa v59, v85, v13 dst_sel:DWORD dst_unused:UNUSED_PAD src0_sel:DWORD src1_sel:BYTE_1
	v_cndmask_b32_e32 v58, v60, v58, vcc_lo
	v_and_b32_e32 v56, 7, v56
	v_lshl_add_u32 v58, v58, 23, 0x3b800000
	v_cndmask_b32_e32 v56, v57, v56, vcc_lo
	v_and_b32_e32 v57, 0x80000000, v59
	v_lshlrev_b32_e32 v56, 20, v56
	v_or3_b32 v56, v57, v58, v56
.LBB2_4240:                             ;   in Loop: Header=BB2_3820 Depth=2
	s_or_b32 exec_lo, exec_lo, s29
	v_mul_f32_e32 v57, s28, v56
	v_and_b32_e32 v56, 0x7f800000, v57
	v_cmp_ne_u32_e32 vcc_lo, 0x7f800000, v56
	v_mov_b32_e32 v56, 0x8000
	s_and_saveexec_b32 s29, vcc_lo
	s_cbranch_execz .LBB2_4248
; %bb.4241:                             ;   in Loop: Header=BB2_3820 Depth=2
	v_mov_b32_e32 v56, 0
	s_mov_b32 s40, exec_lo
	v_cmpx_ne_u32_e32 0, v57
	s_cbranch_execz .LBB2_4247
; %bb.4242:                             ;   in Loop: Header=BB2_3820 Depth=2
	v_bfe_u32 v56, v57, 23, 8
	v_and_b32_e32 v58, 0x7fffff, v57
	v_sub_nc_u32_e32 v59, 0x78, v56
	v_cmp_gt_u32_e32 vcc_lo, 0x79, v56
	v_or_b32_e32 v60, 0x800000, v58
	v_cndmask_b32_e32 v59, 0, v59, vcc_lo
	v_cmp_eq_u32_e32 vcc_lo, 0, v56
	v_add_nc_u32_e32 v56, 0xffffff89, v56
	v_cndmask_b32_e64 v59, v59, 0x77, vcc_lo
	v_cndmask_b32_e32 v58, v60, v58, vcc_lo
	v_cndmask_b32_e64 v56, v56, 0xffffff8a, vcc_lo
	v_lshl_add_u32 v60, 0x100000, v59, -1
	v_lshrrev_b32_e32 v61, v59, v58
	v_lshlrev_b32_e64 v63, v59, 0x80000
	v_add_nc_u32_e32 v59, v59, v56
	v_and_b32_e32 v58, v60, v58
	v_bfe_u32 v62, v61, 20, 1
	v_cmp_eq_u32_e64 s13, v58, v63
	v_add_nc_u32_e32 v60, -1, v62
	v_cndmask_b32_e64 v58, 0, v60, s13
	v_lshrrev_b32_e32 v60, 23, v61
	s_mov_b32 s13, exec_lo
	v_add_nc_u32_e32 v58, v58, v61
	v_xor_b32_e32 v60, 1, v60
	v_and_b32_e32 v56, 0xfffff, v58
	v_add_nc_u32_e32 v58, v56, v61
                                        ; implicit-def: $vgpr56
	v_cmpx_ne_u32_e64 v59, v60
	s_xor_b32 s13, exec_lo, s13
; %bb.4243:                             ;   in Loop: Header=BB2_3820 Depth=2
	v_cmp_lt_u32_e32 vcc_lo, 0xffffff, v58
	v_sub_nc_u32_e32 v56, v59, v60
	v_cndmask_b32_e64 v59, 0, 1, vcc_lo
	v_add_co_ci_u32_e64 v56, null, 0, v56, vcc_lo
	v_lshrrev_b32_e32 v58, v59, v58
; %bb.4244:                             ;   in Loop: Header=BB2_3820 Depth=2
	s_andn2_saveexec_b32 s13, s13
; %bb.4245:                             ;   in Loop: Header=BB2_3820 Depth=2
	v_bfe_u32 v56, v58, 23, 1
; %bb.4246:                             ;   in Loop: Header=BB2_3820 Depth=2
	s_or_b32 exec_lo, exec_lo, s13
	v_lshrrev_b32_e32 v58, 20, v58
	v_min_i32_e32 v59, 15, v56
	v_cmp_gt_i32_e32 vcc_lo, 16, v56
	v_and_b32_sdwa v57, v57, v83 dst_sel:DWORD dst_unused:UNUSED_PAD src0_sel:BYTE_3 src1_sel:DWORD
	v_lshlrev_b32_e32 v59, 3, v59
	v_cndmask_b32_e32 v58, 7, v58, vcc_lo
	v_and_b32_e32 v59, 0xf8, v59
	v_and_b32_e32 v60, 7, v58
	v_or_b32_e32 v56, v56, v58
	v_or3_b32 v57, v57, v59, v60
	v_cmp_ne_u32_e32 vcc_lo, 0, v56
	v_lshlrev_b32_e32 v57, 8, v57
	v_cndmask_b32_e32 v56, 0, v57, vcc_lo
.LBB2_4247:                             ;   in Loop: Header=BB2_3820 Depth=2
	s_or_b32 exec_lo, exec_lo, s40
.LBB2_4248:                             ;   in Loop: Header=BB2_3820 Depth=2
	s_or_b32 exec_lo, exec_lo, s29
	v_and_b32_sdwa v58, v13, v86 dst_sel:DWORD dst_unused:UNUSED_PAD src0_sel:WORD_1 src1_sel:DWORD
	s_mov_b32 s13, 0
	s_mov_b32 s29, exec_lo
	v_cmpx_lt_i16_e32 0x7f, v58
	s_xor_b32 s29, exec_lo, s29
	s_cbranch_execz .LBB2_4334
; %bb.4249:                             ;   in Loop: Header=BB2_3820 Depth=2
	s_mov_b32 s13, -1
	s_mov_b32 s40, exec_lo
	v_cmpx_eq_u16_e32 0x80, v58
; %bb.4250:                             ;   in Loop: Header=BB2_3820 Depth=2
	s_xor_b32 s13, exec_lo, -1
; %bb.4251:                             ;   in Loop: Header=BB2_3820 Depth=2
	s_or_b32 exec_lo, exec_lo, s40
	s_and_b32 s13, s13, exec_lo
                                        ; implicit-def: $vgpr58
	s_or_saveexec_b32 s29, s29
	v_mov_b32_e32 v57, 0x7f800001
	s_xor_b32 exec_lo, exec_lo, s29
	s_cbranch_execnz .LBB2_4335
.LBB2_4252:                             ;   in Loop: Header=BB2_3820 Depth=2
	s_or_b32 exec_lo, exec_lo, s29
	s_and_saveexec_b32 s29, s13
	s_cbranch_execz .LBB2_4254
.LBB2_4253:                             ;   in Loop: Header=BB2_3820 Depth=2
	v_bfe_u32 v57, v13, 16, 3
	v_bfe_u32 v60, v13, 19, 4
	v_lshlrev_b32_e32 v61, 8, v13
	v_ffbh_u32_e32 v58, v57
	v_cmp_eq_u32_e32 vcc_lo, 0, v60
	v_min_u32_e32 v58, 32, v58
	v_subrev_nc_u32_e32 v59, 28, v58
	v_sub_nc_u32_e32 v58, 29, v58
	v_lshlrev_b32_sdwa v59, v59, v13 dst_sel:DWORD dst_unused:UNUSED_PAD src0_sel:DWORD src1_sel:WORD_1
	v_cndmask_b32_e32 v58, v60, v58, vcc_lo
	v_and_b32_e32 v59, 7, v59
	v_lshl_add_u32 v58, v58, 23, 0x3b800000
	v_cndmask_b32_e32 v57, v57, v59, vcc_lo
	v_and_b32_e32 v59, 0x80000000, v61
	v_lshlrev_b32_e32 v57, 20, v57
	v_or3_b32 v57, v59, v58, v57
.LBB2_4254:                             ;   in Loop: Header=BB2_3820 Depth=2
	s_or_b32 exec_lo, exec_lo, s29
	v_mul_f32_e32 v58, s28, v57
	v_and_b32_e32 v57, 0x7f800000, v58
	v_cmp_ne_u32_e32 vcc_lo, 0x7f800000, v57
	v_mov_b32_e32 v57, 0x80
	s_and_saveexec_b32 s29, vcc_lo
	s_cbranch_execz .LBB2_4262
; %bb.4255:                             ;   in Loop: Header=BB2_3820 Depth=2
	v_mov_b32_e32 v57, 0
	s_mov_b32 s40, exec_lo
	v_cmpx_ne_u32_e32 0, v58
	s_cbranch_execz .LBB2_4261
; %bb.4256:                             ;   in Loop: Header=BB2_3820 Depth=2
	v_bfe_u32 v57, v58, 23, 8
	v_and_b32_e32 v59, 0x7fffff, v58
	v_sub_nc_u32_e32 v60, 0x78, v57
	v_cmp_gt_u32_e32 vcc_lo, 0x79, v57
	v_or_b32_e32 v61, 0x800000, v59
	v_cndmask_b32_e32 v60, 0, v60, vcc_lo
	v_cmp_eq_u32_e32 vcc_lo, 0, v57
	v_add_nc_u32_e32 v57, 0xffffff89, v57
	v_cndmask_b32_e64 v60, v60, 0x77, vcc_lo
	v_cndmask_b32_e32 v59, v61, v59, vcc_lo
	v_cndmask_b32_e64 v57, v57, 0xffffff8a, vcc_lo
	v_lshl_add_u32 v61, 0x100000, v60, -1
	v_lshrrev_b32_e32 v62, v60, v59
	v_lshlrev_b32_e64 v72, v60, 0x80000
	v_add_nc_u32_e32 v60, v60, v57
	v_and_b32_e32 v59, v61, v59
	v_bfe_u32 v63, v62, 20, 1
	v_cmp_eq_u32_e64 s13, v59, v72
	v_add_nc_u32_e32 v61, -1, v63
	v_cndmask_b32_e64 v59, 0, v61, s13
	v_lshrrev_b32_e32 v61, 23, v62
	s_mov_b32 s13, exec_lo
	v_add_nc_u32_e32 v59, v59, v62
	v_xor_b32_e32 v61, 1, v61
	v_and_b32_e32 v57, 0xfffff, v59
	v_add_nc_u32_e32 v59, v57, v62
                                        ; implicit-def: $vgpr57
	v_cmpx_ne_u32_e64 v60, v61
	s_xor_b32 s13, exec_lo, s13
; %bb.4257:                             ;   in Loop: Header=BB2_3820 Depth=2
	v_cmp_lt_u32_e32 vcc_lo, 0xffffff, v59
	v_sub_nc_u32_e32 v57, v60, v61
	v_cndmask_b32_e64 v60, 0, 1, vcc_lo
	v_add_co_ci_u32_e64 v57, null, 0, v57, vcc_lo
	v_lshrrev_b32_e32 v59, v60, v59
; %bb.4258:                             ;   in Loop: Header=BB2_3820 Depth=2
	s_andn2_saveexec_b32 s13, s13
; %bb.4259:                             ;   in Loop: Header=BB2_3820 Depth=2
	v_bfe_u32 v57, v59, 23, 1
; %bb.4260:                             ;   in Loop: Header=BB2_3820 Depth=2
	s_or_b32 exec_lo, exec_lo, s13
	v_lshrrev_b32_e32 v59, 20, v59
	v_min_i32_e32 v60, 15, v57
	v_cmp_gt_i32_e32 vcc_lo, 16, v57
	v_and_b32_sdwa v58, v58, v83 dst_sel:DWORD dst_unused:UNUSED_PAD src0_sel:BYTE_3 src1_sel:DWORD
	v_lshlrev_b32_e32 v60, 3, v60
	v_cndmask_b32_e32 v59, 7, v59, vcc_lo
	v_and_b32_e32 v60, 0xf8, v60
	v_and_b32_e32 v61, 7, v59
	v_or_b32_e32 v57, v57, v59
	v_or3_b32 v58, v60, v58, v61
	v_cmp_ne_u32_e32 vcc_lo, 0, v57
	v_cndmask_b32_e32 v57, 0, v58, vcc_lo
.LBB2_4261:                             ;   in Loop: Header=BB2_3820 Depth=2
	s_or_b32 exec_lo, exec_lo, s40
.LBB2_4262:                             ;   in Loop: Header=BB2_3820 Depth=2
	s_or_b32 exec_lo, exec_lo, s29
	v_cmp_gt_i16_sdwa s29, v13, v82 src0_sel:BYTE_3 src1_sel:DWORD
	s_mov_b32 s13, 0
	s_and_saveexec_b32 s40, s29
	s_xor_b32 s29, exec_lo, s40
	s_cbranch_execz .LBB2_4336
; %bb.4263:                             ;   in Loop: Header=BB2_3820 Depth=2
	v_cmp_eq_u16_sdwa s41, v13, v83 src0_sel:BYTE_3 src1_sel:DWORD
	s_mov_b32 s13, -1
	s_and_saveexec_b32 s40, s41
; %bb.4264:                             ;   in Loop: Header=BB2_3820 Depth=2
	s_xor_b32 s13, exec_lo, -1
; %bb.4265:                             ;   in Loop: Header=BB2_3820 Depth=2
	s_or_b32 exec_lo, exec_lo, s40
	s_and_b32 s13, s13, exec_lo
	s_or_saveexec_b32 s29, s29
	v_mov_b32_e32 v58, 0x7f800001
	s_xor_b32 exec_lo, exec_lo, s29
	s_cbranch_execnz .LBB2_4337
.LBB2_4266:                             ;   in Loop: Header=BB2_3820 Depth=2
	s_or_b32 exec_lo, exec_lo, s29
	s_and_saveexec_b32 s29, s13
	s_cbranch_execz .LBB2_4268
.LBB2_4267:                             ;   in Loop: Header=BB2_3820 Depth=2
	v_bfe_u32 v58, v13, 24, 3
	v_bfe_u32 v61, v13, 27, 4
	v_ffbh_u32_e32 v59, v58
	v_cmp_eq_u32_e32 vcc_lo, 0, v61
	v_min_u32_e32 v59, 32, v59
	v_subrev_nc_u32_e32 v60, 28, v59
	v_sub_nc_u32_e32 v59, 29, v59
	v_lshlrev_b32_sdwa v60, v60, v13 dst_sel:DWORD dst_unused:UNUSED_PAD src0_sel:DWORD src1_sel:BYTE_3
	v_cndmask_b32_e32 v59, v61, v59, vcc_lo
	v_and_b32_e32 v13, 0x80000000, v13
	v_and_b32_e32 v60, 7, v60
	v_lshl_add_u32 v59, v59, 23, 0x3b800000
	v_cndmask_b32_e32 v58, v58, v60, vcc_lo
	v_lshlrev_b32_e32 v58, 20, v58
	v_or3_b32 v58, v13, v59, v58
.LBB2_4268:                             ;   in Loop: Header=BB2_3820 Depth=2
	s_or_b32 exec_lo, exec_lo, s29
	v_mul_f32_e32 v13, s28, v58
	v_and_b32_e32 v58, 0x7f800000, v13
	v_cmp_ne_u32_e32 vcc_lo, 0x7f800000, v58
	v_mov_b32_e32 v58, 0x8000
	s_and_saveexec_b32 s28, vcc_lo
	s_cbranch_execz .LBB2_3819
; %bb.4269:                             ;   in Loop: Header=BB2_3820 Depth=2
	v_mov_b32_e32 v58, 0
	s_mov_b32 s29, exec_lo
	v_cmpx_ne_u32_e32 0, v13
	s_cbranch_execz .LBB2_3818
; %bb.4270:                             ;   in Loop: Header=BB2_3820 Depth=2
	v_bfe_u32 v58, v13, 23, 8
	v_and_b32_e32 v59, 0x7fffff, v13
	v_sub_nc_u32_e32 v60, 0x78, v58
	v_cmp_gt_u32_e32 vcc_lo, 0x79, v58
	v_or_b32_e32 v61, 0x800000, v59
	v_cndmask_b32_e32 v60, 0, v60, vcc_lo
	v_cmp_eq_u32_e32 vcc_lo, 0, v58
	v_add_nc_u32_e32 v58, 0xffffff89, v58
	v_cndmask_b32_e64 v60, v60, 0x77, vcc_lo
	v_cndmask_b32_e32 v59, v61, v59, vcc_lo
	v_cndmask_b32_e64 v58, v58, 0xffffff8a, vcc_lo
	v_lshl_add_u32 v61, 0x100000, v60, -1
	v_lshrrev_b32_e32 v62, v60, v59
	v_lshlrev_b32_e64 v72, v60, 0x80000
	v_add_nc_u32_e32 v60, v60, v58
	v_and_b32_e32 v59, v61, v59
	v_bfe_u32 v63, v62, 20, 1
	v_cmp_eq_u32_e64 s13, v59, v72
	v_add_nc_u32_e32 v61, -1, v63
	v_cndmask_b32_e64 v59, 0, v61, s13
	v_lshrrev_b32_e32 v61, 23, v62
	s_mov_b32 s13, exec_lo
	v_add_nc_u32_e32 v59, v59, v62
	v_xor_b32_e32 v61, 1, v61
	v_and_b32_e32 v58, 0xfffff, v59
	v_add_nc_u32_e32 v59, v58, v62
                                        ; implicit-def: $vgpr58
	v_cmpx_ne_u32_e64 v60, v61
	s_xor_b32 s13, exec_lo, s13
; %bb.4271:                             ;   in Loop: Header=BB2_3820 Depth=2
	v_cmp_lt_u32_e32 vcc_lo, 0xffffff, v59
	v_sub_nc_u32_e32 v58, v60, v61
	v_cndmask_b32_e64 v60, 0, 1, vcc_lo
	v_add_co_ci_u32_e64 v58, null, 0, v58, vcc_lo
	v_lshrrev_b32_e32 v59, v60, v59
; %bb.4272:                             ;   in Loop: Header=BB2_3820 Depth=2
	s_andn2_saveexec_b32 s13, s13
	s_cbranch_execz .LBB2_3817
; %bb.4273:                             ;   in Loop: Header=BB2_3820 Depth=2
	v_bfe_u32 v58, v59, 23, 1
	s_branch .LBB2_3817
.LBB2_4274:                             ;   in Loop: Header=BB2_3820 Depth=2
	s_or_saveexec_b32 s29, s29
	v_mov_b32_e32 v96, 0x7f800001
	s_xor_b32 exec_lo, exec_lo, s29
	s_cbranch_execz .LBB2_3832
.LBB2_4275:                             ;   in Loop: Header=BB2_3820 Depth=2
	v_cmp_ne_u16_sdwa s40, v10, v33 src0_sel:BYTE_0 src1_sel:DWORD
	v_mov_b32_e32 v96, 0
	s_andn2_b32 s13, s13, exec_lo
	s_and_b32 s40, s40, exec_lo
	s_or_b32 s13, s13, s40
	s_or_b32 exec_lo, exec_lo, s29
	s_and_saveexec_b32 s29, s13
	s_cbranch_execnz .LBB2_3833
	s_branch .LBB2_3834
.LBB2_4276:                             ;   in Loop: Header=BB2_3820 Depth=2
	s_or_saveexec_b32 s29, s29
	v_mov_b32_e32 v97, 0x7f800001
	s_xor_b32 exec_lo, exec_lo, s29
	s_cbranch_execz .LBB2_3846
.LBB2_4277:                             ;   in Loop: Header=BB2_3820 Depth=2
	v_cmp_ne_u16_sdwa s40, v10, v33 src0_sel:BYTE_1 src1_sel:DWORD
	v_mov_b32_e32 v97, 0
	s_andn2_b32 s13, s13, exec_lo
	s_and_b32 s40, s40, exec_lo
	s_or_b32 s13, s13, s40
	s_or_b32 exec_lo, exec_lo, s29
	s_and_saveexec_b32 s29, s13
	s_cbranch_execnz .LBB2_3847
	s_branch .LBB2_3848
.LBB2_4278:                             ;   in Loop: Header=BB2_3820 Depth=2
	s_or_saveexec_b32 s29, s29
	v_mov_b32_e32 v98, 0x7f800001
	s_xor_b32 exec_lo, exec_lo, s29
	s_cbranch_execz .LBB2_3860
.LBB2_4279:                             ;   in Loop: Header=BB2_3820 Depth=2
	v_cmp_ne_u16_e32 vcc_lo, 0, v99
	v_mov_b32_e32 v98, 0
	s_andn2_b32 s13, s13, exec_lo
	s_and_b32 s40, vcc_lo, exec_lo
	s_or_b32 s13, s13, s40
	s_or_b32 exec_lo, exec_lo, s29
	s_and_saveexec_b32 s29, s13
	s_cbranch_execnz .LBB2_3861
	s_branch .LBB2_3862
.LBB2_4280:                             ;   in Loop: Header=BB2_3820 Depth=2
	s_or_saveexec_b32 s29, s29
	v_mov_b32_e32 v99, 0x7f800001
	s_xor_b32 exec_lo, exec_lo, s29
	s_cbranch_execz .LBB2_3874
.LBB2_4281:                             ;   in Loop: Header=BB2_3820 Depth=2
	v_cmp_ne_u16_sdwa s40, v10, v33 src0_sel:BYTE_3 src1_sel:DWORD
	v_mov_b32_e32 v99, 0
	s_andn2_b32 s13, s13, exec_lo
	s_and_b32 s40, s40, exec_lo
	s_or_b32 s13, s13, s40
	s_or_b32 exec_lo, exec_lo, s29
	s_and_saveexec_b32 s29, s13
	s_cbranch_execnz .LBB2_3875
	s_branch .LBB2_3876
.LBB2_4282:                             ;   in Loop: Header=BB2_3820 Depth=2
	s_or_saveexec_b32 s29, s29
	v_mov_b32_e32 v10, 0x7f800001
	s_xor_b32 exec_lo, exec_lo, s29
	s_cbranch_execz .LBB2_3888
.LBB2_4283:                             ;   in Loop: Header=BB2_3820 Depth=2
	v_cmp_ne_u16_sdwa s40, v11, v33 src0_sel:BYTE_0 src1_sel:DWORD
	v_mov_b32_e32 v10, 0
	s_andn2_b32 s13, s13, exec_lo
	s_and_b32 s40, s40, exec_lo
	s_or_b32 s13, s13, s40
	s_or_b32 exec_lo, exec_lo, s29
	s_and_saveexec_b32 s29, s13
	s_cbranch_execnz .LBB2_3889
	s_branch .LBB2_3890
.LBB2_4284:                             ;   in Loop: Header=BB2_3820 Depth=2
	s_or_saveexec_b32 s29, s29
	v_mov_b32_e32 v10, 0x7f800001
	s_xor_b32 exec_lo, exec_lo, s29
	s_cbranch_execz .LBB2_3902
.LBB2_4285:                             ;   in Loop: Header=BB2_3820 Depth=2
	v_cmp_ne_u16_sdwa s40, v11, v33 src0_sel:BYTE_1 src1_sel:DWORD
	v_mov_b32_e32 v10, 0
	s_andn2_b32 s13, s13, exec_lo
	s_and_b32 s40, s40, exec_lo
	s_or_b32 s13, s13, s40
	s_or_b32 exec_lo, exec_lo, s29
	s_and_saveexec_b32 s29, s13
	s_cbranch_execnz .LBB2_3903
	s_branch .LBB2_3904
.LBB2_4286:                             ;   in Loop: Header=BB2_3820 Depth=2
	s_or_saveexec_b32 s29, s29
	v_mov_b32_e32 v10, 0x7f800001
	s_xor_b32 exec_lo, exec_lo, s29
	s_cbranch_execz .LBB2_3916
.LBB2_4287:                             ;   in Loop: Header=BB2_3820 Depth=2
	v_cmp_ne_u16_e32 vcc_lo, 0, v102
	v_mov_b32_e32 v10, 0
	s_andn2_b32 s13, s13, exec_lo
	s_and_b32 s40, vcc_lo, exec_lo
	s_or_b32 s13, s13, s40
	s_or_b32 exec_lo, exec_lo, s29
	s_and_saveexec_b32 s29, s13
	s_cbranch_execnz .LBB2_3917
	s_branch .LBB2_3918
.LBB2_4288:                             ;   in Loop: Header=BB2_3820 Depth=2
	s_or_saveexec_b32 s29, s29
	v_mov_b32_e32 v10, 0x7f800001
	s_xor_b32 exec_lo, exec_lo, s29
	s_cbranch_execz .LBB2_3930
.LBB2_4289:                             ;   in Loop: Header=BB2_3820 Depth=2
	v_cmp_ne_u16_sdwa s40, v11, v33 src0_sel:BYTE_3 src1_sel:DWORD
	v_mov_b32_e32 v10, 0
	s_andn2_b32 s13, s13, exec_lo
	s_and_b32 s40, s40, exec_lo
	s_or_b32 s13, s13, s40
	s_or_b32 exec_lo, exec_lo, s29
	s_and_saveexec_b32 s29, s13
	s_cbranch_execnz .LBB2_3931
	s_branch .LBB2_3932
.LBB2_4290:                             ;   in Loop: Header=BB2_3820 Depth=2
	s_or_saveexec_b32 s29, s29
	v_mov_b32_e32 v10, 0x7f800001
	s_xor_b32 exec_lo, exec_lo, s29
	s_cbranch_execz .LBB2_3944
.LBB2_4291:                             ;   in Loop: Header=BB2_3820 Depth=2
	v_cmp_ne_u16_sdwa s40, v12, v33 src0_sel:BYTE_0 src1_sel:DWORD
	v_mov_b32_e32 v10, 0
	s_andn2_b32 s13, s13, exec_lo
	s_and_b32 s40, s40, exec_lo
	s_or_b32 s13, s13, s40
	s_or_b32 exec_lo, exec_lo, s29
	s_and_saveexec_b32 s29, s13
	s_cbranch_execnz .LBB2_3945
	s_branch .LBB2_3946
.LBB2_4292:                             ;   in Loop: Header=BB2_3820 Depth=2
	s_or_saveexec_b32 s29, s29
	v_mov_b32_e32 v10, 0x7f800001
	s_xor_b32 exec_lo, exec_lo, s29
	s_cbranch_execz .LBB2_3958
.LBB2_4293:                             ;   in Loop: Header=BB2_3820 Depth=2
	v_cmp_ne_u16_sdwa s40, v12, v33 src0_sel:BYTE_1 src1_sel:DWORD
	v_mov_b32_e32 v10, 0
	s_andn2_b32 s13, s13, exec_lo
	s_and_b32 s40, s40, exec_lo
	s_or_b32 s13, s13, s40
	s_or_b32 exec_lo, exec_lo, s29
	s_and_saveexec_b32 s29, s13
	s_cbranch_execnz .LBB2_3959
	s_branch .LBB2_3960
.LBB2_4294:                             ;   in Loop: Header=BB2_3820 Depth=2
	s_or_saveexec_b32 s29, s29
	v_mov_b32_e32 v10, 0x7f800001
	s_xor_b32 exec_lo, exec_lo, s29
	s_cbranch_execz .LBB2_3972
.LBB2_4295:                             ;   in Loop: Header=BB2_3820 Depth=2
	v_cmp_ne_u16_e32 vcc_lo, 0, v11
	v_mov_b32_e32 v10, 0
	s_andn2_b32 s13, s13, exec_lo
	s_and_b32 s40, vcc_lo, exec_lo
	s_or_b32 s13, s13, s40
	s_or_b32 exec_lo, exec_lo, s29
	s_and_saveexec_b32 s29, s13
	s_cbranch_execnz .LBB2_3973
	s_branch .LBB2_3974
.LBB2_4296:                             ;   in Loop: Header=BB2_3820 Depth=2
	s_or_saveexec_b32 s29, s29
	v_mov_b32_e32 v10, 0x7f800001
	s_xor_b32 exec_lo, exec_lo, s29
	s_cbranch_execz .LBB2_3986
.LBB2_4297:                             ;   in Loop: Header=BB2_3820 Depth=2
	v_cmp_ne_u16_sdwa s40, v12, v33 src0_sel:BYTE_3 src1_sel:DWORD
	v_mov_b32_e32 v10, 0
	s_andn2_b32 s13, s13, exec_lo
	s_and_b32 s40, s40, exec_lo
	s_or_b32 s13, s13, s40
	s_or_b32 exec_lo, exec_lo, s29
	s_and_saveexec_b32 s29, s13
	s_cbranch_execnz .LBB2_3987
	s_branch .LBB2_3988
.LBB2_4298:                             ;   in Loop: Header=BB2_3820 Depth=2
	s_or_saveexec_b32 s29, s29
	v_mov_b32_e32 v10, 0x7f800001
	s_xor_b32 exec_lo, exec_lo, s29
	s_cbranch_execz .LBB2_4000
.LBB2_4299:                             ;   in Loop: Header=BB2_3820 Depth=2
	v_cmp_ne_u16_sdwa s40, v13, v33 src0_sel:BYTE_0 src1_sel:DWORD
	v_mov_b32_e32 v10, 0
	s_andn2_b32 s13, s13, exec_lo
	s_and_b32 s40, s40, exec_lo
	s_or_b32 s13, s13, s40
	s_or_b32 exec_lo, exec_lo, s29
	s_and_saveexec_b32 s29, s13
	s_cbranch_execnz .LBB2_4001
	s_branch .LBB2_4002
.LBB2_4300:                             ;   in Loop: Header=BB2_3820 Depth=2
	s_or_saveexec_b32 s29, s29
	v_mov_b32_e32 v10, 0x7f800001
	s_xor_b32 exec_lo, exec_lo, s29
	s_cbranch_execz .LBB2_4014
.LBB2_4301:                             ;   in Loop: Header=BB2_3820 Depth=2
	v_cmp_ne_u16_sdwa s40, v13, v33 src0_sel:BYTE_1 src1_sel:DWORD
	v_mov_b32_e32 v10, 0
	s_andn2_b32 s13, s13, exec_lo
	s_and_b32 s40, s40, exec_lo
	s_or_b32 s13, s13, s40
	s_or_b32 exec_lo, exec_lo, s29
	s_and_saveexec_b32 s29, s13
	s_cbranch_execnz .LBB2_4015
	s_branch .LBB2_4016
.LBB2_4302:                             ;   in Loop: Header=BB2_3820 Depth=2
	s_or_saveexec_b32 s29, s29
	v_mov_b32_e32 v10, 0x7f800001
	s_xor_b32 exec_lo, exec_lo, s29
	s_cbranch_execz .LBB2_4028
.LBB2_4303:                             ;   in Loop: Header=BB2_3820 Depth=2
	v_cmp_ne_u16_e32 vcc_lo, 0, v11
	v_mov_b32_e32 v10, 0
	s_andn2_b32 s13, s13, exec_lo
	s_and_b32 s40, vcc_lo, exec_lo
	s_or_b32 s13, s13, s40
	s_or_b32 exec_lo, exec_lo, s29
	s_and_saveexec_b32 s29, s13
	s_cbranch_execnz .LBB2_4029
	s_branch .LBB2_4030
.LBB2_4304:                             ;   in Loop: Header=BB2_3820 Depth=2
	s_or_saveexec_b32 s29, s29
	v_mov_b32_e32 v10, 0x7f800001
	s_xor_b32 exec_lo, exec_lo, s29
	s_cbranch_execz .LBB2_4042
.LBB2_4305:                             ;   in Loop: Header=BB2_3820 Depth=2
	v_cmp_ne_u16_sdwa s40, v13, v33 src0_sel:BYTE_3 src1_sel:DWORD
	v_mov_b32_e32 v10, 0
	s_andn2_b32 s13, s13, exec_lo
	s_and_b32 s40, s40, exec_lo
	s_or_b32 s13, s13, s40
	s_or_b32 exec_lo, exec_lo, s29
	s_and_saveexec_b32 s29, s13
	s_cbranch_execnz .LBB2_4043
	s_branch .LBB2_4044
.LBB2_4306:                             ;   in Loop: Header=BB2_3820 Depth=2
	s_or_saveexec_b32 s29, s29
	v_mov_b32_e32 v54, 0x7f800001
	s_xor_b32 exec_lo, exec_lo, s29
	s_cbranch_execz .LBB2_4056
.LBB2_4307:                             ;   in Loop: Header=BB2_3820 Depth=2
	v_cmp_ne_u16_sdwa s40, v10, v33 src0_sel:BYTE_0 src1_sel:DWORD
	v_mov_b32_e32 v54, 0
	s_andn2_b32 s13, s13, exec_lo
	s_and_b32 s40, s40, exec_lo
	s_or_b32 s13, s13, s40
	s_or_b32 exec_lo, exec_lo, s29
	s_and_saveexec_b32 s29, s13
	s_cbranch_execnz .LBB2_4057
	s_branch .LBB2_4058
.LBB2_4308:                             ;   in Loop: Header=BB2_3820 Depth=2
	s_or_saveexec_b32 s29, s29
	v_mov_b32_e32 v55, 0x7f800001
	s_xor_b32 exec_lo, exec_lo, s29
	s_cbranch_execz .LBB2_4070
.LBB2_4309:                             ;   in Loop: Header=BB2_3820 Depth=2
	v_cmp_ne_u16_sdwa s40, v10, v33 src0_sel:BYTE_1 src1_sel:DWORD
	v_mov_b32_e32 v55, 0
	s_andn2_b32 s13, s13, exec_lo
	s_and_b32 s40, s40, exec_lo
	s_or_b32 s13, s13, s40
	s_or_b32 exec_lo, exec_lo, s29
	s_and_saveexec_b32 s29, s13
	s_cbranch_execnz .LBB2_4071
	s_branch .LBB2_4072
.LBB2_4310:                             ;   in Loop: Header=BB2_3820 Depth=2
	s_or_saveexec_b32 s29, s29
	v_mov_b32_e32 v40, 0x7f800001
	s_xor_b32 exec_lo, exec_lo, s29
	s_cbranch_execz .LBB2_4084
.LBB2_4311:                             ;   in Loop: Header=BB2_3820 Depth=2
	v_cmp_ne_u16_e32 vcc_lo, 0, v41
	v_mov_b32_e32 v40, 0
	s_andn2_b32 s13, s13, exec_lo
	s_and_b32 s40, vcc_lo, exec_lo
	s_or_b32 s13, s13, s40
	s_or_b32 exec_lo, exec_lo, s29
	s_and_saveexec_b32 s29, s13
	s_cbranch_execnz .LBB2_4085
	s_branch .LBB2_4086
.LBB2_4312:                             ;   in Loop: Header=BB2_3820 Depth=2
	s_or_saveexec_b32 s29, s29
	v_mov_b32_e32 v41, 0x7f800001
	s_xor_b32 exec_lo, exec_lo, s29
	s_cbranch_execz .LBB2_4098
.LBB2_4313:                             ;   in Loop: Header=BB2_3820 Depth=2
	v_cmp_ne_u16_sdwa s40, v10, v33 src0_sel:BYTE_3 src1_sel:DWORD
	v_mov_b32_e32 v41, 0
	s_andn2_b32 s13, s13, exec_lo
	s_and_b32 s40, s40, exec_lo
	s_or_b32 s13, s13, s40
	s_or_b32 exec_lo, exec_lo, s29
	s_and_saveexec_b32 s29, s13
	s_cbranch_execnz .LBB2_4099
	s_branch .LBB2_4100
.LBB2_4314:                             ;   in Loop: Header=BB2_3820 Depth=2
	s_or_saveexec_b32 s29, s29
	v_mov_b32_e32 v41, 0x7f800001
	s_xor_b32 exec_lo, exec_lo, s29
	s_cbranch_execz .LBB2_4112
.LBB2_4315:                             ;   in Loop: Header=BB2_3820 Depth=2
	v_cmp_ne_u16_sdwa s40, v11, v33 src0_sel:BYTE_0 src1_sel:DWORD
	v_mov_b32_e32 v41, 0
	s_andn2_b32 s13, s13, exec_lo
	s_and_b32 s40, s40, exec_lo
	s_or_b32 s13, s13, s40
	s_or_b32 exec_lo, exec_lo, s29
	s_and_saveexec_b32 s29, s13
	s_cbranch_execnz .LBB2_4113
	s_branch .LBB2_4114
.LBB2_4316:                             ;   in Loop: Header=BB2_3820 Depth=2
	s_or_saveexec_b32 s29, s29
	v_mov_b32_e32 v42, 0x7f800001
	s_xor_b32 exec_lo, exec_lo, s29
	s_cbranch_execz .LBB2_4126
.LBB2_4317:                             ;   in Loop: Header=BB2_3820 Depth=2
	v_cmp_ne_u16_sdwa s40, v11, v33 src0_sel:BYTE_1 src1_sel:DWORD
	v_mov_b32_e32 v42, 0
	s_andn2_b32 s13, s13, exec_lo
	s_and_b32 s40, s40, exec_lo
	s_or_b32 s13, s13, s40
	s_or_b32 exec_lo, exec_lo, s29
	s_and_saveexec_b32 s29, s13
	s_cbranch_execnz .LBB2_4127
	s_branch .LBB2_4128
.LBB2_4318:                             ;   in Loop: Header=BB2_3820 Depth=2
	s_or_saveexec_b32 s29, s29
	v_mov_b32_e32 v43, 0x7f800001
	s_xor_b32 exec_lo, exec_lo, s29
	s_cbranch_execz .LBB2_4140
.LBB2_4319:                             ;   in Loop: Header=BB2_3820 Depth=2
	v_cmp_ne_u16_e32 vcc_lo, 0, v44
	v_mov_b32_e32 v43, 0
	s_andn2_b32 s13, s13, exec_lo
	s_and_b32 s40, vcc_lo, exec_lo
	s_or_b32 s13, s13, s40
	s_or_b32 exec_lo, exec_lo, s29
	s_and_saveexec_b32 s29, s13
	s_cbranch_execnz .LBB2_4141
	s_branch .LBB2_4142
.LBB2_4320:                             ;   in Loop: Header=BB2_3820 Depth=2
	s_or_saveexec_b32 s29, s29
	v_mov_b32_e32 v44, 0x7f800001
	s_xor_b32 exec_lo, exec_lo, s29
	s_cbranch_execz .LBB2_4154
.LBB2_4321:                             ;   in Loop: Header=BB2_3820 Depth=2
	v_cmp_ne_u16_sdwa s40, v11, v33 src0_sel:BYTE_3 src1_sel:DWORD
	v_mov_b32_e32 v44, 0
	s_andn2_b32 s13, s13, exec_lo
	s_and_b32 s40, s40, exec_lo
	s_or_b32 s13, s13, s40
	s_or_b32 exec_lo, exec_lo, s29
	s_and_saveexec_b32 s29, s13
	s_cbranch_execnz .LBB2_4155
	s_branch .LBB2_4156
.LBB2_4322:                             ;   in Loop: Header=BB2_3820 Depth=2
	s_or_saveexec_b32 s29, s29
	v_mov_b32_e32 v44, 0x7f800001
	s_xor_b32 exec_lo, exec_lo, s29
	s_cbranch_execz .LBB2_4168
.LBB2_4323:                             ;   in Loop: Header=BB2_3820 Depth=2
	v_cmp_ne_u16_sdwa s40, v12, v33 src0_sel:BYTE_0 src1_sel:DWORD
	v_mov_b32_e32 v44, 0
	s_andn2_b32 s13, s13, exec_lo
	s_and_b32 s40, s40, exec_lo
	s_or_b32 s13, s13, s40
	s_or_b32 exec_lo, exec_lo, s29
	s_and_saveexec_b32 s29, s13
	s_cbranch_execnz .LBB2_4169
	s_branch .LBB2_4170
.LBB2_4324:                             ;   in Loop: Header=BB2_3820 Depth=2
	s_or_saveexec_b32 s29, s29
	v_mov_b32_e32 v45, 0x7f800001
	s_xor_b32 exec_lo, exec_lo, s29
	s_cbranch_execz .LBB2_4182
.LBB2_4325:                             ;   in Loop: Header=BB2_3820 Depth=2
	v_cmp_ne_u16_sdwa s40, v12, v33 src0_sel:BYTE_1 src1_sel:DWORD
	v_mov_b32_e32 v45, 0
	s_andn2_b32 s13, s13, exec_lo
	s_and_b32 s40, s40, exec_lo
	s_or_b32 s13, s13, s40
	s_or_b32 exec_lo, exec_lo, s29
	s_and_saveexec_b32 s29, s13
	s_cbranch_execnz .LBB2_4183
	s_branch .LBB2_4184
.LBB2_4326:                             ;   in Loop: Header=BB2_3820 Depth=2
	s_or_saveexec_b32 s29, s29
	v_mov_b32_e32 v46, 0x7f800001
	s_xor_b32 exec_lo, exec_lo, s29
	s_cbranch_execz .LBB2_4196
.LBB2_4327:                             ;   in Loop: Header=BB2_3820 Depth=2
	v_cmp_ne_u16_e32 vcc_lo, 0, v47
	v_mov_b32_e32 v46, 0
	s_andn2_b32 s13, s13, exec_lo
	s_and_b32 s40, vcc_lo, exec_lo
	s_or_b32 s13, s13, s40
	s_or_b32 exec_lo, exec_lo, s29
	s_and_saveexec_b32 s29, s13
	s_cbranch_execnz .LBB2_4197
	s_branch .LBB2_4198
.LBB2_4328:                             ;   in Loop: Header=BB2_3820 Depth=2
	s_or_saveexec_b32 s29, s29
	v_mov_b32_e32 v47, 0x7f800001
	s_xor_b32 exec_lo, exec_lo, s29
	s_cbranch_execz .LBB2_4210
.LBB2_4329:                             ;   in Loop: Header=BB2_3820 Depth=2
	v_cmp_ne_u16_sdwa s40, v12, v33 src0_sel:BYTE_3 src1_sel:DWORD
	v_mov_b32_e32 v47, 0
	s_andn2_b32 s13, s13, exec_lo
	s_and_b32 s40, s40, exec_lo
	s_or_b32 s13, s13, s40
	s_or_b32 exec_lo, exec_lo, s29
	s_and_saveexec_b32 s29, s13
	s_cbranch_execnz .LBB2_4211
	s_branch .LBB2_4212
.LBB2_4330:                             ;   in Loop: Header=BB2_3820 Depth=2
	s_or_saveexec_b32 s29, s29
	v_mov_b32_e32 v47, 0x7f800001
	s_xor_b32 exec_lo, exec_lo, s29
	s_cbranch_execz .LBB2_4224
.LBB2_4331:                             ;   in Loop: Header=BB2_3820 Depth=2
	v_cmp_ne_u16_sdwa s40, v13, v33 src0_sel:BYTE_0 src1_sel:DWORD
	v_mov_b32_e32 v47, 0
	s_andn2_b32 s13, s13, exec_lo
	s_and_b32 s40, s40, exec_lo
	s_or_b32 s13, s13, s40
	s_or_b32 exec_lo, exec_lo, s29
	s_and_saveexec_b32 s29, s13
	s_cbranch_execnz .LBB2_4225
	s_branch .LBB2_4226
.LBB2_4332:                             ;   in Loop: Header=BB2_3820 Depth=2
	s_or_saveexec_b32 s29, s29
	v_mov_b32_e32 v56, 0x7f800001
	s_xor_b32 exec_lo, exec_lo, s29
	s_cbranch_execz .LBB2_4238
.LBB2_4333:                             ;   in Loop: Header=BB2_3820 Depth=2
	v_cmp_ne_u16_sdwa s40, v13, v33 src0_sel:BYTE_1 src1_sel:DWORD
	v_mov_b32_e32 v56, 0
	s_andn2_b32 s13, s13, exec_lo
	s_and_b32 s40, s40, exec_lo
	s_or_b32 s13, s13, s40
	s_or_b32 exec_lo, exec_lo, s29
	s_and_saveexec_b32 s29, s13
	s_cbranch_execnz .LBB2_4239
	s_branch .LBB2_4240
.LBB2_4334:                             ;   in Loop: Header=BB2_3820 Depth=2
	s_or_saveexec_b32 s29, s29
	v_mov_b32_e32 v57, 0x7f800001
	s_xor_b32 exec_lo, exec_lo, s29
	s_cbranch_execz .LBB2_4252
.LBB2_4335:                             ;   in Loop: Header=BB2_3820 Depth=2
	v_cmp_ne_u16_e32 vcc_lo, 0, v58
	v_mov_b32_e32 v57, 0
	s_andn2_b32 s13, s13, exec_lo
	s_and_b32 s40, vcc_lo, exec_lo
	s_or_b32 s13, s13, s40
	s_or_b32 exec_lo, exec_lo, s29
	s_and_saveexec_b32 s29, s13
	s_cbranch_execnz .LBB2_4253
	s_branch .LBB2_4254
.LBB2_4336:                             ;   in Loop: Header=BB2_3820 Depth=2
	s_or_saveexec_b32 s29, s29
	v_mov_b32_e32 v58, 0x7f800001
	s_xor_b32 exec_lo, exec_lo, s29
	s_cbranch_execz .LBB2_4266
.LBB2_4337:                             ;   in Loop: Header=BB2_3820 Depth=2
	v_cmp_ne_u16_sdwa s40, v13, v33 src0_sel:BYTE_3 src1_sel:DWORD
	v_mov_b32_e32 v58, 0
	s_andn2_b32 s13, s13, exec_lo
	s_and_b32 s40, s40, exec_lo
	s_or_b32 s13, s13, s40
	s_or_b32 exec_lo, exec_lo, s29
	s_and_saveexec_b32 s29, s13
	s_cbranch_execnz .LBB2_4267
	s_branch .LBB2_4268
.LBB2_4338:                             ;   in Loop: Header=BB2_3743 Depth=1
	s_or_b32 exec_lo, exec_lo, s24
.LBB2_4339:                             ;   in Loop: Header=BB2_3743 Depth=1
	s_or_b32 exec_lo, exec_lo, s14
	v_and_b32_e32 v10, 0x3ffffc00, v39
	v_mov_b32_e32 v12, 0
	s_mov_b32 s13, 0
	s_mov_b32 s24, exec_lo
                                        ; implicit-def: $vgpr13
                                        ; implicit-def: $vgpr52
	v_cmpx_ne_u32_e64 v39, v10
	s_cbranch_execz .LBB2_4609
; %bb.4340:                             ;   in Loop: Header=BB2_3743 Depth=1
	v_lshlrev_b32_e32 v11, 5, v87
	v_and_b32_e32 v53, 0x1ff, v39
	v_bfe_u32 v54, v39, 9, 1
	s_mov_b32 s25, exec_lo
	v_sub_nc_u32_e32 v11, v66, v11
	v_cmp_lt_u32_e64 s13, 15, v53
	v_ashrrev_i32_e32 v12, 31, v11
	v_add_co_ci_u32_e64 v54, null, 0, v54, s13
	v_lshrrev_b32_e32 v12, 27, v12
	v_add_nc_u32_e32 v12, v11, v12
	v_and_b32_e32 v13, 0xffffffe0, v12
	v_ashrrev_i32_e32 v12, 5, v12
	v_sub_nc_u32_e32 v52, v11, v13
	v_and_b32_e32 v13, 0x3ff, v39
	v_sub_nc_u32_e32 v54, v54, v12
	v_lshlrev_b32_e32 v11, 4, v52
	v_lshl_add_u32 v11, v12, 9, v11
	v_sub_nc_u32_e32 v55, v13, v11
	v_cmpx_lt_i32_e32 15, v55
	s_cbranch_execz .LBB2_4608
; %bb.4341:                             ;   in Loop: Header=BB2_3743 Depth=1
	s_trap 2
	ds_read_b64 v[12:13], v0
	v_add_nc_u32_e32 v87, v11, v10
	v_ashrrev_i32_e32 v96, 31, v87
	s_waitcnt lgkmcnt(0)
	v_readfirstlane_b32 s14, v12
	s_and_b32 s26, s14, 7
	s_bfe_u32 s29, s14, 0x40003
	s_flbit_i32_b32 s27, s26
	s_min_u32 s27, s27, 32
	s_sub_i32 s28, s27, 28
	s_sub_i32 s27, 29, s27
	s_lshl_b32 s28, s14, s28
	s_and_b32 s28, s28, 7
	s_cmp_eq_u32 s29, 0
	s_cselect_b32 s27, s27, s29
	s_cselect_b32 s26, s28, s26
	s_lshl_b32 s28, s14, 24
	s_lshl_b32 s27, s27, 23
	s_and_b32 s28, s28, 0x80000000
	s_add_i32 s27, s27, 0x3b800000
	s_lshl_b32 s29, s26, 20
	s_or_b32 s27, s28, s27
	s_mov_b32 s26, 0
	s_or_b32 s27, s27, s29
	s_and_b32 s28, s14, 0xff
	s_branch .LBB2_4345
.LBB2_4342:                             ;   in Loop: Header=BB2_4345 Depth=2
	s_or_b32 exec_lo, exec_lo, s14
	v_lshrrev_b32_e32 v118, 20, v118
	v_min_i32_e32 v119, 15, v117
	v_cmp_gt_i32_e32 vcc_lo, 16, v117
	v_and_b32_sdwa v13, v13, v83 dst_sel:DWORD dst_unused:UNUSED_PAD src0_sel:BYTE_3 src1_sel:DWORD
	v_lshlrev_b32_e32 v119, 3, v119
	v_cndmask_b32_e32 v118, 7, v118, vcc_lo
	v_and_b32_e32 v119, 0xf8, v119
	v_and_b32_e32 v40, 7, v118
	v_or_b32_e32 v117, v117, v118
	v_or3_b32 v13, v13, v119, v40
	v_cmp_ne_u32_e32 vcc_lo, 0, v117
	v_lshlrev_b32_e32 v13, 8, v13
	v_cndmask_b32_e32 v117, 0, v13, vcc_lo
.LBB2_4343:                             ;   in Loop: Header=BB2_4345 Depth=2
	s_or_b32 exec_lo, exec_lo, s40
.LBB2_4344:                             ;   in Loop: Header=BB2_4345 Depth=2
	s_or_b32 exec_lo, exec_lo, s29
	v_sub_nc_u32_e32 v55, v55, v70
	v_or_b32_sdwa v11, v11, v102 dst_sel:WORD_1 dst_unused:UNUSED_PAD src0_sel:DWORD src1_sel:DWORD
	v_or_b32_sdwa v10, v10, v99 dst_sel:WORD_1 dst_unused:UNUSED_PAD src0_sel:DWORD src1_sel:DWORD
	;; [unrolled: 1-line block ×4, first 2 shown]
	v_add_co_u32 v118, vcc_lo, v50, v87
	v_add_co_ci_u32_e64 v119, null, v51, v96, vcc_lo
	v_cmp_gt_i32_e32 vcc_lo, 16, v55
	v_add_co_u32 v87, s14, v87, v70
	v_or3_b32 v11, v101, v100, v11
	v_or3_b32 v10, v98, v97, v10
	;; [unrolled: 1-line block ×4, first 2 shown]
	v_sub_nc_u32_e32 v54, v54, v67
	v_add_co_ci_u32_e64 v96, null, 0, v96, s14
	s_or_b32 s26, vcc_lo, s26
	global_store_dwordx4 v[118:119], v[10:13], off glc slc
	s_andn2_b32 exec_lo, exec_lo, s26
	s_cbranch_execz .LBB2_4607
.LBB2_4345:                             ;   Parent Loop BB2_3743 Depth=1
                                        ; =>  This Inner Loop Header: Depth=2
	s_cmpk_lt_i32 s28, 0x80
	s_cbranch_scc1 .LBB2_4349
; %bb.4346:                             ;   in Loop: Header=BB2_4345 Depth=2
	s_and_b32 s14, 0xffff, s28
	s_cmpk_eq_i32 s14, 0x80
	s_mov_b32 s14, -1
	s_cbranch_scc0 .LBB2_4348
; %bb.4347:                             ;   in Loop: Header=BB2_4345 Depth=2
	s_mov_b32 s14, 0
.LBB2_4348:                             ;   in Loop: Header=BB2_4345 Depth=2
	s_mov_b32 s29, 0x7f800001
	s_branch .LBB2_4351
.LBB2_4349:                             ;   in Loop: Header=BB2_4345 Depth=2
	s_mov_b32 s14, 0
	s_mov_b32 s29, 0x7f800001
	s_cbranch_execz .LBB2_4351
; %bb.4350:                             ;   in Loop: Header=BB2_4345 Depth=2
	s_and_b32 s14, 0xffff, s28
	s_mov_b32 s29, 0
	s_cmp_lg_u32 s14, 0
	s_cselect_b32 s14, -1, 0
.LBB2_4351:                             ;   in Loop: Header=BB2_4345 Depth=2
	s_andn2_b32 vcc_lo, exec_lo, s14
	s_cbranch_vccnz .LBB2_4353
; %bb.4352:                             ;   in Loop: Header=BB2_4345 Depth=2
	s_mov_b32 s29, s27
.LBB2_4353:                             ;   in Loop: Header=BB2_4345 Depth=2
	v_add_co_u32 v10, vcc_lo, v48, v87
	v_add_co_ci_u32_e64 v11, null, v49, v96, vcc_lo
	s_mov_b32 s14, 0
	global_load_dwordx4 v[10:13], v[10:11], off slc
	s_waitcnt vmcnt(0)
	v_cmp_gt_i16_sdwa s40, v10, v82 src0_sel:BYTE_0 src1_sel:DWORD
	s_and_saveexec_b32 s41, s40
	s_xor_b32 s40, exec_lo, s41
	s_cbranch_execz .LBB2_4575
; %bb.4354:                             ;   in Loop: Header=BB2_4345 Depth=2
	v_cmp_eq_u16_sdwa s42, v10, v83 src0_sel:BYTE_0 src1_sel:DWORD
	s_mov_b32 s14, -1
	s_and_saveexec_b32 s41, s42
; %bb.4355:                             ;   in Loop: Header=BB2_4345 Depth=2
	s_xor_b32 s14, exec_lo, -1
; %bb.4356:                             ;   in Loop: Header=BB2_4345 Depth=2
	s_or_b32 exec_lo, exec_lo, s41
	s_and_b32 s14, s14, exec_lo
	s_or_saveexec_b32 s40, s40
	v_mov_b32_e32 v97, 0x7f800001
	s_xor_b32 exec_lo, exec_lo, s40
	s_cbranch_execnz .LBB2_4576
.LBB2_4357:                             ;   in Loop: Header=BB2_4345 Depth=2
	s_or_b32 exec_lo, exec_lo, s40
	s_and_saveexec_b32 s40, s14
	s_cbranch_execz .LBB2_4359
.LBB2_4358:                             ;   in Loop: Header=BB2_4345 Depth=2
	v_and_b32_e32 v97, 7, v10
	v_bfe_u32 v100, v10, 3, 4
	v_lshlrev_b32_e32 v101, 24, v10
	v_ffbh_u32_e32 v98, v97
	v_cmp_eq_u32_e32 vcc_lo, 0, v100
	v_min_u32_e32 v98, 32, v98
	v_subrev_nc_u32_e32 v99, 28, v98
	v_sub_nc_u32_e32 v98, 29, v98
	v_lshlrev_b32_e32 v99, v99, v10
	v_cndmask_b32_e32 v98, v100, v98, vcc_lo
	v_and_b32_e32 v99, 7, v99
	v_lshl_add_u32 v98, v98, 23, 0x3b800000
	v_cndmask_b32_e32 v97, v97, v99, vcc_lo
	v_and_b32_e32 v99, 0x80000000, v101
	v_lshlrev_b32_e32 v97, 20, v97
	v_or3_b32 v97, v99, v98, v97
.LBB2_4359:                             ;   in Loop: Header=BB2_4345 Depth=2
	s_or_b32 exec_lo, exec_lo, s40
	v_mul_f32_e32 v98, s29, v97
	v_and_b32_e32 v97, 0x7f800000, v98
	v_cmp_ne_u32_e32 vcc_lo, 0x7f800000, v97
	v_mov_b32_e32 v97, 0x80
	s_and_saveexec_b32 s40, vcc_lo
	s_cbranch_execz .LBB2_4367
; %bb.4360:                             ;   in Loop: Header=BB2_4345 Depth=2
	v_mov_b32_e32 v97, 0
	s_mov_b32 s41, exec_lo
	v_cmpx_ne_u32_e32 0, v98
	s_cbranch_execz .LBB2_4366
; %bb.4361:                             ;   in Loop: Header=BB2_4345 Depth=2
	v_bfe_u32 v97, v98, 23, 8
	v_and_b32_e32 v99, 0x7fffff, v98
	v_sub_nc_u32_e32 v100, 0x78, v97
	v_cmp_gt_u32_e32 vcc_lo, 0x79, v97
	v_or_b32_e32 v101, 0x800000, v99
	v_cndmask_b32_e32 v100, 0, v100, vcc_lo
	v_cmp_eq_u32_e32 vcc_lo, 0, v97
	v_add_nc_u32_e32 v97, 0xffffff89, v97
	v_cndmask_b32_e64 v100, v100, 0x77, vcc_lo
	v_cndmask_b32_e32 v99, v101, v99, vcc_lo
	v_cndmask_b32_e64 v97, v97, 0xffffff8a, vcc_lo
	v_lshl_add_u32 v101, 0x100000, v100, -1
	v_lshrrev_b32_e32 v102, v100, v99
	v_lshlrev_b32_e64 v112, v100, 0x80000
	v_add_nc_u32_e32 v100, v100, v97
	v_and_b32_e32 v99, v101, v99
	v_bfe_u32 v103, v102, 20, 1
	v_cmp_eq_u32_e64 s14, v99, v112
	v_add_nc_u32_e32 v101, -1, v103
	v_cndmask_b32_e64 v99, 0, v101, s14
	v_lshrrev_b32_e32 v101, 23, v102
	s_mov_b32 s14, exec_lo
	v_add_nc_u32_e32 v99, v99, v102
	v_xor_b32_e32 v101, 1, v101
	v_and_b32_e32 v97, 0xfffff, v99
	v_add_nc_u32_e32 v99, v97, v102
                                        ; implicit-def: $vgpr97
	v_cmpx_ne_u32_e64 v100, v101
	s_xor_b32 s14, exec_lo, s14
; %bb.4362:                             ;   in Loop: Header=BB2_4345 Depth=2
	v_cmp_lt_u32_e32 vcc_lo, 0xffffff, v99
	v_sub_nc_u32_e32 v97, v100, v101
	v_cndmask_b32_e64 v100, 0, 1, vcc_lo
	v_add_co_ci_u32_e64 v97, null, 0, v97, vcc_lo
	v_lshrrev_b32_e32 v99, v100, v99
; %bb.4363:                             ;   in Loop: Header=BB2_4345 Depth=2
	s_andn2_saveexec_b32 s14, s14
; %bb.4364:                             ;   in Loop: Header=BB2_4345 Depth=2
	v_bfe_u32 v97, v99, 23, 1
; %bb.4365:                             ;   in Loop: Header=BB2_4345 Depth=2
	s_or_b32 exec_lo, exec_lo, s14
	v_lshrrev_b32_e32 v99, 20, v99
	v_min_i32_e32 v100, 15, v97
	v_cmp_gt_i32_e32 vcc_lo, 16, v97
	v_and_b32_sdwa v98, v98, v83 dst_sel:DWORD dst_unused:UNUSED_PAD src0_sel:BYTE_3 src1_sel:DWORD
	v_lshlrev_b32_e32 v100, 3, v100
	v_cndmask_b32_e32 v99, 7, v99, vcc_lo
	v_and_b32_e32 v100, 0xf8, v100
	v_and_b32_e32 v101, 7, v99
	v_or_b32_e32 v97, v97, v99
	v_or3_b32 v98, v100, v98, v101
	v_cmp_ne_u32_e32 vcc_lo, 0, v97
	v_cndmask_b32_e32 v97, 0, v98, vcc_lo
.LBB2_4366:                             ;   in Loop: Header=BB2_4345 Depth=2
	s_or_b32 exec_lo, exec_lo, s41
.LBB2_4367:                             ;   in Loop: Header=BB2_4345 Depth=2
	s_or_b32 exec_lo, exec_lo, s40
	v_cmp_gt_i16_sdwa s40, v10, v82 src0_sel:BYTE_1 src1_sel:DWORD
	s_mov_b32 s14, 0
	s_and_saveexec_b32 s41, s40
	s_xor_b32 s40, exec_lo, s41
	s_cbranch_execz .LBB2_4577
; %bb.4368:                             ;   in Loop: Header=BB2_4345 Depth=2
	v_cmp_eq_u16_sdwa s42, v10, v83 src0_sel:BYTE_1 src1_sel:DWORD
	s_mov_b32 s14, -1
	s_and_saveexec_b32 s41, s42
; %bb.4369:                             ;   in Loop: Header=BB2_4345 Depth=2
	s_xor_b32 s14, exec_lo, -1
; %bb.4370:                             ;   in Loop: Header=BB2_4345 Depth=2
	s_or_b32 exec_lo, exec_lo, s41
	s_and_b32 s14, s14, exec_lo
	s_or_saveexec_b32 s40, s40
	v_mov_b32_e32 v98, 0x7f800001
	s_xor_b32 exec_lo, exec_lo, s40
	s_cbranch_execnz .LBB2_4578
.LBB2_4371:                             ;   in Loop: Header=BB2_4345 Depth=2
	s_or_b32 exec_lo, exec_lo, s40
	s_and_saveexec_b32 s40, s14
	s_cbranch_execz .LBB2_4373
.LBB2_4372:                             ;   in Loop: Header=BB2_4345 Depth=2
	v_and_b32_sdwa v98, v84, v10 dst_sel:DWORD dst_unused:UNUSED_PAD src0_sel:DWORD src1_sel:BYTE_1
	v_and_b32_e32 v99, 7, v98
	v_bfe_u32 v102, v98, 3, 4
	v_ffbh_u32_e32 v100, v99
	v_cmp_eq_u32_e32 vcc_lo, 0, v102
	v_min_u32_e32 v100, 32, v100
	v_subrev_nc_u32_e32 v101, 28, v100
	v_sub_nc_u32_e32 v100, 29, v100
	v_lshlrev_b32_e32 v98, v101, v98
	v_lshlrev_b32_sdwa v101, v85, v10 dst_sel:DWORD dst_unused:UNUSED_PAD src0_sel:DWORD src1_sel:BYTE_1
	v_cndmask_b32_e32 v100, v102, v100, vcc_lo
	v_and_b32_e32 v98, 7, v98
	v_lshl_add_u32 v100, v100, 23, 0x3b800000
	v_cndmask_b32_e32 v98, v99, v98, vcc_lo
	v_and_b32_e32 v99, 0x80000000, v101
	v_lshlrev_b32_e32 v98, 20, v98
	v_or3_b32 v98, v99, v100, v98
.LBB2_4373:                             ;   in Loop: Header=BB2_4345 Depth=2
	s_or_b32 exec_lo, exec_lo, s40
	v_mul_f32_e32 v99, s29, v98
	v_and_b32_e32 v98, 0x7f800000, v99
	v_cmp_ne_u32_e32 vcc_lo, 0x7f800000, v98
	v_mov_b32_e32 v98, 0x8000
	s_and_saveexec_b32 s40, vcc_lo
	s_cbranch_execz .LBB2_4381
; %bb.4374:                             ;   in Loop: Header=BB2_4345 Depth=2
	v_mov_b32_e32 v98, 0
	s_mov_b32 s41, exec_lo
	v_cmpx_ne_u32_e32 0, v99
	s_cbranch_execz .LBB2_4380
; %bb.4375:                             ;   in Loop: Header=BB2_4345 Depth=2
	v_bfe_u32 v98, v99, 23, 8
	v_and_b32_e32 v100, 0x7fffff, v99
	v_sub_nc_u32_e32 v101, 0x78, v98
	v_cmp_gt_u32_e32 vcc_lo, 0x79, v98
	v_or_b32_e32 v102, 0x800000, v100
	v_cndmask_b32_e32 v101, 0, v101, vcc_lo
	v_cmp_eq_u32_e32 vcc_lo, 0, v98
	v_add_nc_u32_e32 v98, 0xffffff89, v98
	v_cndmask_b32_e64 v101, v101, 0x77, vcc_lo
	v_cndmask_b32_e32 v100, v102, v100, vcc_lo
	v_cndmask_b32_e64 v98, v98, 0xffffff8a, vcc_lo
	v_lshl_add_u32 v102, 0x100000, v101, -1
	v_lshrrev_b32_e32 v103, v101, v100
	v_lshlrev_b32_e64 v113, v101, 0x80000
	v_add_nc_u32_e32 v101, v101, v98
	v_and_b32_e32 v100, v102, v100
	v_bfe_u32 v112, v103, 20, 1
	v_cmp_eq_u32_e64 s14, v100, v113
	v_add_nc_u32_e32 v102, -1, v112
	v_cndmask_b32_e64 v100, 0, v102, s14
	v_lshrrev_b32_e32 v102, 23, v103
	s_mov_b32 s14, exec_lo
	v_add_nc_u32_e32 v100, v100, v103
	v_xor_b32_e32 v102, 1, v102
	v_and_b32_e32 v98, 0xfffff, v100
	v_add_nc_u32_e32 v100, v98, v103
                                        ; implicit-def: $vgpr98
	v_cmpx_ne_u32_e64 v101, v102
	s_xor_b32 s14, exec_lo, s14
; %bb.4376:                             ;   in Loop: Header=BB2_4345 Depth=2
	v_cmp_lt_u32_e32 vcc_lo, 0xffffff, v100
	v_sub_nc_u32_e32 v98, v101, v102
	v_cndmask_b32_e64 v101, 0, 1, vcc_lo
	v_add_co_ci_u32_e64 v98, null, 0, v98, vcc_lo
	v_lshrrev_b32_e32 v100, v101, v100
; %bb.4377:                             ;   in Loop: Header=BB2_4345 Depth=2
	s_andn2_saveexec_b32 s14, s14
; %bb.4378:                             ;   in Loop: Header=BB2_4345 Depth=2
	v_bfe_u32 v98, v100, 23, 1
; %bb.4379:                             ;   in Loop: Header=BB2_4345 Depth=2
	s_or_b32 exec_lo, exec_lo, s14
	v_lshrrev_b32_e32 v100, 20, v100
	v_min_i32_e32 v101, 15, v98
	v_cmp_gt_i32_e32 vcc_lo, 16, v98
	v_and_b32_sdwa v99, v99, v83 dst_sel:DWORD dst_unused:UNUSED_PAD src0_sel:BYTE_3 src1_sel:DWORD
	v_lshlrev_b32_e32 v101, 3, v101
	v_cndmask_b32_e32 v100, 7, v100, vcc_lo
	v_and_b32_e32 v101, 0xf8, v101
	v_and_b32_e32 v102, 7, v100
	v_or_b32_e32 v98, v98, v100
	v_or3_b32 v99, v99, v101, v102
	v_cmp_ne_u32_e32 vcc_lo, 0, v98
	v_lshlrev_b32_e32 v99, 8, v99
	v_cndmask_b32_e32 v98, 0, v99, vcc_lo
.LBB2_4380:                             ;   in Loop: Header=BB2_4345 Depth=2
	s_or_b32 exec_lo, exec_lo, s41
.LBB2_4381:                             ;   in Loop: Header=BB2_4345 Depth=2
	s_or_b32 exec_lo, exec_lo, s40
	v_and_b32_sdwa v100, v10, v86 dst_sel:DWORD dst_unused:UNUSED_PAD src0_sel:WORD_1 src1_sel:DWORD
	s_mov_b32 s14, 0
	s_mov_b32 s40, exec_lo
	v_cmpx_lt_i16_e32 0x7f, v100
	s_xor_b32 s40, exec_lo, s40
	s_cbranch_execz .LBB2_4579
; %bb.4382:                             ;   in Loop: Header=BB2_4345 Depth=2
	s_mov_b32 s14, -1
	s_mov_b32 s41, exec_lo
	v_cmpx_eq_u16_e32 0x80, v100
; %bb.4383:                             ;   in Loop: Header=BB2_4345 Depth=2
	s_xor_b32 s14, exec_lo, -1
; %bb.4384:                             ;   in Loop: Header=BB2_4345 Depth=2
	s_or_b32 exec_lo, exec_lo, s41
	s_and_b32 s14, s14, exec_lo
                                        ; implicit-def: $vgpr100
	s_or_saveexec_b32 s40, s40
	v_mov_b32_e32 v99, 0x7f800001
	s_xor_b32 exec_lo, exec_lo, s40
	s_cbranch_execnz .LBB2_4580
.LBB2_4385:                             ;   in Loop: Header=BB2_4345 Depth=2
	s_or_b32 exec_lo, exec_lo, s40
	s_and_saveexec_b32 s40, s14
	s_cbranch_execz .LBB2_4387
.LBB2_4386:                             ;   in Loop: Header=BB2_4345 Depth=2
	v_bfe_u32 v99, v10, 16, 3
	v_bfe_u32 v102, v10, 19, 4
	v_lshlrev_b32_e32 v103, 8, v10
	v_ffbh_u32_e32 v100, v99
	v_cmp_eq_u32_e32 vcc_lo, 0, v102
	v_min_u32_e32 v100, 32, v100
	v_subrev_nc_u32_e32 v101, 28, v100
	v_sub_nc_u32_e32 v100, 29, v100
	v_lshlrev_b32_sdwa v101, v101, v10 dst_sel:DWORD dst_unused:UNUSED_PAD src0_sel:DWORD src1_sel:WORD_1
	v_cndmask_b32_e32 v100, v102, v100, vcc_lo
	v_and_b32_e32 v101, 7, v101
	v_lshl_add_u32 v100, v100, 23, 0x3b800000
	v_cndmask_b32_e32 v99, v99, v101, vcc_lo
	v_and_b32_e32 v101, 0x80000000, v103
	v_lshlrev_b32_e32 v99, 20, v99
	v_or3_b32 v99, v101, v100, v99
.LBB2_4387:                             ;   in Loop: Header=BB2_4345 Depth=2
	s_or_b32 exec_lo, exec_lo, s40
	v_mul_f32_e32 v100, s29, v99
	v_and_b32_e32 v99, 0x7f800000, v100
	v_cmp_ne_u32_e32 vcc_lo, 0x7f800000, v99
	v_mov_b32_e32 v99, 0x80
	s_and_saveexec_b32 s40, vcc_lo
	s_cbranch_execz .LBB2_4395
; %bb.4388:                             ;   in Loop: Header=BB2_4345 Depth=2
	v_mov_b32_e32 v99, 0
	s_mov_b32 s41, exec_lo
	v_cmpx_ne_u32_e32 0, v100
	s_cbranch_execz .LBB2_4394
; %bb.4389:                             ;   in Loop: Header=BB2_4345 Depth=2
	v_bfe_u32 v99, v100, 23, 8
	v_and_b32_e32 v101, 0x7fffff, v100
	v_sub_nc_u32_e32 v102, 0x78, v99
	v_cmp_gt_u32_e32 vcc_lo, 0x79, v99
	v_or_b32_e32 v103, 0x800000, v101
	v_cndmask_b32_e32 v102, 0, v102, vcc_lo
	v_cmp_eq_u32_e32 vcc_lo, 0, v99
	v_add_nc_u32_e32 v99, 0xffffff89, v99
	v_cndmask_b32_e64 v102, v102, 0x77, vcc_lo
	v_cndmask_b32_e32 v101, v103, v101, vcc_lo
	v_cndmask_b32_e64 v99, v99, 0xffffff8a, vcc_lo
	v_lshl_add_u32 v103, 0x100000, v102, -1
	v_lshrrev_b32_e32 v112, v102, v101
	v_lshlrev_b32_e64 v114, v102, 0x80000
	v_add_nc_u32_e32 v102, v102, v99
	v_and_b32_e32 v101, v103, v101
	v_bfe_u32 v113, v112, 20, 1
	v_cmp_eq_u32_e64 s14, v101, v114
	v_add_nc_u32_e32 v103, -1, v113
	v_cndmask_b32_e64 v101, 0, v103, s14
	v_lshrrev_b32_e32 v103, 23, v112
	s_mov_b32 s14, exec_lo
	v_add_nc_u32_e32 v101, v101, v112
	v_xor_b32_e32 v103, 1, v103
	v_and_b32_e32 v99, 0xfffff, v101
	v_add_nc_u32_e32 v101, v99, v112
                                        ; implicit-def: $vgpr99
	v_cmpx_ne_u32_e64 v102, v103
	s_xor_b32 s14, exec_lo, s14
; %bb.4390:                             ;   in Loop: Header=BB2_4345 Depth=2
	v_cmp_lt_u32_e32 vcc_lo, 0xffffff, v101
	v_sub_nc_u32_e32 v99, v102, v103
	v_cndmask_b32_e64 v102, 0, 1, vcc_lo
	v_add_co_ci_u32_e64 v99, null, 0, v99, vcc_lo
	v_lshrrev_b32_e32 v101, v102, v101
; %bb.4391:                             ;   in Loop: Header=BB2_4345 Depth=2
	s_andn2_saveexec_b32 s14, s14
; %bb.4392:                             ;   in Loop: Header=BB2_4345 Depth=2
	v_bfe_u32 v99, v101, 23, 1
; %bb.4393:                             ;   in Loop: Header=BB2_4345 Depth=2
	s_or_b32 exec_lo, exec_lo, s14
	v_lshrrev_b32_e32 v101, 20, v101
	v_min_i32_e32 v102, 15, v99
	v_cmp_gt_i32_e32 vcc_lo, 16, v99
	v_and_b32_sdwa v100, v100, v83 dst_sel:DWORD dst_unused:UNUSED_PAD src0_sel:BYTE_3 src1_sel:DWORD
	v_lshlrev_b32_e32 v102, 3, v102
	v_cndmask_b32_e32 v101, 7, v101, vcc_lo
	v_and_b32_e32 v102, 0xf8, v102
	v_and_b32_e32 v103, 7, v101
	v_or_b32_e32 v99, v99, v101
	v_or3_b32 v100, v102, v100, v103
	v_cmp_ne_u32_e32 vcc_lo, 0, v99
	v_cndmask_b32_e32 v99, 0, v100, vcc_lo
.LBB2_4394:                             ;   in Loop: Header=BB2_4345 Depth=2
	s_or_b32 exec_lo, exec_lo, s41
.LBB2_4395:                             ;   in Loop: Header=BB2_4345 Depth=2
	s_or_b32 exec_lo, exec_lo, s40
	v_cmp_gt_i16_sdwa s40, v10, v82 src0_sel:BYTE_3 src1_sel:DWORD
	s_mov_b32 s14, 0
	s_and_saveexec_b32 s41, s40
	s_xor_b32 s40, exec_lo, s41
	s_cbranch_execz .LBB2_4581
; %bb.4396:                             ;   in Loop: Header=BB2_4345 Depth=2
	v_cmp_eq_u16_sdwa s42, v10, v83 src0_sel:BYTE_3 src1_sel:DWORD
	s_mov_b32 s14, -1
	s_and_saveexec_b32 s41, s42
; %bb.4397:                             ;   in Loop: Header=BB2_4345 Depth=2
	s_xor_b32 s14, exec_lo, -1
; %bb.4398:                             ;   in Loop: Header=BB2_4345 Depth=2
	s_or_b32 exec_lo, exec_lo, s41
	s_and_b32 s14, s14, exec_lo
	s_or_saveexec_b32 s40, s40
	v_mov_b32_e32 v100, 0x7f800001
	s_xor_b32 exec_lo, exec_lo, s40
	s_cbranch_execnz .LBB2_4582
.LBB2_4399:                             ;   in Loop: Header=BB2_4345 Depth=2
	s_or_b32 exec_lo, exec_lo, s40
	s_and_saveexec_b32 s40, s14
	s_cbranch_execz .LBB2_4401
.LBB2_4400:                             ;   in Loop: Header=BB2_4345 Depth=2
	v_bfe_u32 v100, v10, 24, 3
	v_bfe_u32 v103, v10, 27, 4
	v_ffbh_u32_e32 v101, v100
	v_cmp_eq_u32_e32 vcc_lo, 0, v103
	v_min_u32_e32 v101, 32, v101
	v_subrev_nc_u32_e32 v102, 28, v101
	v_sub_nc_u32_e32 v101, 29, v101
	v_lshlrev_b32_sdwa v102, v102, v10 dst_sel:DWORD dst_unused:UNUSED_PAD src0_sel:DWORD src1_sel:BYTE_3
	v_cndmask_b32_e32 v101, v103, v101, vcc_lo
	v_and_b32_e32 v10, 0x80000000, v10
	v_and_b32_e32 v102, 7, v102
	v_lshl_add_u32 v101, v101, 23, 0x3b800000
	v_cndmask_b32_e32 v100, v100, v102, vcc_lo
	v_lshlrev_b32_e32 v100, 20, v100
	v_or3_b32 v100, v10, v101, v100
.LBB2_4401:                             ;   in Loop: Header=BB2_4345 Depth=2
	s_or_b32 exec_lo, exec_lo, s40
	v_mul_f32_e32 v100, s29, v100
	v_and_b32_e32 v10, 0x7f800000, v100
	v_cmp_ne_u32_e32 vcc_lo, 0x7f800000, v10
	v_mov_b32_e32 v10, 0x8000
	s_and_saveexec_b32 s40, vcc_lo
	s_cbranch_execz .LBB2_4409
; %bb.4402:                             ;   in Loop: Header=BB2_4345 Depth=2
	v_mov_b32_e32 v10, 0
	s_mov_b32 s41, exec_lo
	v_cmpx_ne_u32_e32 0, v100
	s_cbranch_execz .LBB2_4408
; %bb.4403:                             ;   in Loop: Header=BB2_4345 Depth=2
	v_bfe_u32 v10, v100, 23, 8
	v_and_b32_e32 v101, 0x7fffff, v100
	v_sub_nc_u32_e32 v102, 0x78, v10
	v_cmp_gt_u32_e32 vcc_lo, 0x79, v10
	v_or_b32_e32 v103, 0x800000, v101
	v_cndmask_b32_e32 v102, 0, v102, vcc_lo
	v_cmp_eq_u32_e32 vcc_lo, 0, v10
	v_add_nc_u32_e32 v10, 0xffffff89, v10
	v_cndmask_b32_e64 v102, v102, 0x77, vcc_lo
	v_cndmask_b32_e32 v101, v103, v101, vcc_lo
	v_cndmask_b32_e64 v10, v10, 0xffffff8a, vcc_lo
	v_lshl_add_u32 v103, 0x100000, v102, -1
	v_lshrrev_b32_e32 v112, v102, v101
	v_lshlrev_b32_e64 v114, v102, 0x80000
	v_add_nc_u32_e32 v102, v102, v10
	v_and_b32_e32 v101, v103, v101
	v_bfe_u32 v113, v112, 20, 1
	v_cmp_eq_u32_e64 s14, v101, v114
	v_add_nc_u32_e32 v103, -1, v113
	v_cndmask_b32_e64 v101, 0, v103, s14
	v_lshrrev_b32_e32 v103, 23, v112
	s_mov_b32 s14, exec_lo
	v_add_nc_u32_e32 v101, v101, v112
	v_xor_b32_e32 v103, 1, v103
	v_and_b32_e32 v10, 0xfffff, v101
	v_add_nc_u32_e32 v101, v10, v112
                                        ; implicit-def: $vgpr10
	v_cmpx_ne_u32_e64 v102, v103
	s_xor_b32 s14, exec_lo, s14
; %bb.4404:                             ;   in Loop: Header=BB2_4345 Depth=2
	v_cmp_lt_u32_e32 vcc_lo, 0xffffff, v101
	v_sub_nc_u32_e32 v10, v102, v103
	v_cndmask_b32_e64 v102, 0, 1, vcc_lo
	v_add_co_ci_u32_e64 v10, null, 0, v10, vcc_lo
	v_lshrrev_b32_e32 v101, v102, v101
; %bb.4405:                             ;   in Loop: Header=BB2_4345 Depth=2
	s_andn2_saveexec_b32 s14, s14
; %bb.4406:                             ;   in Loop: Header=BB2_4345 Depth=2
	v_bfe_u32 v10, v101, 23, 1
; %bb.4407:                             ;   in Loop: Header=BB2_4345 Depth=2
	s_or_b32 exec_lo, exec_lo, s14
	v_lshrrev_b32_e32 v101, 20, v101
	v_min_i32_e32 v102, 15, v10
	v_cmp_gt_i32_e32 vcc_lo, 16, v10
	v_and_b32_sdwa v100, v100, v83 dst_sel:DWORD dst_unused:UNUSED_PAD src0_sel:BYTE_3 src1_sel:DWORD
	v_lshlrev_b32_e32 v102, 3, v102
	v_cndmask_b32_e32 v101, 7, v101, vcc_lo
	v_and_b32_e32 v102, 0xf8, v102
	v_and_b32_e32 v103, 7, v101
	v_or_b32_e32 v10, v10, v101
	v_or3_b32 v100, v100, v102, v103
	v_cmp_ne_u32_e32 vcc_lo, 0, v10
	v_lshlrev_b32_e32 v100, 8, v100
	v_cndmask_b32_e32 v10, 0, v100, vcc_lo
.LBB2_4408:                             ;   in Loop: Header=BB2_4345 Depth=2
	s_or_b32 exec_lo, exec_lo, s41
.LBB2_4409:                             ;   in Loop: Header=BB2_4345 Depth=2
	s_or_b32 exec_lo, exec_lo, s40
	v_cmp_gt_i16_sdwa s40, v11, v82 src0_sel:BYTE_0 src1_sel:DWORD
	s_mov_b32 s14, 0
	s_and_saveexec_b32 s41, s40
	s_xor_b32 s40, exec_lo, s41
	s_cbranch_execz .LBB2_4583
; %bb.4410:                             ;   in Loop: Header=BB2_4345 Depth=2
	v_cmp_eq_u16_sdwa s42, v11, v83 src0_sel:BYTE_0 src1_sel:DWORD
	s_mov_b32 s14, -1
	s_and_saveexec_b32 s41, s42
; %bb.4411:                             ;   in Loop: Header=BB2_4345 Depth=2
	s_xor_b32 s14, exec_lo, -1
; %bb.4412:                             ;   in Loop: Header=BB2_4345 Depth=2
	s_or_b32 exec_lo, exec_lo, s41
	s_and_b32 s14, s14, exec_lo
	s_or_saveexec_b32 s40, s40
	v_mov_b32_e32 v100, 0x7f800001
	s_xor_b32 exec_lo, exec_lo, s40
	s_cbranch_execnz .LBB2_4584
.LBB2_4413:                             ;   in Loop: Header=BB2_4345 Depth=2
	s_or_b32 exec_lo, exec_lo, s40
	s_and_saveexec_b32 s40, s14
	s_cbranch_execz .LBB2_4415
.LBB2_4414:                             ;   in Loop: Header=BB2_4345 Depth=2
	v_and_b32_e32 v100, 7, v11
	v_bfe_u32 v103, v11, 3, 4
	v_lshlrev_b32_e32 v112, 24, v11
	v_ffbh_u32_e32 v101, v100
	v_cmp_eq_u32_e32 vcc_lo, 0, v103
	v_min_u32_e32 v101, 32, v101
	v_subrev_nc_u32_e32 v102, 28, v101
	v_sub_nc_u32_e32 v101, 29, v101
	v_lshlrev_b32_e32 v102, v102, v11
	v_cndmask_b32_e32 v101, v103, v101, vcc_lo
	v_and_b32_e32 v102, 7, v102
	v_lshl_add_u32 v101, v101, 23, 0x3b800000
	v_cndmask_b32_e32 v100, v100, v102, vcc_lo
	v_and_b32_e32 v102, 0x80000000, v112
	v_lshlrev_b32_e32 v100, 20, v100
	v_or3_b32 v100, v102, v101, v100
.LBB2_4415:                             ;   in Loop: Header=BB2_4345 Depth=2
	s_or_b32 exec_lo, exec_lo, s40
	v_mul_f32_e32 v101, s29, v100
	v_and_b32_e32 v100, 0x7f800000, v101
	v_cmp_ne_u32_e32 vcc_lo, 0x7f800000, v100
	v_mov_b32_e32 v100, 0x80
	s_and_saveexec_b32 s40, vcc_lo
	s_cbranch_execz .LBB2_4423
; %bb.4416:                             ;   in Loop: Header=BB2_4345 Depth=2
	v_mov_b32_e32 v100, 0
	s_mov_b32 s41, exec_lo
	v_cmpx_ne_u32_e32 0, v101
	s_cbranch_execz .LBB2_4422
; %bb.4417:                             ;   in Loop: Header=BB2_4345 Depth=2
	v_bfe_u32 v100, v101, 23, 8
	v_and_b32_e32 v102, 0x7fffff, v101
	v_sub_nc_u32_e32 v103, 0x78, v100
	v_cmp_gt_u32_e32 vcc_lo, 0x79, v100
	v_or_b32_e32 v112, 0x800000, v102
	v_cndmask_b32_e32 v103, 0, v103, vcc_lo
	v_cmp_eq_u32_e32 vcc_lo, 0, v100
	v_add_nc_u32_e32 v100, 0xffffff89, v100
	v_cndmask_b32_e64 v103, v103, 0x77, vcc_lo
	v_cndmask_b32_e32 v102, v112, v102, vcc_lo
	v_cndmask_b32_e64 v100, v100, 0xffffff8a, vcc_lo
	v_lshl_add_u32 v112, 0x100000, v103, -1
	v_lshrrev_b32_e32 v113, v103, v102
	v_lshlrev_b32_e64 v115, v103, 0x80000
	v_add_nc_u32_e32 v103, v103, v100
	v_and_b32_e32 v102, v112, v102
	v_bfe_u32 v114, v113, 20, 1
	v_cmp_eq_u32_e64 s14, v102, v115
	v_add_nc_u32_e32 v112, -1, v114
	v_cndmask_b32_e64 v102, 0, v112, s14
	v_lshrrev_b32_e32 v112, 23, v113
	s_mov_b32 s14, exec_lo
	v_add_nc_u32_e32 v102, v102, v113
	v_xor_b32_e32 v112, 1, v112
	v_and_b32_e32 v100, 0xfffff, v102
	v_add_nc_u32_e32 v102, v100, v113
                                        ; implicit-def: $vgpr100
	v_cmpx_ne_u32_e64 v103, v112
	s_xor_b32 s14, exec_lo, s14
; %bb.4418:                             ;   in Loop: Header=BB2_4345 Depth=2
	v_cmp_lt_u32_e32 vcc_lo, 0xffffff, v102
	v_sub_nc_u32_e32 v100, v103, v112
	v_cndmask_b32_e64 v103, 0, 1, vcc_lo
	v_add_co_ci_u32_e64 v100, null, 0, v100, vcc_lo
	v_lshrrev_b32_e32 v102, v103, v102
; %bb.4419:                             ;   in Loop: Header=BB2_4345 Depth=2
	s_andn2_saveexec_b32 s14, s14
; %bb.4420:                             ;   in Loop: Header=BB2_4345 Depth=2
	v_bfe_u32 v100, v102, 23, 1
; %bb.4421:                             ;   in Loop: Header=BB2_4345 Depth=2
	s_or_b32 exec_lo, exec_lo, s14
	v_lshrrev_b32_e32 v102, 20, v102
	v_min_i32_e32 v103, 15, v100
	v_cmp_gt_i32_e32 vcc_lo, 16, v100
	v_and_b32_sdwa v101, v101, v83 dst_sel:DWORD dst_unused:UNUSED_PAD src0_sel:BYTE_3 src1_sel:DWORD
	v_lshlrev_b32_e32 v103, 3, v103
	v_cndmask_b32_e32 v102, 7, v102, vcc_lo
	v_and_b32_e32 v103, 0xf8, v103
	v_and_b32_e32 v112, 7, v102
	v_or_b32_e32 v100, v100, v102
	v_or3_b32 v101, v103, v101, v112
	v_cmp_ne_u32_e32 vcc_lo, 0, v100
	v_cndmask_b32_e32 v100, 0, v101, vcc_lo
.LBB2_4422:                             ;   in Loop: Header=BB2_4345 Depth=2
	s_or_b32 exec_lo, exec_lo, s41
.LBB2_4423:                             ;   in Loop: Header=BB2_4345 Depth=2
	s_or_b32 exec_lo, exec_lo, s40
	v_cmp_gt_i16_sdwa s40, v11, v82 src0_sel:BYTE_1 src1_sel:DWORD
	s_mov_b32 s14, 0
	s_and_saveexec_b32 s41, s40
	s_xor_b32 s40, exec_lo, s41
	s_cbranch_execz .LBB2_4585
; %bb.4424:                             ;   in Loop: Header=BB2_4345 Depth=2
	v_cmp_eq_u16_sdwa s42, v11, v83 src0_sel:BYTE_1 src1_sel:DWORD
	s_mov_b32 s14, -1
	s_and_saveexec_b32 s41, s42
; %bb.4425:                             ;   in Loop: Header=BB2_4345 Depth=2
	s_xor_b32 s14, exec_lo, -1
; %bb.4426:                             ;   in Loop: Header=BB2_4345 Depth=2
	s_or_b32 exec_lo, exec_lo, s41
	s_and_b32 s14, s14, exec_lo
	s_or_saveexec_b32 s40, s40
	v_mov_b32_e32 v101, 0x7f800001
	s_xor_b32 exec_lo, exec_lo, s40
	s_cbranch_execnz .LBB2_4586
.LBB2_4427:                             ;   in Loop: Header=BB2_4345 Depth=2
	s_or_b32 exec_lo, exec_lo, s40
	s_and_saveexec_b32 s40, s14
	s_cbranch_execz .LBB2_4429
.LBB2_4428:                             ;   in Loop: Header=BB2_4345 Depth=2
	v_and_b32_sdwa v101, v84, v11 dst_sel:DWORD dst_unused:UNUSED_PAD src0_sel:DWORD src1_sel:BYTE_1
	v_and_b32_e32 v102, 7, v101
	v_bfe_u32 v113, v101, 3, 4
	v_ffbh_u32_e32 v103, v102
	v_cmp_eq_u32_e32 vcc_lo, 0, v113
	v_min_u32_e32 v103, 32, v103
	v_subrev_nc_u32_e32 v112, 28, v103
	v_sub_nc_u32_e32 v103, 29, v103
	v_lshlrev_b32_e32 v101, v112, v101
	v_lshlrev_b32_sdwa v112, v85, v11 dst_sel:DWORD dst_unused:UNUSED_PAD src0_sel:DWORD src1_sel:BYTE_1
	v_cndmask_b32_e32 v103, v113, v103, vcc_lo
	v_and_b32_e32 v101, 7, v101
	v_lshl_add_u32 v103, v103, 23, 0x3b800000
	v_cndmask_b32_e32 v101, v102, v101, vcc_lo
	v_and_b32_e32 v102, 0x80000000, v112
	v_lshlrev_b32_e32 v101, 20, v101
	v_or3_b32 v101, v102, v103, v101
.LBB2_4429:                             ;   in Loop: Header=BB2_4345 Depth=2
	s_or_b32 exec_lo, exec_lo, s40
	v_mul_f32_e32 v102, s29, v101
	v_and_b32_e32 v101, 0x7f800000, v102
	v_cmp_ne_u32_e32 vcc_lo, 0x7f800000, v101
	v_mov_b32_e32 v101, 0x8000
	s_and_saveexec_b32 s40, vcc_lo
	s_cbranch_execz .LBB2_4437
; %bb.4430:                             ;   in Loop: Header=BB2_4345 Depth=2
	v_mov_b32_e32 v101, 0
	s_mov_b32 s41, exec_lo
	v_cmpx_ne_u32_e32 0, v102
	s_cbranch_execz .LBB2_4436
; %bb.4431:                             ;   in Loop: Header=BB2_4345 Depth=2
	v_bfe_u32 v101, v102, 23, 8
	v_and_b32_e32 v103, 0x7fffff, v102
	v_sub_nc_u32_e32 v112, 0x78, v101
	v_cmp_gt_u32_e32 vcc_lo, 0x79, v101
	v_or_b32_e32 v113, 0x800000, v103
	v_cndmask_b32_e32 v112, 0, v112, vcc_lo
	v_cmp_eq_u32_e32 vcc_lo, 0, v101
	v_add_nc_u32_e32 v101, 0xffffff89, v101
	v_cndmask_b32_e64 v112, v112, 0x77, vcc_lo
	v_cndmask_b32_e32 v103, v113, v103, vcc_lo
	v_cndmask_b32_e64 v101, v101, 0xffffff8a, vcc_lo
	v_lshl_add_u32 v113, 0x100000, v112, -1
	v_lshrrev_b32_e32 v114, v112, v103
	v_lshlrev_b32_e64 v116, v112, 0x80000
	v_add_nc_u32_e32 v112, v112, v101
	v_and_b32_e32 v103, v113, v103
	v_bfe_u32 v115, v114, 20, 1
	v_cmp_eq_u32_e64 s14, v103, v116
	v_add_nc_u32_e32 v113, -1, v115
	v_cndmask_b32_e64 v103, 0, v113, s14
	v_lshrrev_b32_e32 v113, 23, v114
	s_mov_b32 s14, exec_lo
	v_add_nc_u32_e32 v103, v103, v114
	v_xor_b32_e32 v113, 1, v113
	v_and_b32_e32 v101, 0xfffff, v103
	v_add_nc_u32_e32 v103, v101, v114
                                        ; implicit-def: $vgpr101
	v_cmpx_ne_u32_e64 v112, v113
	s_xor_b32 s14, exec_lo, s14
; %bb.4432:                             ;   in Loop: Header=BB2_4345 Depth=2
	v_cmp_lt_u32_e32 vcc_lo, 0xffffff, v103
	v_sub_nc_u32_e32 v101, v112, v113
	v_cndmask_b32_e64 v112, 0, 1, vcc_lo
	v_add_co_ci_u32_e64 v101, null, 0, v101, vcc_lo
	v_lshrrev_b32_e32 v103, v112, v103
; %bb.4433:                             ;   in Loop: Header=BB2_4345 Depth=2
	s_andn2_saveexec_b32 s14, s14
; %bb.4434:                             ;   in Loop: Header=BB2_4345 Depth=2
	v_bfe_u32 v101, v103, 23, 1
; %bb.4435:                             ;   in Loop: Header=BB2_4345 Depth=2
	s_or_b32 exec_lo, exec_lo, s14
	v_lshrrev_b32_e32 v103, 20, v103
	v_min_i32_e32 v112, 15, v101
	v_cmp_gt_i32_e32 vcc_lo, 16, v101
	v_and_b32_sdwa v102, v102, v83 dst_sel:DWORD dst_unused:UNUSED_PAD src0_sel:BYTE_3 src1_sel:DWORD
	v_lshlrev_b32_e32 v112, 3, v112
	v_cndmask_b32_e32 v103, 7, v103, vcc_lo
	v_and_b32_e32 v112, 0xf8, v112
	v_and_b32_e32 v113, 7, v103
	v_or_b32_e32 v101, v101, v103
	v_or3_b32 v102, v102, v112, v113
	v_cmp_ne_u32_e32 vcc_lo, 0, v101
	v_lshlrev_b32_e32 v102, 8, v102
	v_cndmask_b32_e32 v101, 0, v102, vcc_lo
.LBB2_4436:                             ;   in Loop: Header=BB2_4345 Depth=2
	s_or_b32 exec_lo, exec_lo, s41
.LBB2_4437:                             ;   in Loop: Header=BB2_4345 Depth=2
	s_or_b32 exec_lo, exec_lo, s40
	v_and_b32_sdwa v103, v11, v86 dst_sel:DWORD dst_unused:UNUSED_PAD src0_sel:WORD_1 src1_sel:DWORD
	s_mov_b32 s14, 0
	s_mov_b32 s40, exec_lo
	v_cmpx_lt_i16_e32 0x7f, v103
	s_xor_b32 s40, exec_lo, s40
	s_cbranch_execz .LBB2_4587
; %bb.4438:                             ;   in Loop: Header=BB2_4345 Depth=2
	s_mov_b32 s14, -1
	s_mov_b32 s41, exec_lo
	v_cmpx_eq_u16_e32 0x80, v103
; %bb.4439:                             ;   in Loop: Header=BB2_4345 Depth=2
	s_xor_b32 s14, exec_lo, -1
; %bb.4440:                             ;   in Loop: Header=BB2_4345 Depth=2
	s_or_b32 exec_lo, exec_lo, s41
	s_and_b32 s14, s14, exec_lo
                                        ; implicit-def: $vgpr103
	s_or_saveexec_b32 s40, s40
	v_mov_b32_e32 v102, 0x7f800001
	s_xor_b32 exec_lo, exec_lo, s40
	s_cbranch_execnz .LBB2_4588
.LBB2_4441:                             ;   in Loop: Header=BB2_4345 Depth=2
	s_or_b32 exec_lo, exec_lo, s40
	s_and_saveexec_b32 s40, s14
	s_cbranch_execz .LBB2_4443
.LBB2_4442:                             ;   in Loop: Header=BB2_4345 Depth=2
	v_bfe_u32 v102, v11, 16, 3
	v_bfe_u32 v113, v11, 19, 4
	v_lshlrev_b32_e32 v114, 8, v11
	v_ffbh_u32_e32 v103, v102
	v_cmp_eq_u32_e32 vcc_lo, 0, v113
	v_min_u32_e32 v103, 32, v103
	v_subrev_nc_u32_e32 v112, 28, v103
	v_sub_nc_u32_e32 v103, 29, v103
	v_lshlrev_b32_sdwa v112, v112, v11 dst_sel:DWORD dst_unused:UNUSED_PAD src0_sel:DWORD src1_sel:WORD_1
	v_cndmask_b32_e32 v103, v113, v103, vcc_lo
	v_and_b32_e32 v112, 7, v112
	v_lshl_add_u32 v103, v103, 23, 0x3b800000
	v_cndmask_b32_e32 v102, v102, v112, vcc_lo
	v_and_b32_e32 v112, 0x80000000, v114
	v_lshlrev_b32_e32 v102, 20, v102
	v_or3_b32 v102, v112, v103, v102
.LBB2_4443:                             ;   in Loop: Header=BB2_4345 Depth=2
	s_or_b32 exec_lo, exec_lo, s40
	v_mul_f32_e32 v103, s29, v102
	v_and_b32_e32 v102, 0x7f800000, v103
	v_cmp_ne_u32_e32 vcc_lo, 0x7f800000, v102
	v_mov_b32_e32 v102, 0x80
	s_and_saveexec_b32 s40, vcc_lo
	s_cbranch_execz .LBB2_4451
; %bb.4444:                             ;   in Loop: Header=BB2_4345 Depth=2
	v_mov_b32_e32 v102, 0
	s_mov_b32 s41, exec_lo
	v_cmpx_ne_u32_e32 0, v103
	s_cbranch_execz .LBB2_4450
; %bb.4445:                             ;   in Loop: Header=BB2_4345 Depth=2
	v_bfe_u32 v102, v103, 23, 8
	v_and_b32_e32 v112, 0x7fffff, v103
	v_sub_nc_u32_e32 v113, 0x78, v102
	v_cmp_gt_u32_e32 vcc_lo, 0x79, v102
	v_or_b32_e32 v114, 0x800000, v112
	v_cndmask_b32_e32 v113, 0, v113, vcc_lo
	v_cmp_eq_u32_e32 vcc_lo, 0, v102
	v_add_nc_u32_e32 v102, 0xffffff89, v102
	v_cndmask_b32_e64 v113, v113, 0x77, vcc_lo
	v_cndmask_b32_e32 v112, v114, v112, vcc_lo
	v_cndmask_b32_e64 v102, v102, 0xffffff8a, vcc_lo
	v_lshl_add_u32 v114, 0x100000, v113, -1
	v_lshrrev_b32_e32 v115, v113, v112
	v_lshlrev_b32_e64 v117, v113, 0x80000
	v_add_nc_u32_e32 v113, v113, v102
	v_and_b32_e32 v112, v114, v112
	v_bfe_u32 v116, v115, 20, 1
	v_cmp_eq_u32_e64 s14, v112, v117
	v_add_nc_u32_e32 v114, -1, v116
	v_cndmask_b32_e64 v112, 0, v114, s14
	v_lshrrev_b32_e32 v114, 23, v115
	s_mov_b32 s14, exec_lo
	v_add_nc_u32_e32 v112, v112, v115
	v_xor_b32_e32 v114, 1, v114
	v_and_b32_e32 v102, 0xfffff, v112
	v_add_nc_u32_e32 v112, v102, v115
                                        ; implicit-def: $vgpr102
	v_cmpx_ne_u32_e64 v113, v114
	s_xor_b32 s14, exec_lo, s14
; %bb.4446:                             ;   in Loop: Header=BB2_4345 Depth=2
	v_cmp_lt_u32_e32 vcc_lo, 0xffffff, v112
	v_sub_nc_u32_e32 v102, v113, v114
	v_cndmask_b32_e64 v113, 0, 1, vcc_lo
	v_add_co_ci_u32_e64 v102, null, 0, v102, vcc_lo
	v_lshrrev_b32_e32 v112, v113, v112
; %bb.4447:                             ;   in Loop: Header=BB2_4345 Depth=2
	s_andn2_saveexec_b32 s14, s14
; %bb.4448:                             ;   in Loop: Header=BB2_4345 Depth=2
	v_bfe_u32 v102, v112, 23, 1
; %bb.4449:                             ;   in Loop: Header=BB2_4345 Depth=2
	s_or_b32 exec_lo, exec_lo, s14
	v_lshrrev_b32_e32 v112, 20, v112
	v_min_i32_e32 v113, 15, v102
	v_cmp_gt_i32_e32 vcc_lo, 16, v102
	v_and_b32_sdwa v103, v103, v83 dst_sel:DWORD dst_unused:UNUSED_PAD src0_sel:BYTE_3 src1_sel:DWORD
	v_lshlrev_b32_e32 v113, 3, v113
	v_cndmask_b32_e32 v112, 7, v112, vcc_lo
	v_and_b32_e32 v113, 0xf8, v113
	v_and_b32_e32 v114, 7, v112
	v_or_b32_e32 v102, v102, v112
	v_or3_b32 v103, v113, v103, v114
	v_cmp_ne_u32_e32 vcc_lo, 0, v102
	v_cndmask_b32_e32 v102, 0, v103, vcc_lo
.LBB2_4450:                             ;   in Loop: Header=BB2_4345 Depth=2
	s_or_b32 exec_lo, exec_lo, s41
.LBB2_4451:                             ;   in Loop: Header=BB2_4345 Depth=2
	s_or_b32 exec_lo, exec_lo, s40
	v_cmp_gt_i16_sdwa s40, v11, v82 src0_sel:BYTE_3 src1_sel:DWORD
	s_mov_b32 s14, 0
	s_and_saveexec_b32 s41, s40
	s_xor_b32 s40, exec_lo, s41
	s_cbranch_execz .LBB2_4589
; %bb.4452:                             ;   in Loop: Header=BB2_4345 Depth=2
	v_cmp_eq_u16_sdwa s42, v11, v83 src0_sel:BYTE_3 src1_sel:DWORD
	s_mov_b32 s14, -1
	s_and_saveexec_b32 s41, s42
; %bb.4453:                             ;   in Loop: Header=BB2_4345 Depth=2
	s_xor_b32 s14, exec_lo, -1
; %bb.4454:                             ;   in Loop: Header=BB2_4345 Depth=2
	s_or_b32 exec_lo, exec_lo, s41
	s_and_b32 s14, s14, exec_lo
	s_or_saveexec_b32 s40, s40
	v_mov_b32_e32 v103, 0x7f800001
	s_xor_b32 exec_lo, exec_lo, s40
	s_cbranch_execnz .LBB2_4590
.LBB2_4455:                             ;   in Loop: Header=BB2_4345 Depth=2
	s_or_b32 exec_lo, exec_lo, s40
	s_and_saveexec_b32 s40, s14
	s_cbranch_execz .LBB2_4457
.LBB2_4456:                             ;   in Loop: Header=BB2_4345 Depth=2
	v_bfe_u32 v103, v11, 24, 3
	v_bfe_u32 v114, v11, 27, 4
	v_ffbh_u32_e32 v112, v103
	v_cmp_eq_u32_e32 vcc_lo, 0, v114
	v_min_u32_e32 v112, 32, v112
	v_subrev_nc_u32_e32 v113, 28, v112
	v_sub_nc_u32_e32 v112, 29, v112
	v_lshlrev_b32_sdwa v113, v113, v11 dst_sel:DWORD dst_unused:UNUSED_PAD src0_sel:DWORD src1_sel:BYTE_3
	v_cndmask_b32_e32 v112, v114, v112, vcc_lo
	v_and_b32_e32 v11, 0x80000000, v11
	v_and_b32_e32 v113, 7, v113
	v_lshl_add_u32 v112, v112, 23, 0x3b800000
	v_cndmask_b32_e32 v103, v103, v113, vcc_lo
	v_lshlrev_b32_e32 v103, 20, v103
	v_or3_b32 v103, v11, v112, v103
.LBB2_4457:                             ;   in Loop: Header=BB2_4345 Depth=2
	s_or_b32 exec_lo, exec_lo, s40
	v_mul_f32_e32 v103, s29, v103
	v_and_b32_e32 v11, 0x7f800000, v103
	v_cmp_ne_u32_e32 vcc_lo, 0x7f800000, v11
	v_mov_b32_e32 v11, 0x8000
	s_and_saveexec_b32 s40, vcc_lo
	s_cbranch_execz .LBB2_4465
; %bb.4458:                             ;   in Loop: Header=BB2_4345 Depth=2
	v_mov_b32_e32 v11, 0
	s_mov_b32 s41, exec_lo
	v_cmpx_ne_u32_e32 0, v103
	s_cbranch_execz .LBB2_4464
; %bb.4459:                             ;   in Loop: Header=BB2_4345 Depth=2
	v_bfe_u32 v11, v103, 23, 8
	v_and_b32_e32 v112, 0x7fffff, v103
	v_sub_nc_u32_e32 v113, 0x78, v11
	v_cmp_gt_u32_e32 vcc_lo, 0x79, v11
	v_or_b32_e32 v114, 0x800000, v112
	v_cndmask_b32_e32 v113, 0, v113, vcc_lo
	v_cmp_eq_u32_e32 vcc_lo, 0, v11
	v_add_nc_u32_e32 v11, 0xffffff89, v11
	v_cndmask_b32_e64 v113, v113, 0x77, vcc_lo
	v_cndmask_b32_e32 v112, v114, v112, vcc_lo
	v_cndmask_b32_e64 v11, v11, 0xffffff8a, vcc_lo
	v_lshl_add_u32 v114, 0x100000, v113, -1
	v_lshrrev_b32_e32 v115, v113, v112
	v_lshlrev_b32_e64 v117, v113, 0x80000
	v_add_nc_u32_e32 v113, v113, v11
	v_and_b32_e32 v112, v114, v112
	v_bfe_u32 v116, v115, 20, 1
	v_cmp_eq_u32_e64 s14, v112, v117
	v_add_nc_u32_e32 v114, -1, v116
	v_cndmask_b32_e64 v112, 0, v114, s14
	v_lshrrev_b32_e32 v114, 23, v115
	s_mov_b32 s14, exec_lo
	v_add_nc_u32_e32 v112, v112, v115
	v_xor_b32_e32 v114, 1, v114
	v_and_b32_e32 v11, 0xfffff, v112
	v_add_nc_u32_e32 v112, v11, v115
                                        ; implicit-def: $vgpr11
	v_cmpx_ne_u32_e64 v113, v114
	s_xor_b32 s14, exec_lo, s14
; %bb.4460:                             ;   in Loop: Header=BB2_4345 Depth=2
	v_cmp_lt_u32_e32 vcc_lo, 0xffffff, v112
	v_sub_nc_u32_e32 v11, v113, v114
	v_cndmask_b32_e64 v113, 0, 1, vcc_lo
	v_add_co_ci_u32_e64 v11, null, 0, v11, vcc_lo
	v_lshrrev_b32_e32 v112, v113, v112
; %bb.4461:                             ;   in Loop: Header=BB2_4345 Depth=2
	s_andn2_saveexec_b32 s14, s14
; %bb.4462:                             ;   in Loop: Header=BB2_4345 Depth=2
	v_bfe_u32 v11, v112, 23, 1
; %bb.4463:                             ;   in Loop: Header=BB2_4345 Depth=2
	s_or_b32 exec_lo, exec_lo, s14
	v_lshrrev_b32_e32 v112, 20, v112
	v_min_i32_e32 v113, 15, v11
	v_cmp_gt_i32_e32 vcc_lo, 16, v11
	v_and_b32_sdwa v103, v103, v83 dst_sel:DWORD dst_unused:UNUSED_PAD src0_sel:BYTE_3 src1_sel:DWORD
	v_lshlrev_b32_e32 v113, 3, v113
	v_cndmask_b32_e32 v112, 7, v112, vcc_lo
	v_and_b32_e32 v113, 0xf8, v113
	v_and_b32_e32 v114, 7, v112
	v_or_b32_e32 v11, v11, v112
	v_or3_b32 v103, v103, v113, v114
	v_cmp_ne_u32_e32 vcc_lo, 0, v11
	v_lshlrev_b32_e32 v103, 8, v103
	v_cndmask_b32_e32 v11, 0, v103, vcc_lo
.LBB2_4464:                             ;   in Loop: Header=BB2_4345 Depth=2
	s_or_b32 exec_lo, exec_lo, s41
.LBB2_4465:                             ;   in Loop: Header=BB2_4345 Depth=2
	s_or_b32 exec_lo, exec_lo, s40
	v_cmp_gt_i16_sdwa s40, v12, v82 src0_sel:BYTE_0 src1_sel:DWORD
	s_mov_b32 s14, 0
	s_and_saveexec_b32 s41, s40
	s_xor_b32 s40, exec_lo, s41
	s_cbranch_execz .LBB2_4591
; %bb.4466:                             ;   in Loop: Header=BB2_4345 Depth=2
	v_cmp_eq_u16_sdwa s42, v12, v83 src0_sel:BYTE_0 src1_sel:DWORD
	s_mov_b32 s14, -1
	s_and_saveexec_b32 s41, s42
; %bb.4467:                             ;   in Loop: Header=BB2_4345 Depth=2
	s_xor_b32 s14, exec_lo, -1
; %bb.4468:                             ;   in Loop: Header=BB2_4345 Depth=2
	s_or_b32 exec_lo, exec_lo, s41
	s_and_b32 s14, s14, exec_lo
	s_or_saveexec_b32 s40, s40
	v_mov_b32_e32 v103, 0x7f800001
	s_xor_b32 exec_lo, exec_lo, s40
	s_cbranch_execnz .LBB2_4592
.LBB2_4469:                             ;   in Loop: Header=BB2_4345 Depth=2
	s_or_b32 exec_lo, exec_lo, s40
	s_and_saveexec_b32 s40, s14
	s_cbranch_execz .LBB2_4471
.LBB2_4470:                             ;   in Loop: Header=BB2_4345 Depth=2
	v_and_b32_e32 v103, 7, v12
	v_bfe_u32 v114, v12, 3, 4
	v_lshlrev_b32_e32 v115, 24, v12
	v_ffbh_u32_e32 v112, v103
	v_cmp_eq_u32_e32 vcc_lo, 0, v114
	v_min_u32_e32 v112, 32, v112
	v_subrev_nc_u32_e32 v113, 28, v112
	v_sub_nc_u32_e32 v112, 29, v112
	v_lshlrev_b32_e32 v113, v113, v12
	v_cndmask_b32_e32 v112, v114, v112, vcc_lo
	v_and_b32_e32 v113, 7, v113
	v_lshl_add_u32 v112, v112, 23, 0x3b800000
	v_cndmask_b32_e32 v103, v103, v113, vcc_lo
	v_and_b32_e32 v113, 0x80000000, v115
	v_lshlrev_b32_e32 v103, 20, v103
	v_or3_b32 v103, v113, v112, v103
.LBB2_4471:                             ;   in Loop: Header=BB2_4345 Depth=2
	s_or_b32 exec_lo, exec_lo, s40
	v_mul_f32_e32 v112, s29, v103
	v_and_b32_e32 v103, 0x7f800000, v112
	v_cmp_ne_u32_e32 vcc_lo, 0x7f800000, v103
	v_mov_b32_e32 v103, 0x80
	s_and_saveexec_b32 s40, vcc_lo
	s_cbranch_execz .LBB2_4479
; %bb.4472:                             ;   in Loop: Header=BB2_4345 Depth=2
	v_mov_b32_e32 v103, 0
	s_mov_b32 s41, exec_lo
	v_cmpx_ne_u32_e32 0, v112
	s_cbranch_execz .LBB2_4478
; %bb.4473:                             ;   in Loop: Header=BB2_4345 Depth=2
	v_bfe_u32 v103, v112, 23, 8
	v_and_b32_e32 v113, 0x7fffff, v112
	v_sub_nc_u32_e32 v114, 0x78, v103
	v_cmp_gt_u32_e32 vcc_lo, 0x79, v103
	v_or_b32_e32 v115, 0x800000, v113
	v_cndmask_b32_e32 v114, 0, v114, vcc_lo
	v_cmp_eq_u32_e32 vcc_lo, 0, v103
	v_add_nc_u32_e32 v103, 0xffffff89, v103
	v_cndmask_b32_e64 v114, v114, 0x77, vcc_lo
	v_cndmask_b32_e32 v113, v115, v113, vcc_lo
	v_cndmask_b32_e64 v103, v103, 0xffffff8a, vcc_lo
	v_lshl_add_u32 v115, 0x100000, v114, -1
	v_lshrrev_b32_e32 v116, v114, v113
	v_lshlrev_b32_e64 v118, v114, 0x80000
	v_add_nc_u32_e32 v114, v114, v103
	v_and_b32_e32 v113, v115, v113
	v_bfe_u32 v117, v116, 20, 1
	v_cmp_eq_u32_e64 s14, v113, v118
	v_add_nc_u32_e32 v115, -1, v117
	v_cndmask_b32_e64 v113, 0, v115, s14
	v_lshrrev_b32_e32 v115, 23, v116
	s_mov_b32 s14, exec_lo
	v_add_nc_u32_e32 v113, v113, v116
	v_xor_b32_e32 v115, 1, v115
	v_and_b32_e32 v103, 0xfffff, v113
	v_add_nc_u32_e32 v113, v103, v116
                                        ; implicit-def: $vgpr103
	v_cmpx_ne_u32_e64 v114, v115
	s_xor_b32 s14, exec_lo, s14
; %bb.4474:                             ;   in Loop: Header=BB2_4345 Depth=2
	v_cmp_lt_u32_e32 vcc_lo, 0xffffff, v113
	v_sub_nc_u32_e32 v103, v114, v115
	v_cndmask_b32_e64 v114, 0, 1, vcc_lo
	v_add_co_ci_u32_e64 v103, null, 0, v103, vcc_lo
	v_lshrrev_b32_e32 v113, v114, v113
; %bb.4475:                             ;   in Loop: Header=BB2_4345 Depth=2
	s_andn2_saveexec_b32 s14, s14
; %bb.4476:                             ;   in Loop: Header=BB2_4345 Depth=2
	v_bfe_u32 v103, v113, 23, 1
; %bb.4477:                             ;   in Loop: Header=BB2_4345 Depth=2
	s_or_b32 exec_lo, exec_lo, s14
	v_lshrrev_b32_e32 v113, 20, v113
	v_min_i32_e32 v114, 15, v103
	v_cmp_gt_i32_e32 vcc_lo, 16, v103
	v_and_b32_sdwa v112, v112, v83 dst_sel:DWORD dst_unused:UNUSED_PAD src0_sel:BYTE_3 src1_sel:DWORD
	v_lshlrev_b32_e32 v114, 3, v114
	v_cndmask_b32_e32 v113, 7, v113, vcc_lo
	v_and_b32_e32 v114, 0xf8, v114
	v_and_b32_e32 v115, 7, v113
	v_or_b32_e32 v103, v103, v113
	v_or3_b32 v112, v114, v112, v115
	v_cmp_ne_u32_e32 vcc_lo, 0, v103
	v_cndmask_b32_e32 v103, 0, v112, vcc_lo
.LBB2_4478:                             ;   in Loop: Header=BB2_4345 Depth=2
	s_or_b32 exec_lo, exec_lo, s41
.LBB2_4479:                             ;   in Loop: Header=BB2_4345 Depth=2
	s_or_b32 exec_lo, exec_lo, s40
	v_cmp_gt_i16_sdwa s40, v12, v82 src0_sel:BYTE_1 src1_sel:DWORD
	s_mov_b32 s14, 0
	s_and_saveexec_b32 s41, s40
	s_xor_b32 s40, exec_lo, s41
	s_cbranch_execz .LBB2_4593
; %bb.4480:                             ;   in Loop: Header=BB2_4345 Depth=2
	v_cmp_eq_u16_sdwa s42, v12, v83 src0_sel:BYTE_1 src1_sel:DWORD
	s_mov_b32 s14, -1
	s_and_saveexec_b32 s41, s42
; %bb.4481:                             ;   in Loop: Header=BB2_4345 Depth=2
	s_xor_b32 s14, exec_lo, -1
; %bb.4482:                             ;   in Loop: Header=BB2_4345 Depth=2
	s_or_b32 exec_lo, exec_lo, s41
	s_and_b32 s14, s14, exec_lo
	s_or_saveexec_b32 s40, s40
	v_mov_b32_e32 v112, 0x7f800001
	s_xor_b32 exec_lo, exec_lo, s40
	s_cbranch_execnz .LBB2_4594
.LBB2_4483:                             ;   in Loop: Header=BB2_4345 Depth=2
	s_or_b32 exec_lo, exec_lo, s40
	s_and_saveexec_b32 s40, s14
	s_cbranch_execz .LBB2_4485
.LBB2_4484:                             ;   in Loop: Header=BB2_4345 Depth=2
	v_and_b32_sdwa v112, v84, v12 dst_sel:DWORD dst_unused:UNUSED_PAD src0_sel:DWORD src1_sel:BYTE_1
	v_and_b32_e32 v113, 7, v112
	v_bfe_u32 v116, v112, 3, 4
	v_ffbh_u32_e32 v114, v113
	v_cmp_eq_u32_e32 vcc_lo, 0, v116
	v_min_u32_e32 v114, 32, v114
	v_subrev_nc_u32_e32 v115, 28, v114
	v_sub_nc_u32_e32 v114, 29, v114
	v_lshlrev_b32_e32 v112, v115, v112
	v_lshlrev_b32_sdwa v115, v85, v12 dst_sel:DWORD dst_unused:UNUSED_PAD src0_sel:DWORD src1_sel:BYTE_1
	v_cndmask_b32_e32 v114, v116, v114, vcc_lo
	v_and_b32_e32 v112, 7, v112
	v_lshl_add_u32 v114, v114, 23, 0x3b800000
	v_cndmask_b32_e32 v112, v113, v112, vcc_lo
	v_and_b32_e32 v113, 0x80000000, v115
	v_lshlrev_b32_e32 v112, 20, v112
	v_or3_b32 v112, v113, v114, v112
.LBB2_4485:                             ;   in Loop: Header=BB2_4345 Depth=2
	s_or_b32 exec_lo, exec_lo, s40
	v_mul_f32_e32 v113, s29, v112
	v_and_b32_e32 v112, 0x7f800000, v113
	v_cmp_ne_u32_e32 vcc_lo, 0x7f800000, v112
	v_mov_b32_e32 v112, 0x8000
	s_and_saveexec_b32 s40, vcc_lo
	s_cbranch_execz .LBB2_4493
; %bb.4486:                             ;   in Loop: Header=BB2_4345 Depth=2
	v_mov_b32_e32 v112, 0
	s_mov_b32 s41, exec_lo
	v_cmpx_ne_u32_e32 0, v113
	s_cbranch_execz .LBB2_4492
; %bb.4487:                             ;   in Loop: Header=BB2_4345 Depth=2
	v_bfe_u32 v112, v113, 23, 8
	v_and_b32_e32 v114, 0x7fffff, v113
	v_sub_nc_u32_e32 v115, 0x78, v112
	v_cmp_gt_u32_e32 vcc_lo, 0x79, v112
	v_or_b32_e32 v116, 0x800000, v114
	v_cndmask_b32_e32 v115, 0, v115, vcc_lo
	v_cmp_eq_u32_e32 vcc_lo, 0, v112
	v_add_nc_u32_e32 v112, 0xffffff89, v112
	v_cndmask_b32_e64 v115, v115, 0x77, vcc_lo
	v_cndmask_b32_e32 v114, v116, v114, vcc_lo
	v_cndmask_b32_e64 v112, v112, 0xffffff8a, vcc_lo
	v_lshl_add_u32 v116, 0x100000, v115, -1
	v_lshrrev_b32_e32 v117, v115, v114
	v_lshlrev_b32_e64 v119, v115, 0x80000
	v_add_nc_u32_e32 v115, v115, v112
	v_and_b32_e32 v114, v116, v114
	v_bfe_u32 v118, v117, 20, 1
	v_cmp_eq_u32_e64 s14, v114, v119
	v_add_nc_u32_e32 v116, -1, v118
	v_cndmask_b32_e64 v114, 0, v116, s14
	v_lshrrev_b32_e32 v116, 23, v117
	s_mov_b32 s14, exec_lo
	v_add_nc_u32_e32 v114, v114, v117
	v_xor_b32_e32 v116, 1, v116
	v_and_b32_e32 v112, 0xfffff, v114
	v_add_nc_u32_e32 v114, v112, v117
                                        ; implicit-def: $vgpr112
	v_cmpx_ne_u32_e64 v115, v116
	s_xor_b32 s14, exec_lo, s14
; %bb.4488:                             ;   in Loop: Header=BB2_4345 Depth=2
	v_cmp_lt_u32_e32 vcc_lo, 0xffffff, v114
	v_sub_nc_u32_e32 v112, v115, v116
	v_cndmask_b32_e64 v115, 0, 1, vcc_lo
	v_add_co_ci_u32_e64 v112, null, 0, v112, vcc_lo
	v_lshrrev_b32_e32 v114, v115, v114
; %bb.4489:                             ;   in Loop: Header=BB2_4345 Depth=2
	s_andn2_saveexec_b32 s14, s14
; %bb.4490:                             ;   in Loop: Header=BB2_4345 Depth=2
	v_bfe_u32 v112, v114, 23, 1
; %bb.4491:                             ;   in Loop: Header=BB2_4345 Depth=2
	s_or_b32 exec_lo, exec_lo, s14
	v_lshrrev_b32_e32 v114, 20, v114
	v_min_i32_e32 v115, 15, v112
	v_cmp_gt_i32_e32 vcc_lo, 16, v112
	v_and_b32_sdwa v113, v113, v83 dst_sel:DWORD dst_unused:UNUSED_PAD src0_sel:BYTE_3 src1_sel:DWORD
	v_lshlrev_b32_e32 v115, 3, v115
	v_cndmask_b32_e32 v114, 7, v114, vcc_lo
	v_and_b32_e32 v115, 0xf8, v115
	v_and_b32_e32 v116, 7, v114
	v_or_b32_e32 v112, v112, v114
	v_or3_b32 v113, v113, v115, v116
	v_cmp_ne_u32_e32 vcc_lo, 0, v112
	v_lshlrev_b32_e32 v113, 8, v113
	v_cndmask_b32_e32 v112, 0, v113, vcc_lo
.LBB2_4492:                             ;   in Loop: Header=BB2_4345 Depth=2
	s_or_b32 exec_lo, exec_lo, s41
.LBB2_4493:                             ;   in Loop: Header=BB2_4345 Depth=2
	s_or_b32 exec_lo, exec_lo, s40
	v_and_b32_sdwa v114, v12, v86 dst_sel:DWORD dst_unused:UNUSED_PAD src0_sel:WORD_1 src1_sel:DWORD
	s_mov_b32 s14, 0
	s_mov_b32 s40, exec_lo
	v_cmpx_lt_i16_e32 0x7f, v114
	s_xor_b32 s40, exec_lo, s40
	s_cbranch_execz .LBB2_4595
; %bb.4494:                             ;   in Loop: Header=BB2_4345 Depth=2
	s_mov_b32 s14, -1
	s_mov_b32 s41, exec_lo
	v_cmpx_eq_u16_e32 0x80, v114
; %bb.4495:                             ;   in Loop: Header=BB2_4345 Depth=2
	s_xor_b32 s14, exec_lo, -1
; %bb.4496:                             ;   in Loop: Header=BB2_4345 Depth=2
	s_or_b32 exec_lo, exec_lo, s41
	s_and_b32 s14, s14, exec_lo
                                        ; implicit-def: $vgpr114
	s_or_saveexec_b32 s40, s40
	v_mov_b32_e32 v113, 0x7f800001
	s_xor_b32 exec_lo, exec_lo, s40
	s_cbranch_execnz .LBB2_4596
.LBB2_4497:                             ;   in Loop: Header=BB2_4345 Depth=2
	s_or_b32 exec_lo, exec_lo, s40
	s_and_saveexec_b32 s40, s14
	s_cbranch_execz .LBB2_4499
.LBB2_4498:                             ;   in Loop: Header=BB2_4345 Depth=2
	v_bfe_u32 v113, v12, 16, 3
	v_bfe_u32 v116, v12, 19, 4
	v_lshlrev_b32_e32 v117, 8, v12
	v_ffbh_u32_e32 v114, v113
	v_cmp_eq_u32_e32 vcc_lo, 0, v116
	v_min_u32_e32 v114, 32, v114
	v_subrev_nc_u32_e32 v115, 28, v114
	v_sub_nc_u32_e32 v114, 29, v114
	v_lshlrev_b32_sdwa v115, v115, v12 dst_sel:DWORD dst_unused:UNUSED_PAD src0_sel:DWORD src1_sel:WORD_1
	v_cndmask_b32_e32 v114, v116, v114, vcc_lo
	v_and_b32_e32 v115, 7, v115
	v_lshl_add_u32 v114, v114, 23, 0x3b800000
	v_cndmask_b32_e32 v113, v113, v115, vcc_lo
	v_and_b32_e32 v115, 0x80000000, v117
	v_lshlrev_b32_e32 v113, 20, v113
	v_or3_b32 v113, v115, v114, v113
.LBB2_4499:                             ;   in Loop: Header=BB2_4345 Depth=2
	s_or_b32 exec_lo, exec_lo, s40
	v_mul_f32_e32 v114, s29, v113
	v_and_b32_e32 v113, 0x7f800000, v114
	v_cmp_ne_u32_e32 vcc_lo, 0x7f800000, v113
	v_mov_b32_e32 v113, 0x80
	s_and_saveexec_b32 s40, vcc_lo
	s_cbranch_execz .LBB2_4507
; %bb.4500:                             ;   in Loop: Header=BB2_4345 Depth=2
	v_mov_b32_e32 v113, 0
	s_mov_b32 s41, exec_lo
	v_cmpx_ne_u32_e32 0, v114
	s_cbranch_execz .LBB2_4506
; %bb.4501:                             ;   in Loop: Header=BB2_4345 Depth=2
	v_bfe_u32 v113, v114, 23, 8
	v_and_b32_e32 v115, 0x7fffff, v114
	v_sub_nc_u32_e32 v116, 0x78, v113
	v_cmp_gt_u32_e32 vcc_lo, 0x79, v113
	v_or_b32_e32 v117, 0x800000, v115
	v_cndmask_b32_e32 v116, 0, v116, vcc_lo
	v_cmp_eq_u32_e32 vcc_lo, 0, v113
	v_add_nc_u32_e32 v113, 0xffffff89, v113
	v_cndmask_b32_e64 v116, v116, 0x77, vcc_lo
	v_cndmask_b32_e32 v115, v117, v115, vcc_lo
	v_cndmask_b32_e64 v113, v113, 0xffffff8a, vcc_lo
	v_lshl_add_u32 v117, 0x100000, v116, -1
	v_lshrrev_b32_e32 v118, v116, v115
	v_lshlrev_b32_e64 v40, v116, 0x80000
	v_add_nc_u32_e32 v116, v116, v113
	v_and_b32_e32 v115, v117, v115
	v_bfe_u32 v119, v118, 20, 1
	v_cmp_eq_u32_e64 s14, v115, v40
	v_add_nc_u32_e32 v117, -1, v119
	v_cndmask_b32_e64 v115, 0, v117, s14
	v_lshrrev_b32_e32 v117, 23, v118
	s_mov_b32 s14, exec_lo
	v_add_nc_u32_e32 v115, v115, v118
	v_xor_b32_e32 v117, 1, v117
	v_and_b32_e32 v113, 0xfffff, v115
	v_add_nc_u32_e32 v115, v113, v118
                                        ; implicit-def: $vgpr113
	v_cmpx_ne_u32_e64 v116, v117
	s_xor_b32 s14, exec_lo, s14
; %bb.4502:                             ;   in Loop: Header=BB2_4345 Depth=2
	v_cmp_lt_u32_e32 vcc_lo, 0xffffff, v115
	v_sub_nc_u32_e32 v113, v116, v117
	v_cndmask_b32_e64 v116, 0, 1, vcc_lo
	v_add_co_ci_u32_e64 v113, null, 0, v113, vcc_lo
	v_lshrrev_b32_e32 v115, v116, v115
; %bb.4503:                             ;   in Loop: Header=BB2_4345 Depth=2
	s_andn2_saveexec_b32 s14, s14
; %bb.4504:                             ;   in Loop: Header=BB2_4345 Depth=2
	v_bfe_u32 v113, v115, 23, 1
; %bb.4505:                             ;   in Loop: Header=BB2_4345 Depth=2
	s_or_b32 exec_lo, exec_lo, s14
	v_lshrrev_b32_e32 v115, 20, v115
	v_min_i32_e32 v116, 15, v113
	v_cmp_gt_i32_e32 vcc_lo, 16, v113
	v_and_b32_sdwa v114, v114, v83 dst_sel:DWORD dst_unused:UNUSED_PAD src0_sel:BYTE_3 src1_sel:DWORD
	v_lshlrev_b32_e32 v116, 3, v116
	v_cndmask_b32_e32 v115, 7, v115, vcc_lo
	v_and_b32_e32 v116, 0xf8, v116
	v_and_b32_e32 v117, 7, v115
	v_or_b32_e32 v113, v113, v115
	v_or3_b32 v114, v116, v114, v117
	v_cmp_ne_u32_e32 vcc_lo, 0, v113
	v_cndmask_b32_e32 v113, 0, v114, vcc_lo
.LBB2_4506:                             ;   in Loop: Header=BB2_4345 Depth=2
	s_or_b32 exec_lo, exec_lo, s41
.LBB2_4507:                             ;   in Loop: Header=BB2_4345 Depth=2
	s_or_b32 exec_lo, exec_lo, s40
	v_cmp_gt_i16_sdwa s40, v12, v82 src0_sel:BYTE_3 src1_sel:DWORD
	s_mov_b32 s14, 0
	s_and_saveexec_b32 s41, s40
	s_xor_b32 s40, exec_lo, s41
	s_cbranch_execz .LBB2_4597
; %bb.4508:                             ;   in Loop: Header=BB2_4345 Depth=2
	v_cmp_eq_u16_sdwa s42, v12, v83 src0_sel:BYTE_3 src1_sel:DWORD
	s_mov_b32 s14, -1
	s_and_saveexec_b32 s41, s42
; %bb.4509:                             ;   in Loop: Header=BB2_4345 Depth=2
	s_xor_b32 s14, exec_lo, -1
; %bb.4510:                             ;   in Loop: Header=BB2_4345 Depth=2
	s_or_b32 exec_lo, exec_lo, s41
	s_and_b32 s14, s14, exec_lo
	s_or_saveexec_b32 s40, s40
	v_mov_b32_e32 v114, 0x7f800001
	s_xor_b32 exec_lo, exec_lo, s40
	s_cbranch_execnz .LBB2_4598
.LBB2_4511:                             ;   in Loop: Header=BB2_4345 Depth=2
	s_or_b32 exec_lo, exec_lo, s40
	s_and_saveexec_b32 s40, s14
	s_cbranch_execz .LBB2_4513
.LBB2_4512:                             ;   in Loop: Header=BB2_4345 Depth=2
	v_bfe_u32 v114, v12, 24, 3
	v_bfe_u32 v117, v12, 27, 4
	v_ffbh_u32_e32 v115, v114
	v_cmp_eq_u32_e32 vcc_lo, 0, v117
	v_min_u32_e32 v115, 32, v115
	v_subrev_nc_u32_e32 v116, 28, v115
	v_sub_nc_u32_e32 v115, 29, v115
	v_lshlrev_b32_sdwa v116, v116, v12 dst_sel:DWORD dst_unused:UNUSED_PAD src0_sel:DWORD src1_sel:BYTE_3
	v_cndmask_b32_e32 v115, v117, v115, vcc_lo
	v_and_b32_e32 v12, 0x80000000, v12
	v_and_b32_e32 v116, 7, v116
	v_lshl_add_u32 v115, v115, 23, 0x3b800000
	v_cndmask_b32_e32 v114, v114, v116, vcc_lo
	v_lshlrev_b32_e32 v114, 20, v114
	v_or3_b32 v114, v12, v115, v114
.LBB2_4513:                             ;   in Loop: Header=BB2_4345 Depth=2
	s_or_b32 exec_lo, exec_lo, s40
	v_mul_f32_e32 v114, s29, v114
	v_and_b32_e32 v12, 0x7f800000, v114
	v_cmp_ne_u32_e32 vcc_lo, 0x7f800000, v12
	v_mov_b32_e32 v12, 0x8000
	s_and_saveexec_b32 s40, vcc_lo
	s_cbranch_execz .LBB2_4521
; %bb.4514:                             ;   in Loop: Header=BB2_4345 Depth=2
	v_mov_b32_e32 v12, 0
	s_mov_b32 s41, exec_lo
	v_cmpx_ne_u32_e32 0, v114
	s_cbranch_execz .LBB2_4520
; %bb.4515:                             ;   in Loop: Header=BB2_4345 Depth=2
	v_bfe_u32 v12, v114, 23, 8
	v_and_b32_e32 v115, 0x7fffff, v114
	v_sub_nc_u32_e32 v116, 0x78, v12
	v_cmp_gt_u32_e32 vcc_lo, 0x79, v12
	v_or_b32_e32 v117, 0x800000, v115
	v_cndmask_b32_e32 v116, 0, v116, vcc_lo
	v_cmp_eq_u32_e32 vcc_lo, 0, v12
	v_add_nc_u32_e32 v12, 0xffffff89, v12
	v_cndmask_b32_e64 v116, v116, 0x77, vcc_lo
	v_cndmask_b32_e32 v115, v117, v115, vcc_lo
	v_cndmask_b32_e64 v12, v12, 0xffffff8a, vcc_lo
	v_lshl_add_u32 v117, 0x100000, v116, -1
	v_lshrrev_b32_e32 v118, v116, v115
	v_lshlrev_b32_e64 v40, v116, 0x80000
	v_add_nc_u32_e32 v116, v116, v12
	v_and_b32_e32 v115, v117, v115
	v_bfe_u32 v119, v118, 20, 1
	v_cmp_eq_u32_e64 s14, v115, v40
	v_add_nc_u32_e32 v117, -1, v119
	v_cndmask_b32_e64 v115, 0, v117, s14
	v_lshrrev_b32_e32 v117, 23, v118
	s_mov_b32 s14, exec_lo
	v_add_nc_u32_e32 v115, v115, v118
	v_xor_b32_e32 v117, 1, v117
	v_and_b32_e32 v12, 0xfffff, v115
	v_add_nc_u32_e32 v115, v12, v118
                                        ; implicit-def: $vgpr12
	v_cmpx_ne_u32_e64 v116, v117
	s_xor_b32 s14, exec_lo, s14
; %bb.4516:                             ;   in Loop: Header=BB2_4345 Depth=2
	v_cmp_lt_u32_e32 vcc_lo, 0xffffff, v115
	v_sub_nc_u32_e32 v12, v116, v117
	v_cndmask_b32_e64 v116, 0, 1, vcc_lo
	v_add_co_ci_u32_e64 v12, null, 0, v12, vcc_lo
	v_lshrrev_b32_e32 v115, v116, v115
; %bb.4517:                             ;   in Loop: Header=BB2_4345 Depth=2
	s_andn2_saveexec_b32 s14, s14
; %bb.4518:                             ;   in Loop: Header=BB2_4345 Depth=2
	v_bfe_u32 v12, v115, 23, 1
; %bb.4519:                             ;   in Loop: Header=BB2_4345 Depth=2
	s_or_b32 exec_lo, exec_lo, s14
	v_lshrrev_b32_e32 v115, 20, v115
	v_min_i32_e32 v116, 15, v12
	v_cmp_gt_i32_e32 vcc_lo, 16, v12
	v_and_b32_sdwa v114, v114, v83 dst_sel:DWORD dst_unused:UNUSED_PAD src0_sel:BYTE_3 src1_sel:DWORD
	v_lshlrev_b32_e32 v116, 3, v116
	v_cndmask_b32_e32 v115, 7, v115, vcc_lo
	v_and_b32_e32 v116, 0xf8, v116
	v_and_b32_e32 v117, 7, v115
	v_or_b32_e32 v12, v12, v115
	v_or3_b32 v114, v114, v116, v117
	v_cmp_ne_u32_e32 vcc_lo, 0, v12
	v_lshlrev_b32_e32 v114, 8, v114
	v_cndmask_b32_e32 v12, 0, v114, vcc_lo
.LBB2_4520:                             ;   in Loop: Header=BB2_4345 Depth=2
	s_or_b32 exec_lo, exec_lo, s41
.LBB2_4521:                             ;   in Loop: Header=BB2_4345 Depth=2
	s_or_b32 exec_lo, exec_lo, s40
	v_cmp_gt_i16_sdwa s40, v13, v82 src0_sel:BYTE_0 src1_sel:DWORD
	s_mov_b32 s14, 0
	s_and_saveexec_b32 s41, s40
	s_xor_b32 s40, exec_lo, s41
	s_cbranch_execz .LBB2_4599
; %bb.4522:                             ;   in Loop: Header=BB2_4345 Depth=2
	v_cmp_eq_u16_sdwa s42, v13, v83 src0_sel:BYTE_0 src1_sel:DWORD
	s_mov_b32 s14, -1
	s_and_saveexec_b32 s41, s42
; %bb.4523:                             ;   in Loop: Header=BB2_4345 Depth=2
	s_xor_b32 s14, exec_lo, -1
; %bb.4524:                             ;   in Loop: Header=BB2_4345 Depth=2
	s_or_b32 exec_lo, exec_lo, s41
	s_and_b32 s14, s14, exec_lo
	s_or_saveexec_b32 s40, s40
	v_mov_b32_e32 v114, 0x7f800001
	s_xor_b32 exec_lo, exec_lo, s40
	s_cbranch_execnz .LBB2_4600
.LBB2_4525:                             ;   in Loop: Header=BB2_4345 Depth=2
	s_or_b32 exec_lo, exec_lo, s40
	s_and_saveexec_b32 s40, s14
	s_cbranch_execz .LBB2_4527
.LBB2_4526:                             ;   in Loop: Header=BB2_4345 Depth=2
	v_and_b32_e32 v114, 7, v13
	v_bfe_u32 v117, v13, 3, 4
	v_lshlrev_b32_e32 v118, 24, v13
	v_ffbh_u32_e32 v115, v114
	v_cmp_eq_u32_e32 vcc_lo, 0, v117
	v_min_u32_e32 v115, 32, v115
	v_subrev_nc_u32_e32 v116, 28, v115
	v_sub_nc_u32_e32 v115, 29, v115
	v_lshlrev_b32_e32 v116, v116, v13
	v_cndmask_b32_e32 v115, v117, v115, vcc_lo
	v_and_b32_e32 v116, 7, v116
	v_lshl_add_u32 v115, v115, 23, 0x3b800000
	v_cndmask_b32_e32 v114, v114, v116, vcc_lo
	v_and_b32_e32 v116, 0x80000000, v118
	v_lshlrev_b32_e32 v114, 20, v114
	v_or3_b32 v114, v116, v115, v114
.LBB2_4527:                             ;   in Loop: Header=BB2_4345 Depth=2
	s_or_b32 exec_lo, exec_lo, s40
	v_mul_f32_e32 v115, s29, v114
	v_and_b32_e32 v114, 0x7f800000, v115
	v_cmp_ne_u32_e32 vcc_lo, 0x7f800000, v114
	v_mov_b32_e32 v114, 0x80
	s_and_saveexec_b32 s40, vcc_lo
	s_cbranch_execz .LBB2_4535
; %bb.4528:                             ;   in Loop: Header=BB2_4345 Depth=2
	v_mov_b32_e32 v114, 0
	s_mov_b32 s41, exec_lo
	v_cmpx_ne_u32_e32 0, v115
	s_cbranch_execz .LBB2_4534
; %bb.4529:                             ;   in Loop: Header=BB2_4345 Depth=2
	v_bfe_u32 v114, v115, 23, 8
	v_and_b32_e32 v116, 0x7fffff, v115
	v_sub_nc_u32_e32 v117, 0x78, v114
	v_cmp_gt_u32_e32 vcc_lo, 0x79, v114
	v_or_b32_e32 v118, 0x800000, v116
	v_cndmask_b32_e32 v117, 0, v117, vcc_lo
	v_cmp_eq_u32_e32 vcc_lo, 0, v114
	v_add_nc_u32_e32 v114, 0xffffff89, v114
	v_cndmask_b32_e64 v117, v117, 0x77, vcc_lo
	v_cndmask_b32_e32 v116, v118, v116, vcc_lo
	v_cndmask_b32_e64 v114, v114, 0xffffff8a, vcc_lo
	v_lshl_add_u32 v118, 0x100000, v117, -1
	v_lshrrev_b32_e32 v119, v117, v116
	v_lshlrev_b32_e64 v41, v117, 0x80000
	v_add_nc_u32_e32 v117, v117, v114
	v_and_b32_e32 v116, v118, v116
	v_bfe_u32 v40, v119, 20, 1
	v_cmp_eq_u32_e64 s14, v116, v41
	v_add_nc_u32_e32 v118, -1, v40
	v_cndmask_b32_e64 v116, 0, v118, s14
	v_lshrrev_b32_e32 v118, 23, v119
	s_mov_b32 s14, exec_lo
	v_add_nc_u32_e32 v116, v116, v119
	v_xor_b32_e32 v118, 1, v118
	v_and_b32_e32 v114, 0xfffff, v116
	v_add_nc_u32_e32 v116, v114, v119
                                        ; implicit-def: $vgpr114
	v_cmpx_ne_u32_e64 v117, v118
	s_xor_b32 s14, exec_lo, s14
; %bb.4530:                             ;   in Loop: Header=BB2_4345 Depth=2
	v_cmp_lt_u32_e32 vcc_lo, 0xffffff, v116
	v_sub_nc_u32_e32 v114, v117, v118
	v_cndmask_b32_e64 v117, 0, 1, vcc_lo
	v_add_co_ci_u32_e64 v114, null, 0, v114, vcc_lo
	v_lshrrev_b32_e32 v116, v117, v116
; %bb.4531:                             ;   in Loop: Header=BB2_4345 Depth=2
	s_andn2_saveexec_b32 s14, s14
; %bb.4532:                             ;   in Loop: Header=BB2_4345 Depth=2
	v_bfe_u32 v114, v116, 23, 1
; %bb.4533:                             ;   in Loop: Header=BB2_4345 Depth=2
	s_or_b32 exec_lo, exec_lo, s14
	v_lshrrev_b32_e32 v116, 20, v116
	v_min_i32_e32 v117, 15, v114
	v_cmp_gt_i32_e32 vcc_lo, 16, v114
	v_and_b32_sdwa v115, v115, v83 dst_sel:DWORD dst_unused:UNUSED_PAD src0_sel:BYTE_3 src1_sel:DWORD
	v_lshlrev_b32_e32 v117, 3, v117
	v_cndmask_b32_e32 v116, 7, v116, vcc_lo
	v_and_b32_e32 v117, 0xf8, v117
	v_and_b32_e32 v118, 7, v116
	v_or_b32_e32 v114, v114, v116
	v_or3_b32 v115, v117, v115, v118
	v_cmp_ne_u32_e32 vcc_lo, 0, v114
	v_cndmask_b32_e32 v114, 0, v115, vcc_lo
.LBB2_4534:                             ;   in Loop: Header=BB2_4345 Depth=2
	s_or_b32 exec_lo, exec_lo, s41
.LBB2_4535:                             ;   in Loop: Header=BB2_4345 Depth=2
	s_or_b32 exec_lo, exec_lo, s40
	v_cmp_gt_i16_sdwa s40, v13, v82 src0_sel:BYTE_1 src1_sel:DWORD
	s_mov_b32 s14, 0
	s_and_saveexec_b32 s41, s40
	s_xor_b32 s40, exec_lo, s41
	s_cbranch_execz .LBB2_4601
; %bb.4536:                             ;   in Loop: Header=BB2_4345 Depth=2
	v_cmp_eq_u16_sdwa s42, v13, v83 src0_sel:BYTE_1 src1_sel:DWORD
	s_mov_b32 s14, -1
	s_and_saveexec_b32 s41, s42
; %bb.4537:                             ;   in Loop: Header=BB2_4345 Depth=2
	s_xor_b32 s14, exec_lo, -1
; %bb.4538:                             ;   in Loop: Header=BB2_4345 Depth=2
	s_or_b32 exec_lo, exec_lo, s41
	s_and_b32 s14, s14, exec_lo
	s_or_saveexec_b32 s40, s40
	v_mov_b32_e32 v115, 0x7f800001
	s_xor_b32 exec_lo, exec_lo, s40
	s_cbranch_execnz .LBB2_4602
.LBB2_4539:                             ;   in Loop: Header=BB2_4345 Depth=2
	s_or_b32 exec_lo, exec_lo, s40
	s_and_saveexec_b32 s40, s14
	s_cbranch_execz .LBB2_4541
.LBB2_4540:                             ;   in Loop: Header=BB2_4345 Depth=2
	v_and_b32_sdwa v115, v84, v13 dst_sel:DWORD dst_unused:UNUSED_PAD src0_sel:DWORD src1_sel:BYTE_1
	v_and_b32_e32 v116, 7, v115
	v_bfe_u32 v119, v115, 3, 4
	v_ffbh_u32_e32 v117, v116
	v_cmp_eq_u32_e32 vcc_lo, 0, v119
	v_min_u32_e32 v117, 32, v117
	v_subrev_nc_u32_e32 v118, 28, v117
	v_sub_nc_u32_e32 v117, 29, v117
	v_lshlrev_b32_e32 v115, v118, v115
	v_lshlrev_b32_sdwa v118, v85, v13 dst_sel:DWORD dst_unused:UNUSED_PAD src0_sel:DWORD src1_sel:BYTE_1
	v_cndmask_b32_e32 v117, v119, v117, vcc_lo
	v_and_b32_e32 v115, 7, v115
	v_lshl_add_u32 v117, v117, 23, 0x3b800000
	v_cndmask_b32_e32 v115, v116, v115, vcc_lo
	v_and_b32_e32 v116, 0x80000000, v118
	v_lshlrev_b32_e32 v115, 20, v115
	v_or3_b32 v115, v116, v117, v115
.LBB2_4541:                             ;   in Loop: Header=BB2_4345 Depth=2
	s_or_b32 exec_lo, exec_lo, s40
	v_mul_f32_e32 v116, s29, v115
	v_and_b32_e32 v115, 0x7f800000, v116
	v_cmp_ne_u32_e32 vcc_lo, 0x7f800000, v115
	v_mov_b32_e32 v115, 0x8000
	s_and_saveexec_b32 s40, vcc_lo
	s_cbranch_execz .LBB2_4549
; %bb.4542:                             ;   in Loop: Header=BB2_4345 Depth=2
	v_mov_b32_e32 v115, 0
	s_mov_b32 s41, exec_lo
	v_cmpx_ne_u32_e32 0, v116
	s_cbranch_execz .LBB2_4548
; %bb.4543:                             ;   in Loop: Header=BB2_4345 Depth=2
	v_bfe_u32 v115, v116, 23, 8
	v_and_b32_e32 v117, 0x7fffff, v116
	v_sub_nc_u32_e32 v118, 0x78, v115
	v_cmp_gt_u32_e32 vcc_lo, 0x79, v115
	v_or_b32_e32 v119, 0x800000, v117
	v_cndmask_b32_e32 v118, 0, v118, vcc_lo
	v_cmp_eq_u32_e32 vcc_lo, 0, v115
	v_add_nc_u32_e32 v115, 0xffffff89, v115
	v_cndmask_b32_e64 v118, v118, 0x77, vcc_lo
	v_cndmask_b32_e32 v117, v119, v117, vcc_lo
	v_cndmask_b32_e64 v115, v115, 0xffffff8a, vcc_lo
	v_lshl_add_u32 v119, 0x100000, v118, -1
	v_lshrrev_b32_e32 v40, v118, v117
	v_lshlrev_b32_e64 v42, v118, 0x80000
	v_add_nc_u32_e32 v118, v118, v115
	v_and_b32_e32 v117, v119, v117
	v_bfe_u32 v41, v40, 20, 1
	v_cmp_eq_u32_e64 s14, v117, v42
	v_add_nc_u32_e32 v119, -1, v41
	v_cndmask_b32_e64 v117, 0, v119, s14
	v_lshrrev_b32_e32 v119, 23, v40
	s_mov_b32 s14, exec_lo
	v_add_nc_u32_e32 v117, v117, v40
	v_xor_b32_e32 v119, 1, v119
	v_and_b32_e32 v115, 0xfffff, v117
	v_add_nc_u32_e32 v117, v115, v40
                                        ; implicit-def: $vgpr115
	v_cmpx_ne_u32_e64 v118, v119
	s_xor_b32 s14, exec_lo, s14
; %bb.4544:                             ;   in Loop: Header=BB2_4345 Depth=2
	v_cmp_lt_u32_e32 vcc_lo, 0xffffff, v117
	v_sub_nc_u32_e32 v115, v118, v119
	v_cndmask_b32_e64 v118, 0, 1, vcc_lo
	v_add_co_ci_u32_e64 v115, null, 0, v115, vcc_lo
	v_lshrrev_b32_e32 v117, v118, v117
; %bb.4545:                             ;   in Loop: Header=BB2_4345 Depth=2
	s_andn2_saveexec_b32 s14, s14
; %bb.4546:                             ;   in Loop: Header=BB2_4345 Depth=2
	v_bfe_u32 v115, v117, 23, 1
; %bb.4547:                             ;   in Loop: Header=BB2_4345 Depth=2
	s_or_b32 exec_lo, exec_lo, s14
	v_lshrrev_b32_e32 v117, 20, v117
	v_min_i32_e32 v118, 15, v115
	v_cmp_gt_i32_e32 vcc_lo, 16, v115
	v_and_b32_sdwa v116, v116, v83 dst_sel:DWORD dst_unused:UNUSED_PAD src0_sel:BYTE_3 src1_sel:DWORD
	v_lshlrev_b32_e32 v118, 3, v118
	v_cndmask_b32_e32 v117, 7, v117, vcc_lo
	v_and_b32_e32 v118, 0xf8, v118
	v_and_b32_e32 v119, 7, v117
	v_or_b32_e32 v115, v115, v117
	v_or3_b32 v116, v116, v118, v119
	v_cmp_ne_u32_e32 vcc_lo, 0, v115
	v_lshlrev_b32_e32 v116, 8, v116
	v_cndmask_b32_e32 v115, 0, v116, vcc_lo
.LBB2_4548:                             ;   in Loop: Header=BB2_4345 Depth=2
	s_or_b32 exec_lo, exec_lo, s41
.LBB2_4549:                             ;   in Loop: Header=BB2_4345 Depth=2
	s_or_b32 exec_lo, exec_lo, s40
	v_and_b32_sdwa v117, v13, v86 dst_sel:DWORD dst_unused:UNUSED_PAD src0_sel:WORD_1 src1_sel:DWORD
	s_mov_b32 s14, 0
	s_mov_b32 s40, exec_lo
	v_cmpx_lt_i16_e32 0x7f, v117
	s_xor_b32 s40, exec_lo, s40
	s_cbranch_execz .LBB2_4603
; %bb.4550:                             ;   in Loop: Header=BB2_4345 Depth=2
	s_mov_b32 s14, -1
	s_mov_b32 s41, exec_lo
	v_cmpx_eq_u16_e32 0x80, v117
; %bb.4551:                             ;   in Loop: Header=BB2_4345 Depth=2
	s_xor_b32 s14, exec_lo, -1
; %bb.4552:                             ;   in Loop: Header=BB2_4345 Depth=2
	s_or_b32 exec_lo, exec_lo, s41
	s_and_b32 s14, s14, exec_lo
                                        ; implicit-def: $vgpr117
	s_or_saveexec_b32 s40, s40
	v_mov_b32_e32 v116, 0x7f800001
	s_xor_b32 exec_lo, exec_lo, s40
	s_cbranch_execnz .LBB2_4604
.LBB2_4553:                             ;   in Loop: Header=BB2_4345 Depth=2
	s_or_b32 exec_lo, exec_lo, s40
	s_and_saveexec_b32 s40, s14
	s_cbranch_execz .LBB2_4555
.LBB2_4554:                             ;   in Loop: Header=BB2_4345 Depth=2
	v_bfe_u32 v116, v13, 16, 3
	v_bfe_u32 v119, v13, 19, 4
	v_lshlrev_b32_e32 v40, 8, v13
	v_ffbh_u32_e32 v117, v116
	v_cmp_eq_u32_e32 vcc_lo, 0, v119
	v_min_u32_e32 v117, 32, v117
	v_subrev_nc_u32_e32 v118, 28, v117
	v_sub_nc_u32_e32 v117, 29, v117
	v_lshlrev_b32_sdwa v118, v118, v13 dst_sel:DWORD dst_unused:UNUSED_PAD src0_sel:DWORD src1_sel:WORD_1
	v_cndmask_b32_e32 v117, v119, v117, vcc_lo
	v_and_b32_e32 v118, 7, v118
	v_lshl_add_u32 v117, v117, 23, 0x3b800000
	v_cndmask_b32_e32 v116, v116, v118, vcc_lo
	v_and_b32_e32 v118, 0x80000000, v40
	v_lshlrev_b32_e32 v116, 20, v116
	v_or3_b32 v116, v118, v117, v116
.LBB2_4555:                             ;   in Loop: Header=BB2_4345 Depth=2
	s_or_b32 exec_lo, exec_lo, s40
	v_mul_f32_e32 v117, s29, v116
	v_and_b32_e32 v116, 0x7f800000, v117
	v_cmp_ne_u32_e32 vcc_lo, 0x7f800000, v116
	v_mov_b32_e32 v116, 0x80
	s_and_saveexec_b32 s40, vcc_lo
	s_cbranch_execz .LBB2_4563
; %bb.4556:                             ;   in Loop: Header=BB2_4345 Depth=2
	v_mov_b32_e32 v116, 0
	s_mov_b32 s41, exec_lo
	v_cmpx_ne_u32_e32 0, v117
	s_cbranch_execz .LBB2_4562
; %bb.4557:                             ;   in Loop: Header=BB2_4345 Depth=2
	v_bfe_u32 v116, v117, 23, 8
	v_and_b32_e32 v118, 0x7fffff, v117
	v_sub_nc_u32_e32 v119, 0x78, v116
	v_cmp_gt_u32_e32 vcc_lo, 0x79, v116
	v_or_b32_e32 v40, 0x800000, v118
	v_cndmask_b32_e32 v119, 0, v119, vcc_lo
	v_cmp_eq_u32_e32 vcc_lo, 0, v116
	v_add_nc_u32_e32 v116, 0xffffff89, v116
	v_cndmask_b32_e64 v119, v119, 0x77, vcc_lo
	v_cndmask_b32_e32 v118, v40, v118, vcc_lo
	v_cndmask_b32_e64 v116, v116, 0xffffff8a, vcc_lo
	v_lshl_add_u32 v40, 0x100000, v119, -1
	v_lshrrev_b32_e32 v41, v119, v118
	v_lshlrev_b32_e64 v43, v119, 0x80000
	v_add_nc_u32_e32 v119, v119, v116
	v_and_b32_e32 v118, v40, v118
	v_bfe_u32 v42, v41, 20, 1
	v_cmp_eq_u32_e64 s14, v118, v43
	v_add_nc_u32_e32 v40, -1, v42
	v_cndmask_b32_e64 v118, 0, v40, s14
	v_lshrrev_b32_e32 v40, 23, v41
	s_mov_b32 s14, exec_lo
	v_add_nc_u32_e32 v118, v118, v41
	v_xor_b32_e32 v40, 1, v40
	v_and_b32_e32 v116, 0xfffff, v118
	v_add_nc_u32_e32 v118, v116, v41
                                        ; implicit-def: $vgpr116
	v_cmpx_ne_u32_e64 v119, v40
	s_xor_b32 s14, exec_lo, s14
; %bb.4558:                             ;   in Loop: Header=BB2_4345 Depth=2
	v_cmp_lt_u32_e32 vcc_lo, 0xffffff, v118
	v_sub_nc_u32_e32 v116, v119, v40
	v_cndmask_b32_e64 v119, 0, 1, vcc_lo
	v_add_co_ci_u32_e64 v116, null, 0, v116, vcc_lo
	v_lshrrev_b32_e32 v118, v119, v118
; %bb.4559:                             ;   in Loop: Header=BB2_4345 Depth=2
	s_andn2_saveexec_b32 s14, s14
; %bb.4560:                             ;   in Loop: Header=BB2_4345 Depth=2
	v_bfe_u32 v116, v118, 23, 1
; %bb.4561:                             ;   in Loop: Header=BB2_4345 Depth=2
	s_or_b32 exec_lo, exec_lo, s14
	v_lshrrev_b32_e32 v118, 20, v118
	v_min_i32_e32 v119, 15, v116
	v_cmp_gt_i32_e32 vcc_lo, 16, v116
	v_and_b32_sdwa v117, v117, v83 dst_sel:DWORD dst_unused:UNUSED_PAD src0_sel:BYTE_3 src1_sel:DWORD
	v_lshlrev_b32_e32 v119, 3, v119
	v_cndmask_b32_e32 v118, 7, v118, vcc_lo
	v_and_b32_e32 v119, 0xf8, v119
	v_and_b32_e32 v40, 7, v118
	v_or_b32_e32 v116, v116, v118
	v_or3_b32 v117, v119, v117, v40
	v_cmp_ne_u32_e32 vcc_lo, 0, v116
	v_cndmask_b32_e32 v116, 0, v117, vcc_lo
.LBB2_4562:                             ;   in Loop: Header=BB2_4345 Depth=2
	s_or_b32 exec_lo, exec_lo, s41
.LBB2_4563:                             ;   in Loop: Header=BB2_4345 Depth=2
	s_or_b32 exec_lo, exec_lo, s40
	v_cmp_gt_i16_sdwa s40, v13, v82 src0_sel:BYTE_3 src1_sel:DWORD
	s_mov_b32 s14, 0
	s_and_saveexec_b32 s41, s40
	s_xor_b32 s40, exec_lo, s41
	s_cbranch_execz .LBB2_4605
; %bb.4564:                             ;   in Loop: Header=BB2_4345 Depth=2
	v_cmp_eq_u16_sdwa s42, v13, v83 src0_sel:BYTE_3 src1_sel:DWORD
	s_mov_b32 s14, -1
	s_and_saveexec_b32 s41, s42
; %bb.4565:                             ;   in Loop: Header=BB2_4345 Depth=2
	s_xor_b32 s14, exec_lo, -1
; %bb.4566:                             ;   in Loop: Header=BB2_4345 Depth=2
	s_or_b32 exec_lo, exec_lo, s41
	s_and_b32 s14, s14, exec_lo
	s_or_saveexec_b32 s40, s40
	v_mov_b32_e32 v117, 0x7f800001
	s_xor_b32 exec_lo, exec_lo, s40
	s_cbranch_execnz .LBB2_4606
.LBB2_4567:                             ;   in Loop: Header=BB2_4345 Depth=2
	s_or_b32 exec_lo, exec_lo, s40
	s_and_saveexec_b32 s40, s14
	s_cbranch_execz .LBB2_4569
.LBB2_4568:                             ;   in Loop: Header=BB2_4345 Depth=2
	v_bfe_u32 v117, v13, 24, 3
	v_bfe_u32 v40, v13, 27, 4
	v_ffbh_u32_e32 v118, v117
	v_cmp_eq_u32_e32 vcc_lo, 0, v40
	v_min_u32_e32 v118, 32, v118
	v_subrev_nc_u32_e32 v119, 28, v118
	v_sub_nc_u32_e32 v118, 29, v118
	v_lshlrev_b32_sdwa v119, v119, v13 dst_sel:DWORD dst_unused:UNUSED_PAD src0_sel:DWORD src1_sel:BYTE_3
	v_cndmask_b32_e32 v118, v40, v118, vcc_lo
	v_and_b32_e32 v13, 0x80000000, v13
	v_and_b32_e32 v119, 7, v119
	v_lshl_add_u32 v118, v118, 23, 0x3b800000
	v_cndmask_b32_e32 v117, v117, v119, vcc_lo
	v_lshlrev_b32_e32 v117, 20, v117
	v_or3_b32 v117, v13, v118, v117
.LBB2_4569:                             ;   in Loop: Header=BB2_4345 Depth=2
	s_or_b32 exec_lo, exec_lo, s40
	v_mul_f32_e32 v13, s29, v117
	v_and_b32_e32 v117, 0x7f800000, v13
	v_cmp_ne_u32_e32 vcc_lo, 0x7f800000, v117
	v_mov_b32_e32 v117, 0x8000
	s_and_saveexec_b32 s29, vcc_lo
	s_cbranch_execz .LBB2_4344
; %bb.4570:                             ;   in Loop: Header=BB2_4345 Depth=2
	v_mov_b32_e32 v117, 0
	s_mov_b32 s40, exec_lo
	v_cmpx_ne_u32_e32 0, v13
	s_cbranch_execz .LBB2_4343
; %bb.4571:                             ;   in Loop: Header=BB2_4345 Depth=2
	v_bfe_u32 v117, v13, 23, 8
	v_and_b32_e32 v118, 0x7fffff, v13
	v_sub_nc_u32_e32 v119, 0x78, v117
	v_cmp_gt_u32_e32 vcc_lo, 0x79, v117
	v_or_b32_e32 v40, 0x800000, v118
	v_cndmask_b32_e32 v119, 0, v119, vcc_lo
	v_cmp_eq_u32_e32 vcc_lo, 0, v117
	v_add_nc_u32_e32 v117, 0xffffff89, v117
	v_cndmask_b32_e64 v119, v119, 0x77, vcc_lo
	v_cndmask_b32_e32 v118, v40, v118, vcc_lo
	v_cndmask_b32_e64 v117, v117, 0xffffff8a, vcc_lo
	v_lshl_add_u32 v40, 0x100000, v119, -1
	v_lshrrev_b32_e32 v41, v119, v118
	v_lshlrev_b32_e64 v43, v119, 0x80000
	v_add_nc_u32_e32 v119, v119, v117
	v_and_b32_e32 v118, v40, v118
	v_bfe_u32 v42, v41, 20, 1
	v_cmp_eq_u32_e64 s14, v118, v43
	v_add_nc_u32_e32 v40, -1, v42
	v_cndmask_b32_e64 v118, 0, v40, s14
	v_lshrrev_b32_e32 v40, 23, v41
	s_mov_b32 s14, exec_lo
	v_add_nc_u32_e32 v118, v118, v41
	v_xor_b32_e32 v40, 1, v40
	v_and_b32_e32 v117, 0xfffff, v118
	v_add_nc_u32_e32 v118, v117, v41
                                        ; implicit-def: $vgpr117
	v_cmpx_ne_u32_e64 v119, v40
	s_xor_b32 s14, exec_lo, s14
; %bb.4572:                             ;   in Loop: Header=BB2_4345 Depth=2
	v_cmp_lt_u32_e32 vcc_lo, 0xffffff, v118
	v_sub_nc_u32_e32 v117, v119, v40
	v_cndmask_b32_e64 v119, 0, 1, vcc_lo
	v_add_co_ci_u32_e64 v117, null, 0, v117, vcc_lo
	v_lshrrev_b32_e32 v118, v119, v118
; %bb.4573:                             ;   in Loop: Header=BB2_4345 Depth=2
	s_andn2_saveexec_b32 s14, s14
	s_cbranch_execz .LBB2_4342
; %bb.4574:                             ;   in Loop: Header=BB2_4345 Depth=2
	v_bfe_u32 v117, v118, 23, 1
	s_branch .LBB2_4342
.LBB2_4575:                             ;   in Loop: Header=BB2_4345 Depth=2
	s_or_saveexec_b32 s40, s40
	v_mov_b32_e32 v97, 0x7f800001
	s_xor_b32 exec_lo, exec_lo, s40
	s_cbranch_execz .LBB2_4357
.LBB2_4576:                             ;   in Loop: Header=BB2_4345 Depth=2
	v_cmp_ne_u16_sdwa s41, v10, v33 src0_sel:BYTE_0 src1_sel:DWORD
	v_mov_b32_e32 v97, 0
	s_andn2_b32 s14, s14, exec_lo
	s_and_b32 s41, s41, exec_lo
	s_or_b32 s14, s14, s41
	s_or_b32 exec_lo, exec_lo, s40
	s_and_saveexec_b32 s40, s14
	s_cbranch_execnz .LBB2_4358
	s_branch .LBB2_4359
.LBB2_4577:                             ;   in Loop: Header=BB2_4345 Depth=2
	s_or_saveexec_b32 s40, s40
	v_mov_b32_e32 v98, 0x7f800001
	s_xor_b32 exec_lo, exec_lo, s40
	s_cbranch_execz .LBB2_4371
.LBB2_4578:                             ;   in Loop: Header=BB2_4345 Depth=2
	v_cmp_ne_u16_sdwa s41, v10, v33 src0_sel:BYTE_1 src1_sel:DWORD
	v_mov_b32_e32 v98, 0
	s_andn2_b32 s14, s14, exec_lo
	s_and_b32 s41, s41, exec_lo
	s_or_b32 s14, s14, s41
	s_or_b32 exec_lo, exec_lo, s40
	s_and_saveexec_b32 s40, s14
	s_cbranch_execnz .LBB2_4372
	s_branch .LBB2_4373
.LBB2_4579:                             ;   in Loop: Header=BB2_4345 Depth=2
	s_or_saveexec_b32 s40, s40
	v_mov_b32_e32 v99, 0x7f800001
	s_xor_b32 exec_lo, exec_lo, s40
	s_cbranch_execz .LBB2_4385
.LBB2_4580:                             ;   in Loop: Header=BB2_4345 Depth=2
	v_cmp_ne_u16_e32 vcc_lo, 0, v100
	v_mov_b32_e32 v99, 0
	s_andn2_b32 s14, s14, exec_lo
	s_and_b32 s41, vcc_lo, exec_lo
	s_or_b32 s14, s14, s41
	s_or_b32 exec_lo, exec_lo, s40
	s_and_saveexec_b32 s40, s14
	s_cbranch_execnz .LBB2_4386
	s_branch .LBB2_4387
.LBB2_4581:                             ;   in Loop: Header=BB2_4345 Depth=2
	s_or_saveexec_b32 s40, s40
	v_mov_b32_e32 v100, 0x7f800001
	s_xor_b32 exec_lo, exec_lo, s40
	s_cbranch_execz .LBB2_4399
.LBB2_4582:                             ;   in Loop: Header=BB2_4345 Depth=2
	v_cmp_ne_u16_sdwa s41, v10, v33 src0_sel:BYTE_3 src1_sel:DWORD
	v_mov_b32_e32 v100, 0
	s_andn2_b32 s14, s14, exec_lo
	s_and_b32 s41, s41, exec_lo
	s_or_b32 s14, s14, s41
	s_or_b32 exec_lo, exec_lo, s40
	s_and_saveexec_b32 s40, s14
	s_cbranch_execnz .LBB2_4400
	s_branch .LBB2_4401
.LBB2_4583:                             ;   in Loop: Header=BB2_4345 Depth=2
	s_or_saveexec_b32 s40, s40
	v_mov_b32_e32 v100, 0x7f800001
	s_xor_b32 exec_lo, exec_lo, s40
	s_cbranch_execz .LBB2_4413
.LBB2_4584:                             ;   in Loop: Header=BB2_4345 Depth=2
	v_cmp_ne_u16_sdwa s41, v11, v33 src0_sel:BYTE_0 src1_sel:DWORD
	v_mov_b32_e32 v100, 0
	s_andn2_b32 s14, s14, exec_lo
	s_and_b32 s41, s41, exec_lo
	s_or_b32 s14, s14, s41
	s_or_b32 exec_lo, exec_lo, s40
	s_and_saveexec_b32 s40, s14
	s_cbranch_execnz .LBB2_4414
	s_branch .LBB2_4415
.LBB2_4585:                             ;   in Loop: Header=BB2_4345 Depth=2
	s_or_saveexec_b32 s40, s40
	v_mov_b32_e32 v101, 0x7f800001
	s_xor_b32 exec_lo, exec_lo, s40
	s_cbranch_execz .LBB2_4427
.LBB2_4586:                             ;   in Loop: Header=BB2_4345 Depth=2
	v_cmp_ne_u16_sdwa s41, v11, v33 src0_sel:BYTE_1 src1_sel:DWORD
	v_mov_b32_e32 v101, 0
	s_andn2_b32 s14, s14, exec_lo
	s_and_b32 s41, s41, exec_lo
	s_or_b32 s14, s14, s41
	s_or_b32 exec_lo, exec_lo, s40
	s_and_saveexec_b32 s40, s14
	s_cbranch_execnz .LBB2_4428
	s_branch .LBB2_4429
.LBB2_4587:                             ;   in Loop: Header=BB2_4345 Depth=2
	s_or_saveexec_b32 s40, s40
	v_mov_b32_e32 v102, 0x7f800001
	s_xor_b32 exec_lo, exec_lo, s40
	s_cbranch_execz .LBB2_4441
.LBB2_4588:                             ;   in Loop: Header=BB2_4345 Depth=2
	v_cmp_ne_u16_e32 vcc_lo, 0, v103
	v_mov_b32_e32 v102, 0
	s_andn2_b32 s14, s14, exec_lo
	s_and_b32 s41, vcc_lo, exec_lo
	s_or_b32 s14, s14, s41
	s_or_b32 exec_lo, exec_lo, s40
	s_and_saveexec_b32 s40, s14
	s_cbranch_execnz .LBB2_4442
	s_branch .LBB2_4443
.LBB2_4589:                             ;   in Loop: Header=BB2_4345 Depth=2
	s_or_saveexec_b32 s40, s40
	v_mov_b32_e32 v103, 0x7f800001
	s_xor_b32 exec_lo, exec_lo, s40
	s_cbranch_execz .LBB2_4455
.LBB2_4590:                             ;   in Loop: Header=BB2_4345 Depth=2
	v_cmp_ne_u16_sdwa s41, v11, v33 src0_sel:BYTE_3 src1_sel:DWORD
	v_mov_b32_e32 v103, 0
	s_andn2_b32 s14, s14, exec_lo
	s_and_b32 s41, s41, exec_lo
	s_or_b32 s14, s14, s41
	s_or_b32 exec_lo, exec_lo, s40
	s_and_saveexec_b32 s40, s14
	s_cbranch_execnz .LBB2_4456
	s_branch .LBB2_4457
.LBB2_4591:                             ;   in Loop: Header=BB2_4345 Depth=2
	s_or_saveexec_b32 s40, s40
	v_mov_b32_e32 v103, 0x7f800001
	s_xor_b32 exec_lo, exec_lo, s40
	s_cbranch_execz .LBB2_4469
.LBB2_4592:                             ;   in Loop: Header=BB2_4345 Depth=2
	v_cmp_ne_u16_sdwa s41, v12, v33 src0_sel:BYTE_0 src1_sel:DWORD
	v_mov_b32_e32 v103, 0
	s_andn2_b32 s14, s14, exec_lo
	s_and_b32 s41, s41, exec_lo
	s_or_b32 s14, s14, s41
	s_or_b32 exec_lo, exec_lo, s40
	s_and_saveexec_b32 s40, s14
	s_cbranch_execnz .LBB2_4470
	s_branch .LBB2_4471
.LBB2_4593:                             ;   in Loop: Header=BB2_4345 Depth=2
	s_or_saveexec_b32 s40, s40
	v_mov_b32_e32 v112, 0x7f800001
	s_xor_b32 exec_lo, exec_lo, s40
	s_cbranch_execz .LBB2_4483
.LBB2_4594:                             ;   in Loop: Header=BB2_4345 Depth=2
	v_cmp_ne_u16_sdwa s41, v12, v33 src0_sel:BYTE_1 src1_sel:DWORD
	v_mov_b32_e32 v112, 0
	s_andn2_b32 s14, s14, exec_lo
	s_and_b32 s41, s41, exec_lo
	s_or_b32 s14, s14, s41
	s_or_b32 exec_lo, exec_lo, s40
	s_and_saveexec_b32 s40, s14
	s_cbranch_execnz .LBB2_4484
	s_branch .LBB2_4485
.LBB2_4595:                             ;   in Loop: Header=BB2_4345 Depth=2
	s_or_saveexec_b32 s40, s40
	v_mov_b32_e32 v113, 0x7f800001
	s_xor_b32 exec_lo, exec_lo, s40
	s_cbranch_execz .LBB2_4497
.LBB2_4596:                             ;   in Loop: Header=BB2_4345 Depth=2
	v_cmp_ne_u16_e32 vcc_lo, 0, v114
	v_mov_b32_e32 v113, 0
	s_andn2_b32 s14, s14, exec_lo
	s_and_b32 s41, vcc_lo, exec_lo
	s_or_b32 s14, s14, s41
	s_or_b32 exec_lo, exec_lo, s40
	s_and_saveexec_b32 s40, s14
	s_cbranch_execnz .LBB2_4498
	s_branch .LBB2_4499
.LBB2_4597:                             ;   in Loop: Header=BB2_4345 Depth=2
	s_or_saveexec_b32 s40, s40
	v_mov_b32_e32 v114, 0x7f800001
	s_xor_b32 exec_lo, exec_lo, s40
	s_cbranch_execz .LBB2_4511
.LBB2_4598:                             ;   in Loop: Header=BB2_4345 Depth=2
	v_cmp_ne_u16_sdwa s41, v12, v33 src0_sel:BYTE_3 src1_sel:DWORD
	v_mov_b32_e32 v114, 0
	s_andn2_b32 s14, s14, exec_lo
	s_and_b32 s41, s41, exec_lo
	s_or_b32 s14, s14, s41
	s_or_b32 exec_lo, exec_lo, s40
	s_and_saveexec_b32 s40, s14
	s_cbranch_execnz .LBB2_4512
	s_branch .LBB2_4513
.LBB2_4599:                             ;   in Loop: Header=BB2_4345 Depth=2
	s_or_saveexec_b32 s40, s40
	v_mov_b32_e32 v114, 0x7f800001
	s_xor_b32 exec_lo, exec_lo, s40
	s_cbranch_execz .LBB2_4525
.LBB2_4600:                             ;   in Loop: Header=BB2_4345 Depth=2
	v_cmp_ne_u16_sdwa s41, v13, v33 src0_sel:BYTE_0 src1_sel:DWORD
	v_mov_b32_e32 v114, 0
	s_andn2_b32 s14, s14, exec_lo
	s_and_b32 s41, s41, exec_lo
	s_or_b32 s14, s14, s41
	s_or_b32 exec_lo, exec_lo, s40
	s_and_saveexec_b32 s40, s14
	s_cbranch_execnz .LBB2_4526
	s_branch .LBB2_4527
.LBB2_4601:                             ;   in Loop: Header=BB2_4345 Depth=2
	s_or_saveexec_b32 s40, s40
	v_mov_b32_e32 v115, 0x7f800001
	s_xor_b32 exec_lo, exec_lo, s40
	s_cbranch_execz .LBB2_4539
.LBB2_4602:                             ;   in Loop: Header=BB2_4345 Depth=2
	v_cmp_ne_u16_sdwa s41, v13, v33 src0_sel:BYTE_1 src1_sel:DWORD
	v_mov_b32_e32 v115, 0
	s_andn2_b32 s14, s14, exec_lo
	s_and_b32 s41, s41, exec_lo
	s_or_b32 s14, s14, s41
	s_or_b32 exec_lo, exec_lo, s40
	s_and_saveexec_b32 s40, s14
	s_cbranch_execnz .LBB2_4540
	s_branch .LBB2_4541
.LBB2_4603:                             ;   in Loop: Header=BB2_4345 Depth=2
	s_or_saveexec_b32 s40, s40
	v_mov_b32_e32 v116, 0x7f800001
	s_xor_b32 exec_lo, exec_lo, s40
	s_cbranch_execz .LBB2_4553
.LBB2_4604:                             ;   in Loop: Header=BB2_4345 Depth=2
	v_cmp_ne_u16_e32 vcc_lo, 0, v117
	v_mov_b32_e32 v116, 0
	s_andn2_b32 s14, s14, exec_lo
	s_and_b32 s41, vcc_lo, exec_lo
	s_or_b32 s14, s14, s41
	s_or_b32 exec_lo, exec_lo, s40
	s_and_saveexec_b32 s40, s14
	s_cbranch_execnz .LBB2_4554
	s_branch .LBB2_4555
.LBB2_4605:                             ;   in Loop: Header=BB2_4345 Depth=2
	s_or_saveexec_b32 s40, s40
	v_mov_b32_e32 v117, 0x7f800001
	s_xor_b32 exec_lo, exec_lo, s40
	s_cbranch_execz .LBB2_4567
.LBB2_4606:                             ;   in Loop: Header=BB2_4345 Depth=2
	v_cmp_ne_u16_sdwa s41, v13, v33 src0_sel:BYTE_3 src1_sel:DWORD
	v_mov_b32_e32 v117, 0
	s_andn2_b32 s14, s14, exec_lo
	s_and_b32 s41, s41, exec_lo
	s_or_b32 s14, s14, s41
	s_or_b32 exec_lo, exec_lo, s40
	s_and_saveexec_b32 s40, s14
	s_cbranch_execnz .LBB2_4568
	s_branch .LBB2_4569
.LBB2_4607:                             ;   in Loop: Header=BB2_3743 Depth=1
	s_or_b32 exec_lo, exec_lo, s26
.LBB2_4608:                             ;   in Loop: Header=BB2_3743 Depth=1
	s_or_b32 exec_lo, exec_lo, s25
	v_cmp_lt_i32_e32 vcc_lo, 0, v54
	v_and_b32_e32 v10, 15, v39
	v_and_b32_e32 v11, 0x1f0, v39
	v_cndmask_b32_e32 v12, 0, v67, vcc_lo
	v_cndmask_b32_e64 v13, v53, v10, s13
	v_cndmask_b32_e64 v10, 0, v11, s13
	v_sub_nc_u32_e32 v11, v12, v54
	v_cmp_ne_u32_e32 vcc_lo, 0, v13
	v_and_or_b32 v12, 0x3ffffe00, v39, v10
	v_lshl_add_u32 v52, v11, 5, v52
	s_and_b32 s13, vcc_lo, exec_lo
.LBB2_4609:                             ;   in Loop: Header=BB2_3743 Depth=1
	s_or_b32 exec_lo, exec_lo, s24
	s_and_saveexec_b32 s14, s13
	s_cbranch_execz .LBB2_4778
.LBB2_4610:                             ;   in Loop: Header=BB2_3743 Depth=1
	v_ashrrev_i32_e32 v10, 31, v52
	v_lshrrev_b32_e32 v11, 8, v13
	s_mov_b32 s24, exec_lo
	v_lshrrev_b32_e32 v10, 27, v10
	v_add_nc_u32_e32 v10, v52, v10
	v_ashrrev_i32_e32 v53, 5, v10
	v_sub_nc_u32_e32 v54, v11, v53
	v_cmpx_lt_i32_e32 0, v54
	s_cbranch_execz .LBB2_4750
; %bb.4611:                             ;   in Loop: Header=BB2_3743 Depth=1
	v_and_b32_e32 v10, 0xffffffe0, v10
	v_lshlrev_b32_e32 v11, 8, v53
	s_mov_b32 s25, 0
	v_sub_nc_u32_e32 v10, v52, v10
	v_add3_u32 v55, v12, v10, v11
	v_ashrrev_i32_e32 v87, 31, v55
	s_branch .LBB2_4615
.LBB2_4612:                             ;   in Loop: Header=BB2_4615 Depth=2
	s_or_b32 exec_lo, exec_lo, s13
	v_lshrrev_b32_e32 v96, 20, v96
	v_cmp_gt_i32_e32 vcc_lo, 16, v11
	v_min_i32_e32 v112, 15, v11
	v_and_b32_sdwa v10, v10, v83 dst_sel:DWORD dst_unused:UNUSED_PAD src0_sel:BYTE_3 src1_sel:DWORD
	v_cndmask_b32_e32 v96, 7, v96, vcc_lo
	v_lshlrev_b32_e32 v112, 3, v112
	v_and_b32_e32 v113, 7, v96
	v_or_b32_e32 v11, v11, v96
	v_or3_b32 v10, v112, v10, v113
	v_cmp_ne_u32_e32 vcc_lo, 0, v11
	v_cndmask_b32_e32 v11, 0, v10, vcc_lo
.LBB2_4613:                             ;   in Loop: Header=BB2_4615 Depth=2
	s_or_b32 exec_lo, exec_lo, s27
.LBB2_4614:                             ;   in Loop: Header=BB2_4615 Depth=2
	s_or_b32 exec_lo, exec_lo, s26
	v_sub_nc_u32_e32 v54, v54, v67
	v_add_co_u32 v112, vcc_lo, v55, v50
	v_add_co_ci_u32_e64 v113, null, v87, v51, vcc_lo
	v_add_co_u32 v48, vcc_lo, v48, v71
	v_add_co_ci_u32_e64 v49, null, 0, v49, vcc_lo
	v_cmp_gt_i32_e32 vcc_lo, 1, v54
	v_add_co_u32 v50, s13, v50, v71
	v_add_co_ci_u32_e64 v51, null, 0, v51, s13
	s_or_b32 s25, vcc_lo, s25
	flat_store_byte v[112:113], v97 glc slc
	flat_store_byte v[112:113], v98 offset:32 glc slc
	flat_store_byte v[112:113], v99 offset:64 glc slc
	;; [unrolled: 1-line block ×7, first 2 shown]
	s_andn2_b32 exec_lo, exec_lo, s25
	s_cbranch_execz .LBB2_4749
.LBB2_4615:                             ;   Parent Loop BB2_3743 Depth=1
                                        ; =>  This Inner Loop Header: Depth=2
	s_trap 2
	ds_read_b64 v[10:11], v0
	s_waitcnt lgkmcnt(0)
	v_readfirstlane_b32 s13, v10
	s_and_b32 s26, s13, 0xff
	s_cmpk_lt_i32 s26, 0x80
	s_cbranch_scc1 .LBB2_4619
; %bb.4616:                             ;   in Loop: Header=BB2_4615 Depth=2
	s_and_b32 s27, 0xffff, s26
	s_cmpk_eq_i32 s27, 0x80
	s_mov_b32 s27, -1
	s_cbranch_scc0 .LBB2_4618
; %bb.4617:                             ;   in Loop: Header=BB2_4615 Depth=2
	s_mov_b32 s27, 0
.LBB2_4618:                             ;   in Loop: Header=BB2_4615 Depth=2
	s_mov_b32 s28, 0x7f800001
	s_branch .LBB2_4621
.LBB2_4619:                             ;   in Loop: Header=BB2_4615 Depth=2
	s_mov_b32 s27, 0
	s_mov_b32 s28, 0x7f800001
	s_cbranch_execz .LBB2_4621
; %bb.4620:                             ;   in Loop: Header=BB2_4615 Depth=2
	s_and_b32 s26, 0xffff, s26
	s_mov_b32 s28, 0
	s_cmp_lg_u32 s26, 0
	s_cselect_b32 s27, -1, 0
.LBB2_4621:                             ;   in Loop: Header=BB2_4615 Depth=2
	v_mov_b32_e32 v96, s28
	s_andn2_b32 vcc_lo, exec_lo, s27
	s_cbranch_vccnz .LBB2_4623
; %bb.4622:                             ;   in Loop: Header=BB2_4615 Depth=2
	s_and_b32 s26, s13, 7
	s_bfe_u32 s28, s13, 0x40003
	s_flbit_i32_b32 s27, s26
	v_lshlrev_b32_e32 v10, 24, v10
	s_min_u32 s27, s27, 32
	s_sub_i32 s29, s27, 28
	s_sub_i32 s27, 29, s27
	s_lshl_b32 s13, s13, s29
	v_and_b32_e32 v10, 0x80000000, v10
	s_and_b32 s13, s13, 7
	s_cmp_eq_u32 s28, 0
	s_cselect_b32 s27, s27, s28
	s_cselect_b32 s13, s13, s26
	s_lshl_b32 s26, s27, 23
	s_lshl_b32 s13, s13, 20
	s_add_i32 s26, s26, 0x3b800000
	v_or_b32_e32 v10, s26, v10
	v_or_b32_e32 v96, s13, v10
.LBB2_4623:                             ;   in Loop: Header=BB2_4615 Depth=2
	v_add_co_u32 v10, vcc_lo, v55, v48
	v_add_co_ci_u32_e64 v11, null, v87, v49, vcc_lo
	s_mov_b32 s13, 0
	s_mov_b32 s26, exec_lo
	flat_load_ubyte v97, v[10:11] slc
	s_waitcnt vmcnt(0) lgkmcnt(0)
	v_cmpx_lt_i16_e32 0x7f, v97
	s_xor_b32 s26, exec_lo, s26
	s_cbranch_execz .LBB2_4733
; %bb.4624:                             ;   in Loop: Header=BB2_4615 Depth=2
	s_mov_b32 s13, -1
	s_mov_b32 s27, exec_lo
	v_cmpx_eq_u16_e32 0x80, v97
; %bb.4625:                             ;   in Loop: Header=BB2_4615 Depth=2
	s_xor_b32 s13, exec_lo, -1
; %bb.4626:                             ;   in Loop: Header=BB2_4615 Depth=2
	s_or_b32 exec_lo, exec_lo, s27
	s_and_b32 s13, s13, exec_lo
	s_or_saveexec_b32 s26, s26
	v_mov_b32_e32 v98, 0x7f800001
	s_xor_b32 exec_lo, exec_lo, s26
	s_cbranch_execnz .LBB2_4734
.LBB2_4627:                             ;   in Loop: Header=BB2_4615 Depth=2
	s_or_b32 exec_lo, exec_lo, s26
	s_and_saveexec_b32 s26, s13
	s_cbranch_execz .LBB2_4629
.LBB2_4628:                             ;   in Loop: Header=BB2_4615 Depth=2
	v_and_b32_e32 v98, 0xffff, v97
	v_lshlrev_b32_e32 v97, 24, v97
	v_and_b32_e32 v99, 7, v98
	v_bfe_u32 v102, v98, 3, 4
	v_and_b32_e32 v97, 0x80000000, v97
	v_ffbh_u32_e32 v100, v99
	v_cmp_eq_u32_e32 vcc_lo, 0, v102
	v_min_u32_e32 v100, 32, v100
	v_subrev_nc_u32_e32 v101, 28, v100
	v_sub_nc_u32_e32 v100, 29, v100
	v_lshlrev_b32_e32 v98, v101, v98
	v_cndmask_b32_e32 v100, v102, v100, vcc_lo
	v_and_b32_e32 v98, 7, v98
	v_cndmask_b32_e32 v98, v99, v98, vcc_lo
	v_lshl_add_u32 v99, v100, 23, 0x3b800000
	v_lshlrev_b32_e32 v98, 20, v98
	v_or3_b32 v98, v97, v99, v98
.LBB2_4629:                             ;   in Loop: Header=BB2_4615 Depth=2
	s_or_b32 exec_lo, exec_lo, s26
	v_mul_f32_e32 v98, v96, v98
	v_and_b32_e32 v97, 0x7f800000, v98
	v_cmp_ne_u32_e32 vcc_lo, 0x7f800000, v97
	v_mov_b32_e32 v97, 0x80
	s_and_saveexec_b32 s26, vcc_lo
	s_cbranch_execz .LBB2_4637
; %bb.4630:                             ;   in Loop: Header=BB2_4615 Depth=2
	v_mov_b32_e32 v97, 0
	s_mov_b32 s27, exec_lo
	v_cmpx_ne_u32_e32 0, v98
	s_cbranch_execz .LBB2_4636
; %bb.4631:                             ;   in Loop: Header=BB2_4615 Depth=2
	v_bfe_u32 v97, v98, 23, 8
	v_and_b32_e32 v99, 0x7fffff, v98
	v_sub_nc_u32_e32 v100, 0x78, v97
	v_cmp_gt_u32_e32 vcc_lo, 0x79, v97
	v_or_b32_e32 v101, 0x800000, v99
	v_cndmask_b32_e32 v100, 0, v100, vcc_lo
	v_cmp_eq_u32_e32 vcc_lo, 0, v97
	v_add_nc_u32_e32 v97, 0xffffff89, v97
	v_cndmask_b32_e64 v100, v100, 0x77, vcc_lo
	v_cndmask_b32_e32 v99, v101, v99, vcc_lo
	v_cndmask_b32_e64 v97, v97, 0xffffff8a, vcc_lo
	v_lshl_add_u32 v101, 0x100000, v100, -1
	v_lshrrev_b32_e32 v102, v100, v99
	v_lshlrev_b32_e64 v112, v100, 0x80000
	v_add_nc_u32_e32 v100, v100, v97
	v_and_b32_e32 v99, v101, v99
	v_bfe_u32 v103, v102, 20, 1
	v_cmp_eq_u32_e64 s13, v99, v112
	v_add_nc_u32_e32 v101, -1, v103
	v_cndmask_b32_e64 v99, 0, v101, s13
	v_lshrrev_b32_e32 v101, 23, v102
	s_mov_b32 s13, exec_lo
	v_add_nc_u32_e32 v99, v99, v102
	v_xor_b32_e32 v101, 1, v101
	v_and_b32_e32 v97, 0xfffff, v99
	v_add_nc_u32_e32 v99, v97, v102
                                        ; implicit-def: $vgpr97
	v_cmpx_ne_u32_e64 v100, v101
	s_xor_b32 s13, exec_lo, s13
; %bb.4632:                             ;   in Loop: Header=BB2_4615 Depth=2
	v_cmp_lt_u32_e32 vcc_lo, 0xffffff, v99
	v_sub_nc_u32_e32 v97, v100, v101
	v_cndmask_b32_e64 v100, 0, 1, vcc_lo
	v_add_co_ci_u32_e64 v97, null, 0, v97, vcc_lo
	v_lshrrev_b32_e32 v99, v100, v99
; %bb.4633:                             ;   in Loop: Header=BB2_4615 Depth=2
	s_andn2_saveexec_b32 s13, s13
; %bb.4634:                             ;   in Loop: Header=BB2_4615 Depth=2
	v_bfe_u32 v97, v99, 23, 1
; %bb.4635:                             ;   in Loop: Header=BB2_4615 Depth=2
	s_or_b32 exec_lo, exec_lo, s13
	v_lshrrev_b32_e32 v99, 20, v99
	v_cmp_gt_i32_e32 vcc_lo, 16, v97
	v_min_i32_e32 v100, 15, v97
	v_and_b32_sdwa v98, v98, v83 dst_sel:DWORD dst_unused:UNUSED_PAD src0_sel:BYTE_3 src1_sel:DWORD
	v_cndmask_b32_e32 v99, 7, v99, vcc_lo
	v_lshlrev_b32_e32 v100, 3, v100
	v_and_b32_e32 v101, 7, v99
	v_or_b32_e32 v97, v97, v99
	v_or3_b32 v98, v100, v98, v101
	v_cmp_ne_u32_e32 vcc_lo, 0, v97
	v_cndmask_b32_e32 v97, 0, v98, vcc_lo
.LBB2_4636:                             ;   in Loop: Header=BB2_4615 Depth=2
	s_or_b32 exec_lo, exec_lo, s27
.LBB2_4637:                             ;   in Loop: Header=BB2_4615 Depth=2
	s_or_b32 exec_lo, exec_lo, s26
	flat_load_ubyte v98, v[10:11] offset:32 slc
	s_mov_b32 s13, 0
	s_mov_b32 s26, exec_lo
	s_waitcnt vmcnt(0) lgkmcnt(0)
	v_cmpx_lt_i16_e32 0x7f, v98
	s_xor_b32 s26, exec_lo, s26
	s_cbranch_execz .LBB2_4735
; %bb.4638:                             ;   in Loop: Header=BB2_4615 Depth=2
	s_mov_b32 s13, -1
	s_mov_b32 s27, exec_lo
	v_cmpx_eq_u16_e32 0x80, v98
; %bb.4639:                             ;   in Loop: Header=BB2_4615 Depth=2
	s_xor_b32 s13, exec_lo, -1
; %bb.4640:                             ;   in Loop: Header=BB2_4615 Depth=2
	s_or_b32 exec_lo, exec_lo, s27
	s_and_b32 s13, s13, exec_lo
	s_or_saveexec_b32 s26, s26
	v_mov_b32_e32 v99, 0x7f800001
	s_xor_b32 exec_lo, exec_lo, s26
	s_cbranch_execnz .LBB2_4736
.LBB2_4641:                             ;   in Loop: Header=BB2_4615 Depth=2
	s_or_b32 exec_lo, exec_lo, s26
	s_and_saveexec_b32 s26, s13
	s_cbranch_execz .LBB2_4643
.LBB2_4642:                             ;   in Loop: Header=BB2_4615 Depth=2
	v_and_b32_e32 v99, 0xffff, v98
	v_lshlrev_b32_e32 v98, 24, v98
	v_and_b32_e32 v100, 7, v99
	v_bfe_u32 v103, v99, 3, 4
	v_and_b32_e32 v98, 0x80000000, v98
	v_ffbh_u32_e32 v101, v100
	v_cmp_eq_u32_e32 vcc_lo, 0, v103
	v_min_u32_e32 v101, 32, v101
	v_subrev_nc_u32_e32 v102, 28, v101
	v_sub_nc_u32_e32 v101, 29, v101
	v_lshlrev_b32_e32 v99, v102, v99
	v_cndmask_b32_e32 v101, v103, v101, vcc_lo
	v_and_b32_e32 v99, 7, v99
	v_cndmask_b32_e32 v99, v100, v99, vcc_lo
	v_lshl_add_u32 v100, v101, 23, 0x3b800000
	v_lshlrev_b32_e32 v99, 20, v99
	v_or3_b32 v99, v98, v100, v99
.LBB2_4643:                             ;   in Loop: Header=BB2_4615 Depth=2
	s_or_b32 exec_lo, exec_lo, s26
	v_mul_f32_e32 v99, v96, v99
	v_and_b32_e32 v98, 0x7f800000, v99
	v_cmp_ne_u32_e32 vcc_lo, 0x7f800000, v98
	v_mov_b32_e32 v98, 0x80
	s_and_saveexec_b32 s26, vcc_lo
	s_cbranch_execz .LBB2_4651
; %bb.4644:                             ;   in Loop: Header=BB2_4615 Depth=2
	v_mov_b32_e32 v98, 0
	s_mov_b32 s27, exec_lo
	v_cmpx_ne_u32_e32 0, v99
	s_cbranch_execz .LBB2_4650
; %bb.4645:                             ;   in Loop: Header=BB2_4615 Depth=2
	v_bfe_u32 v98, v99, 23, 8
	v_and_b32_e32 v100, 0x7fffff, v99
	v_sub_nc_u32_e32 v101, 0x78, v98
	v_cmp_gt_u32_e32 vcc_lo, 0x79, v98
	v_or_b32_e32 v102, 0x800000, v100
	v_cndmask_b32_e32 v101, 0, v101, vcc_lo
	v_cmp_eq_u32_e32 vcc_lo, 0, v98
	v_add_nc_u32_e32 v98, 0xffffff89, v98
	v_cndmask_b32_e64 v101, v101, 0x77, vcc_lo
	v_cndmask_b32_e32 v100, v102, v100, vcc_lo
	v_cndmask_b32_e64 v98, v98, 0xffffff8a, vcc_lo
	v_lshl_add_u32 v102, 0x100000, v101, -1
	v_lshrrev_b32_e32 v103, v101, v100
	v_lshlrev_b32_e64 v113, v101, 0x80000
	v_add_nc_u32_e32 v101, v101, v98
	v_and_b32_e32 v100, v102, v100
	v_bfe_u32 v112, v103, 20, 1
	v_cmp_eq_u32_e64 s13, v100, v113
	v_add_nc_u32_e32 v102, -1, v112
	v_cndmask_b32_e64 v100, 0, v102, s13
	v_lshrrev_b32_e32 v102, 23, v103
	s_mov_b32 s13, exec_lo
	v_add_nc_u32_e32 v100, v100, v103
	v_xor_b32_e32 v102, 1, v102
	v_and_b32_e32 v98, 0xfffff, v100
	v_add_nc_u32_e32 v100, v98, v103
                                        ; implicit-def: $vgpr98
	v_cmpx_ne_u32_e64 v101, v102
	s_xor_b32 s13, exec_lo, s13
; %bb.4646:                             ;   in Loop: Header=BB2_4615 Depth=2
	v_cmp_lt_u32_e32 vcc_lo, 0xffffff, v100
	v_sub_nc_u32_e32 v98, v101, v102
	v_cndmask_b32_e64 v101, 0, 1, vcc_lo
	v_add_co_ci_u32_e64 v98, null, 0, v98, vcc_lo
	v_lshrrev_b32_e32 v100, v101, v100
; %bb.4647:                             ;   in Loop: Header=BB2_4615 Depth=2
	s_andn2_saveexec_b32 s13, s13
; %bb.4648:                             ;   in Loop: Header=BB2_4615 Depth=2
	v_bfe_u32 v98, v100, 23, 1
; %bb.4649:                             ;   in Loop: Header=BB2_4615 Depth=2
	s_or_b32 exec_lo, exec_lo, s13
	v_lshrrev_b32_e32 v100, 20, v100
	v_cmp_gt_i32_e32 vcc_lo, 16, v98
	v_min_i32_e32 v101, 15, v98
	v_and_b32_sdwa v99, v99, v83 dst_sel:DWORD dst_unused:UNUSED_PAD src0_sel:BYTE_3 src1_sel:DWORD
	v_cndmask_b32_e32 v100, 7, v100, vcc_lo
	v_lshlrev_b32_e32 v101, 3, v101
	v_and_b32_e32 v102, 7, v100
	v_or_b32_e32 v98, v98, v100
	v_or3_b32 v99, v101, v99, v102
	v_cmp_ne_u32_e32 vcc_lo, 0, v98
	v_cndmask_b32_e32 v98, 0, v99, vcc_lo
.LBB2_4650:                             ;   in Loop: Header=BB2_4615 Depth=2
	s_or_b32 exec_lo, exec_lo, s27
.LBB2_4651:                             ;   in Loop: Header=BB2_4615 Depth=2
	s_or_b32 exec_lo, exec_lo, s26
	flat_load_ubyte v99, v[10:11] offset:64 slc
	s_mov_b32 s13, 0
	s_mov_b32 s26, exec_lo
	s_waitcnt vmcnt(0) lgkmcnt(0)
	v_cmpx_lt_i16_e32 0x7f, v99
	s_xor_b32 s26, exec_lo, s26
	s_cbranch_execz .LBB2_4737
; %bb.4652:                             ;   in Loop: Header=BB2_4615 Depth=2
	s_mov_b32 s13, -1
	s_mov_b32 s27, exec_lo
	v_cmpx_eq_u16_e32 0x80, v99
; %bb.4653:                             ;   in Loop: Header=BB2_4615 Depth=2
	s_xor_b32 s13, exec_lo, -1
; %bb.4654:                             ;   in Loop: Header=BB2_4615 Depth=2
	s_or_b32 exec_lo, exec_lo, s27
	s_and_b32 s13, s13, exec_lo
	s_or_saveexec_b32 s26, s26
	v_mov_b32_e32 v100, 0x7f800001
	s_xor_b32 exec_lo, exec_lo, s26
	s_cbranch_execnz .LBB2_4738
.LBB2_4655:                             ;   in Loop: Header=BB2_4615 Depth=2
	s_or_b32 exec_lo, exec_lo, s26
	s_and_saveexec_b32 s26, s13
	s_cbranch_execz .LBB2_4657
.LBB2_4656:                             ;   in Loop: Header=BB2_4615 Depth=2
	v_and_b32_e32 v100, 0xffff, v99
	v_lshlrev_b32_e32 v99, 24, v99
	v_and_b32_e32 v101, 7, v100
	v_bfe_u32 v112, v100, 3, 4
	v_and_b32_e32 v99, 0x80000000, v99
	v_ffbh_u32_e32 v102, v101
	v_cmp_eq_u32_e32 vcc_lo, 0, v112
	v_min_u32_e32 v102, 32, v102
	v_subrev_nc_u32_e32 v103, 28, v102
	v_sub_nc_u32_e32 v102, 29, v102
	v_lshlrev_b32_e32 v100, v103, v100
	v_cndmask_b32_e32 v102, v112, v102, vcc_lo
	v_and_b32_e32 v100, 7, v100
	v_cndmask_b32_e32 v100, v101, v100, vcc_lo
	v_lshl_add_u32 v101, v102, 23, 0x3b800000
	v_lshlrev_b32_e32 v100, 20, v100
	v_or3_b32 v100, v99, v101, v100
.LBB2_4657:                             ;   in Loop: Header=BB2_4615 Depth=2
	s_or_b32 exec_lo, exec_lo, s26
	v_mul_f32_e32 v100, v96, v100
	v_and_b32_e32 v99, 0x7f800000, v100
	v_cmp_ne_u32_e32 vcc_lo, 0x7f800000, v99
	v_mov_b32_e32 v99, 0x80
	s_and_saveexec_b32 s26, vcc_lo
	s_cbranch_execz .LBB2_4665
; %bb.4658:                             ;   in Loop: Header=BB2_4615 Depth=2
	v_mov_b32_e32 v99, 0
	s_mov_b32 s27, exec_lo
	v_cmpx_ne_u32_e32 0, v100
	s_cbranch_execz .LBB2_4664
; %bb.4659:                             ;   in Loop: Header=BB2_4615 Depth=2
	v_bfe_u32 v99, v100, 23, 8
	v_and_b32_e32 v101, 0x7fffff, v100
	v_sub_nc_u32_e32 v102, 0x78, v99
	v_cmp_gt_u32_e32 vcc_lo, 0x79, v99
	v_or_b32_e32 v103, 0x800000, v101
	v_cndmask_b32_e32 v102, 0, v102, vcc_lo
	v_cmp_eq_u32_e32 vcc_lo, 0, v99
	v_add_nc_u32_e32 v99, 0xffffff89, v99
	v_cndmask_b32_e64 v102, v102, 0x77, vcc_lo
	v_cndmask_b32_e32 v101, v103, v101, vcc_lo
	v_cndmask_b32_e64 v99, v99, 0xffffff8a, vcc_lo
	v_lshl_add_u32 v103, 0x100000, v102, -1
	v_lshrrev_b32_e32 v112, v102, v101
	v_lshlrev_b32_e64 v114, v102, 0x80000
	v_add_nc_u32_e32 v102, v102, v99
	v_and_b32_e32 v101, v103, v101
	v_bfe_u32 v113, v112, 20, 1
	v_cmp_eq_u32_e64 s13, v101, v114
	v_add_nc_u32_e32 v103, -1, v113
	v_cndmask_b32_e64 v101, 0, v103, s13
	v_lshrrev_b32_e32 v103, 23, v112
	s_mov_b32 s13, exec_lo
	v_add_nc_u32_e32 v101, v101, v112
	v_xor_b32_e32 v103, 1, v103
	v_and_b32_e32 v99, 0xfffff, v101
	v_add_nc_u32_e32 v101, v99, v112
                                        ; implicit-def: $vgpr99
	v_cmpx_ne_u32_e64 v102, v103
	s_xor_b32 s13, exec_lo, s13
; %bb.4660:                             ;   in Loop: Header=BB2_4615 Depth=2
	v_cmp_lt_u32_e32 vcc_lo, 0xffffff, v101
	v_sub_nc_u32_e32 v99, v102, v103
	v_cndmask_b32_e64 v102, 0, 1, vcc_lo
	v_add_co_ci_u32_e64 v99, null, 0, v99, vcc_lo
	v_lshrrev_b32_e32 v101, v102, v101
; %bb.4661:                             ;   in Loop: Header=BB2_4615 Depth=2
	s_andn2_saveexec_b32 s13, s13
; %bb.4662:                             ;   in Loop: Header=BB2_4615 Depth=2
	v_bfe_u32 v99, v101, 23, 1
; %bb.4663:                             ;   in Loop: Header=BB2_4615 Depth=2
	s_or_b32 exec_lo, exec_lo, s13
	v_lshrrev_b32_e32 v101, 20, v101
	v_cmp_gt_i32_e32 vcc_lo, 16, v99
	v_min_i32_e32 v102, 15, v99
	v_and_b32_sdwa v100, v100, v83 dst_sel:DWORD dst_unused:UNUSED_PAD src0_sel:BYTE_3 src1_sel:DWORD
	v_cndmask_b32_e32 v101, 7, v101, vcc_lo
	v_lshlrev_b32_e32 v102, 3, v102
	v_and_b32_e32 v103, 7, v101
	v_or_b32_e32 v99, v99, v101
	v_or3_b32 v100, v102, v100, v103
	v_cmp_ne_u32_e32 vcc_lo, 0, v99
	v_cndmask_b32_e32 v99, 0, v100, vcc_lo
.LBB2_4664:                             ;   in Loop: Header=BB2_4615 Depth=2
	s_or_b32 exec_lo, exec_lo, s27
.LBB2_4665:                             ;   in Loop: Header=BB2_4615 Depth=2
	s_or_b32 exec_lo, exec_lo, s26
	flat_load_ubyte v100, v[10:11] offset:96 slc
	s_mov_b32 s13, 0
	s_mov_b32 s26, exec_lo
	s_waitcnt vmcnt(0) lgkmcnt(0)
	v_cmpx_lt_i16_e32 0x7f, v100
	s_xor_b32 s26, exec_lo, s26
	s_cbranch_execz .LBB2_4739
; %bb.4666:                             ;   in Loop: Header=BB2_4615 Depth=2
	s_mov_b32 s13, -1
	s_mov_b32 s27, exec_lo
	v_cmpx_eq_u16_e32 0x80, v100
; %bb.4667:                             ;   in Loop: Header=BB2_4615 Depth=2
	s_xor_b32 s13, exec_lo, -1
; %bb.4668:                             ;   in Loop: Header=BB2_4615 Depth=2
	s_or_b32 exec_lo, exec_lo, s27
	s_and_b32 s13, s13, exec_lo
	s_or_saveexec_b32 s26, s26
	v_mov_b32_e32 v101, 0x7f800001
	s_xor_b32 exec_lo, exec_lo, s26
	s_cbranch_execnz .LBB2_4740
.LBB2_4669:                             ;   in Loop: Header=BB2_4615 Depth=2
	s_or_b32 exec_lo, exec_lo, s26
	s_and_saveexec_b32 s26, s13
	s_cbranch_execz .LBB2_4671
.LBB2_4670:                             ;   in Loop: Header=BB2_4615 Depth=2
	v_and_b32_e32 v101, 0xffff, v100
	v_lshlrev_b32_e32 v100, 24, v100
	v_and_b32_e32 v102, 7, v101
	v_bfe_u32 v113, v101, 3, 4
	v_and_b32_e32 v100, 0x80000000, v100
	v_ffbh_u32_e32 v103, v102
	v_cmp_eq_u32_e32 vcc_lo, 0, v113
	v_min_u32_e32 v103, 32, v103
	v_subrev_nc_u32_e32 v112, 28, v103
	v_sub_nc_u32_e32 v103, 29, v103
	v_lshlrev_b32_e32 v101, v112, v101
	v_cndmask_b32_e32 v103, v113, v103, vcc_lo
	v_and_b32_e32 v101, 7, v101
	v_cndmask_b32_e32 v101, v102, v101, vcc_lo
	v_lshl_add_u32 v102, v103, 23, 0x3b800000
	v_lshlrev_b32_e32 v101, 20, v101
	v_or3_b32 v101, v100, v102, v101
.LBB2_4671:                             ;   in Loop: Header=BB2_4615 Depth=2
	s_or_b32 exec_lo, exec_lo, s26
	v_mul_f32_e32 v101, v96, v101
	v_and_b32_e32 v100, 0x7f800000, v101
	v_cmp_ne_u32_e32 vcc_lo, 0x7f800000, v100
	v_mov_b32_e32 v100, 0x80
	s_and_saveexec_b32 s26, vcc_lo
	s_cbranch_execz .LBB2_4679
; %bb.4672:                             ;   in Loop: Header=BB2_4615 Depth=2
	v_mov_b32_e32 v100, 0
	s_mov_b32 s27, exec_lo
	v_cmpx_ne_u32_e32 0, v101
	s_cbranch_execz .LBB2_4678
; %bb.4673:                             ;   in Loop: Header=BB2_4615 Depth=2
	v_bfe_u32 v100, v101, 23, 8
	v_and_b32_e32 v102, 0x7fffff, v101
	v_sub_nc_u32_e32 v103, 0x78, v100
	v_cmp_gt_u32_e32 vcc_lo, 0x79, v100
	v_or_b32_e32 v112, 0x800000, v102
	v_cndmask_b32_e32 v103, 0, v103, vcc_lo
	v_cmp_eq_u32_e32 vcc_lo, 0, v100
	v_add_nc_u32_e32 v100, 0xffffff89, v100
	v_cndmask_b32_e64 v103, v103, 0x77, vcc_lo
	v_cndmask_b32_e32 v102, v112, v102, vcc_lo
	v_cndmask_b32_e64 v100, v100, 0xffffff8a, vcc_lo
	v_lshl_add_u32 v112, 0x100000, v103, -1
	v_lshrrev_b32_e32 v113, v103, v102
	v_lshlrev_b32_e64 v115, v103, 0x80000
	v_add_nc_u32_e32 v103, v103, v100
	v_and_b32_e32 v102, v112, v102
	v_bfe_u32 v114, v113, 20, 1
	v_cmp_eq_u32_e64 s13, v102, v115
	v_add_nc_u32_e32 v112, -1, v114
	v_cndmask_b32_e64 v102, 0, v112, s13
	v_lshrrev_b32_e32 v112, 23, v113
	s_mov_b32 s13, exec_lo
	v_add_nc_u32_e32 v102, v102, v113
	v_xor_b32_e32 v112, 1, v112
	v_and_b32_e32 v100, 0xfffff, v102
	v_add_nc_u32_e32 v102, v100, v113
                                        ; implicit-def: $vgpr100
	v_cmpx_ne_u32_e64 v103, v112
	s_xor_b32 s13, exec_lo, s13
; %bb.4674:                             ;   in Loop: Header=BB2_4615 Depth=2
	v_cmp_lt_u32_e32 vcc_lo, 0xffffff, v102
	v_sub_nc_u32_e32 v100, v103, v112
	v_cndmask_b32_e64 v103, 0, 1, vcc_lo
	v_add_co_ci_u32_e64 v100, null, 0, v100, vcc_lo
	v_lshrrev_b32_e32 v102, v103, v102
; %bb.4675:                             ;   in Loop: Header=BB2_4615 Depth=2
	s_andn2_saveexec_b32 s13, s13
; %bb.4676:                             ;   in Loop: Header=BB2_4615 Depth=2
	v_bfe_u32 v100, v102, 23, 1
; %bb.4677:                             ;   in Loop: Header=BB2_4615 Depth=2
	s_or_b32 exec_lo, exec_lo, s13
	v_lshrrev_b32_e32 v102, 20, v102
	v_cmp_gt_i32_e32 vcc_lo, 16, v100
	v_min_i32_e32 v103, 15, v100
	v_and_b32_sdwa v101, v101, v83 dst_sel:DWORD dst_unused:UNUSED_PAD src0_sel:BYTE_3 src1_sel:DWORD
	v_cndmask_b32_e32 v102, 7, v102, vcc_lo
	v_lshlrev_b32_e32 v103, 3, v103
	v_and_b32_e32 v112, 7, v102
	v_or_b32_e32 v100, v100, v102
	v_or3_b32 v101, v103, v101, v112
	v_cmp_ne_u32_e32 vcc_lo, 0, v100
	v_cndmask_b32_e32 v100, 0, v101, vcc_lo
.LBB2_4678:                             ;   in Loop: Header=BB2_4615 Depth=2
	s_or_b32 exec_lo, exec_lo, s27
.LBB2_4679:                             ;   in Loop: Header=BB2_4615 Depth=2
	s_or_b32 exec_lo, exec_lo, s26
	flat_load_ubyte v101, v[10:11] offset:128 slc
	s_mov_b32 s13, 0
	s_mov_b32 s26, exec_lo
	s_waitcnt vmcnt(0) lgkmcnt(0)
	v_cmpx_lt_i16_e32 0x7f, v101
	s_xor_b32 s26, exec_lo, s26
	s_cbranch_execz .LBB2_4741
; %bb.4680:                             ;   in Loop: Header=BB2_4615 Depth=2
	s_mov_b32 s13, -1
	s_mov_b32 s27, exec_lo
	v_cmpx_eq_u16_e32 0x80, v101
; %bb.4681:                             ;   in Loop: Header=BB2_4615 Depth=2
	s_xor_b32 s13, exec_lo, -1
; %bb.4682:                             ;   in Loop: Header=BB2_4615 Depth=2
	s_or_b32 exec_lo, exec_lo, s27
	s_and_b32 s13, s13, exec_lo
	s_or_saveexec_b32 s26, s26
	v_mov_b32_e32 v102, 0x7f800001
	s_xor_b32 exec_lo, exec_lo, s26
	s_cbranch_execnz .LBB2_4742
.LBB2_4683:                             ;   in Loop: Header=BB2_4615 Depth=2
	s_or_b32 exec_lo, exec_lo, s26
	s_and_saveexec_b32 s26, s13
	s_cbranch_execz .LBB2_4685
.LBB2_4684:                             ;   in Loop: Header=BB2_4615 Depth=2
	v_and_b32_e32 v102, 0xffff, v101
	v_lshlrev_b32_e32 v101, 24, v101
	v_and_b32_e32 v103, 7, v102
	v_bfe_u32 v114, v102, 3, 4
	v_and_b32_e32 v101, 0x80000000, v101
	v_ffbh_u32_e32 v112, v103
	v_cmp_eq_u32_e32 vcc_lo, 0, v114
	v_min_u32_e32 v112, 32, v112
	v_subrev_nc_u32_e32 v113, 28, v112
	v_sub_nc_u32_e32 v112, 29, v112
	v_lshlrev_b32_e32 v102, v113, v102
	v_cndmask_b32_e32 v112, v114, v112, vcc_lo
	v_and_b32_e32 v102, 7, v102
	v_cndmask_b32_e32 v102, v103, v102, vcc_lo
	v_lshl_add_u32 v103, v112, 23, 0x3b800000
	v_lshlrev_b32_e32 v102, 20, v102
	v_or3_b32 v102, v101, v103, v102
.LBB2_4685:                             ;   in Loop: Header=BB2_4615 Depth=2
	s_or_b32 exec_lo, exec_lo, s26
	v_mul_f32_e32 v102, v96, v102
	v_and_b32_e32 v101, 0x7f800000, v102
	v_cmp_ne_u32_e32 vcc_lo, 0x7f800000, v101
	v_mov_b32_e32 v101, 0x80
	s_and_saveexec_b32 s26, vcc_lo
	s_cbranch_execz .LBB2_4693
; %bb.4686:                             ;   in Loop: Header=BB2_4615 Depth=2
	v_mov_b32_e32 v101, 0
	s_mov_b32 s27, exec_lo
	v_cmpx_ne_u32_e32 0, v102
	s_cbranch_execz .LBB2_4692
; %bb.4687:                             ;   in Loop: Header=BB2_4615 Depth=2
	v_bfe_u32 v101, v102, 23, 8
	v_and_b32_e32 v103, 0x7fffff, v102
	v_sub_nc_u32_e32 v112, 0x78, v101
	v_cmp_gt_u32_e32 vcc_lo, 0x79, v101
	v_or_b32_e32 v113, 0x800000, v103
	v_cndmask_b32_e32 v112, 0, v112, vcc_lo
	v_cmp_eq_u32_e32 vcc_lo, 0, v101
	v_add_nc_u32_e32 v101, 0xffffff89, v101
	v_cndmask_b32_e64 v112, v112, 0x77, vcc_lo
	v_cndmask_b32_e32 v103, v113, v103, vcc_lo
	v_cndmask_b32_e64 v101, v101, 0xffffff8a, vcc_lo
	v_lshl_add_u32 v113, 0x100000, v112, -1
	v_lshrrev_b32_e32 v114, v112, v103
	v_lshlrev_b32_e64 v116, v112, 0x80000
	v_add_nc_u32_e32 v112, v112, v101
	v_and_b32_e32 v103, v113, v103
	v_bfe_u32 v115, v114, 20, 1
	v_cmp_eq_u32_e64 s13, v103, v116
	v_add_nc_u32_e32 v113, -1, v115
	v_cndmask_b32_e64 v103, 0, v113, s13
	v_lshrrev_b32_e32 v113, 23, v114
	s_mov_b32 s13, exec_lo
	v_add_nc_u32_e32 v103, v103, v114
	v_xor_b32_e32 v113, 1, v113
	v_and_b32_e32 v101, 0xfffff, v103
	v_add_nc_u32_e32 v103, v101, v114
                                        ; implicit-def: $vgpr101
	v_cmpx_ne_u32_e64 v112, v113
	s_xor_b32 s13, exec_lo, s13
; %bb.4688:                             ;   in Loop: Header=BB2_4615 Depth=2
	v_cmp_lt_u32_e32 vcc_lo, 0xffffff, v103
	v_sub_nc_u32_e32 v101, v112, v113
	v_cndmask_b32_e64 v112, 0, 1, vcc_lo
	v_add_co_ci_u32_e64 v101, null, 0, v101, vcc_lo
	v_lshrrev_b32_e32 v103, v112, v103
; %bb.4689:                             ;   in Loop: Header=BB2_4615 Depth=2
	s_andn2_saveexec_b32 s13, s13
; %bb.4690:                             ;   in Loop: Header=BB2_4615 Depth=2
	v_bfe_u32 v101, v103, 23, 1
; %bb.4691:                             ;   in Loop: Header=BB2_4615 Depth=2
	s_or_b32 exec_lo, exec_lo, s13
	v_lshrrev_b32_e32 v103, 20, v103
	v_cmp_gt_i32_e32 vcc_lo, 16, v101
	v_min_i32_e32 v112, 15, v101
	v_and_b32_sdwa v102, v102, v83 dst_sel:DWORD dst_unused:UNUSED_PAD src0_sel:BYTE_3 src1_sel:DWORD
	v_cndmask_b32_e32 v103, 7, v103, vcc_lo
	v_lshlrev_b32_e32 v112, 3, v112
	v_and_b32_e32 v113, 7, v103
	v_or_b32_e32 v101, v101, v103
	v_or3_b32 v102, v112, v102, v113
	v_cmp_ne_u32_e32 vcc_lo, 0, v101
	v_cndmask_b32_e32 v101, 0, v102, vcc_lo
.LBB2_4692:                             ;   in Loop: Header=BB2_4615 Depth=2
	s_or_b32 exec_lo, exec_lo, s27
.LBB2_4693:                             ;   in Loop: Header=BB2_4615 Depth=2
	s_or_b32 exec_lo, exec_lo, s26
	flat_load_ubyte v102, v[10:11] offset:160 slc
	s_mov_b32 s13, 0
	s_mov_b32 s26, exec_lo
	s_waitcnt vmcnt(0) lgkmcnt(0)
	v_cmpx_lt_i16_e32 0x7f, v102
	s_xor_b32 s26, exec_lo, s26
	s_cbranch_execz .LBB2_4743
; %bb.4694:                             ;   in Loop: Header=BB2_4615 Depth=2
	s_mov_b32 s13, -1
	s_mov_b32 s27, exec_lo
	v_cmpx_eq_u16_e32 0x80, v102
; %bb.4695:                             ;   in Loop: Header=BB2_4615 Depth=2
	s_xor_b32 s13, exec_lo, -1
; %bb.4696:                             ;   in Loop: Header=BB2_4615 Depth=2
	s_or_b32 exec_lo, exec_lo, s27
	s_and_b32 s13, s13, exec_lo
	s_or_saveexec_b32 s26, s26
	v_mov_b32_e32 v103, 0x7f800001
	s_xor_b32 exec_lo, exec_lo, s26
	s_cbranch_execnz .LBB2_4744
.LBB2_4697:                             ;   in Loop: Header=BB2_4615 Depth=2
	s_or_b32 exec_lo, exec_lo, s26
	s_and_saveexec_b32 s26, s13
	s_cbranch_execz .LBB2_4699
.LBB2_4698:                             ;   in Loop: Header=BB2_4615 Depth=2
	v_and_b32_e32 v103, 0xffff, v102
	v_lshlrev_b32_e32 v102, 24, v102
	v_and_b32_e32 v112, 7, v103
	v_bfe_u32 v115, v103, 3, 4
	v_and_b32_e32 v102, 0x80000000, v102
	v_ffbh_u32_e32 v113, v112
	v_cmp_eq_u32_e32 vcc_lo, 0, v115
	v_min_u32_e32 v113, 32, v113
	v_subrev_nc_u32_e32 v114, 28, v113
	v_sub_nc_u32_e32 v113, 29, v113
	v_lshlrev_b32_e32 v103, v114, v103
	v_cndmask_b32_e32 v113, v115, v113, vcc_lo
	v_and_b32_e32 v103, 7, v103
	v_cndmask_b32_e32 v103, v112, v103, vcc_lo
	v_lshl_add_u32 v112, v113, 23, 0x3b800000
	v_lshlrev_b32_e32 v103, 20, v103
	v_or3_b32 v103, v102, v112, v103
.LBB2_4699:                             ;   in Loop: Header=BB2_4615 Depth=2
	s_or_b32 exec_lo, exec_lo, s26
	v_mul_f32_e32 v103, v96, v103
	v_and_b32_e32 v102, 0x7f800000, v103
	v_cmp_ne_u32_e32 vcc_lo, 0x7f800000, v102
	v_mov_b32_e32 v102, 0x80
	s_and_saveexec_b32 s26, vcc_lo
	s_cbranch_execz .LBB2_4707
; %bb.4700:                             ;   in Loop: Header=BB2_4615 Depth=2
	v_mov_b32_e32 v102, 0
	s_mov_b32 s27, exec_lo
	v_cmpx_ne_u32_e32 0, v103
	s_cbranch_execz .LBB2_4706
; %bb.4701:                             ;   in Loop: Header=BB2_4615 Depth=2
	v_bfe_u32 v102, v103, 23, 8
	v_and_b32_e32 v112, 0x7fffff, v103
	v_sub_nc_u32_e32 v113, 0x78, v102
	v_cmp_gt_u32_e32 vcc_lo, 0x79, v102
	v_or_b32_e32 v114, 0x800000, v112
	v_cndmask_b32_e32 v113, 0, v113, vcc_lo
	v_cmp_eq_u32_e32 vcc_lo, 0, v102
	v_add_nc_u32_e32 v102, 0xffffff89, v102
	v_cndmask_b32_e64 v113, v113, 0x77, vcc_lo
	v_cndmask_b32_e32 v112, v114, v112, vcc_lo
	v_cndmask_b32_e64 v102, v102, 0xffffff8a, vcc_lo
	v_lshl_add_u32 v114, 0x100000, v113, -1
	v_lshrrev_b32_e32 v115, v113, v112
	v_lshlrev_b32_e64 v117, v113, 0x80000
	v_add_nc_u32_e32 v113, v113, v102
	v_and_b32_e32 v112, v114, v112
	v_bfe_u32 v116, v115, 20, 1
	v_cmp_eq_u32_e64 s13, v112, v117
	v_add_nc_u32_e32 v114, -1, v116
	v_cndmask_b32_e64 v112, 0, v114, s13
	v_lshrrev_b32_e32 v114, 23, v115
	s_mov_b32 s13, exec_lo
	v_add_nc_u32_e32 v112, v112, v115
	v_xor_b32_e32 v114, 1, v114
	v_and_b32_e32 v102, 0xfffff, v112
	v_add_nc_u32_e32 v112, v102, v115
                                        ; implicit-def: $vgpr102
	v_cmpx_ne_u32_e64 v113, v114
	s_xor_b32 s13, exec_lo, s13
; %bb.4702:                             ;   in Loop: Header=BB2_4615 Depth=2
	v_cmp_lt_u32_e32 vcc_lo, 0xffffff, v112
	v_sub_nc_u32_e32 v102, v113, v114
	v_cndmask_b32_e64 v113, 0, 1, vcc_lo
	v_add_co_ci_u32_e64 v102, null, 0, v102, vcc_lo
	v_lshrrev_b32_e32 v112, v113, v112
; %bb.4703:                             ;   in Loop: Header=BB2_4615 Depth=2
	s_andn2_saveexec_b32 s13, s13
; %bb.4704:                             ;   in Loop: Header=BB2_4615 Depth=2
	v_bfe_u32 v102, v112, 23, 1
; %bb.4705:                             ;   in Loop: Header=BB2_4615 Depth=2
	s_or_b32 exec_lo, exec_lo, s13
	v_lshrrev_b32_e32 v112, 20, v112
	v_cmp_gt_i32_e32 vcc_lo, 16, v102
	v_min_i32_e32 v113, 15, v102
	v_and_b32_sdwa v103, v103, v83 dst_sel:DWORD dst_unused:UNUSED_PAD src0_sel:BYTE_3 src1_sel:DWORD
	v_cndmask_b32_e32 v112, 7, v112, vcc_lo
	v_lshlrev_b32_e32 v113, 3, v113
	v_and_b32_e32 v114, 7, v112
	v_or_b32_e32 v102, v102, v112
	v_or3_b32 v103, v113, v103, v114
	v_cmp_ne_u32_e32 vcc_lo, 0, v102
	v_cndmask_b32_e32 v102, 0, v103, vcc_lo
.LBB2_4706:                             ;   in Loop: Header=BB2_4615 Depth=2
	s_or_b32 exec_lo, exec_lo, s27
.LBB2_4707:                             ;   in Loop: Header=BB2_4615 Depth=2
	s_or_b32 exec_lo, exec_lo, s26
	flat_load_ubyte v103, v[10:11] offset:192 slc
	s_mov_b32 s13, 0
	s_mov_b32 s26, exec_lo
	s_waitcnt vmcnt(0) lgkmcnt(0)
	v_cmpx_lt_i16_e32 0x7f, v103
	s_xor_b32 s26, exec_lo, s26
	s_cbranch_execz .LBB2_4745
; %bb.4708:                             ;   in Loop: Header=BB2_4615 Depth=2
	s_mov_b32 s13, -1
	s_mov_b32 s27, exec_lo
	v_cmpx_eq_u16_e32 0x80, v103
; %bb.4709:                             ;   in Loop: Header=BB2_4615 Depth=2
	s_xor_b32 s13, exec_lo, -1
; %bb.4710:                             ;   in Loop: Header=BB2_4615 Depth=2
	s_or_b32 exec_lo, exec_lo, s27
	s_and_b32 s13, s13, exec_lo
	s_or_saveexec_b32 s26, s26
	v_mov_b32_e32 v112, 0x7f800001
	s_xor_b32 exec_lo, exec_lo, s26
	s_cbranch_execnz .LBB2_4746
.LBB2_4711:                             ;   in Loop: Header=BB2_4615 Depth=2
	s_or_b32 exec_lo, exec_lo, s26
	s_and_saveexec_b32 s26, s13
	s_cbranch_execz .LBB2_4713
.LBB2_4712:                             ;   in Loop: Header=BB2_4615 Depth=2
	v_and_b32_e32 v112, 0xffff, v103
	v_lshlrev_b32_e32 v103, 24, v103
	v_and_b32_e32 v113, 7, v112
	v_bfe_u32 v116, v112, 3, 4
	v_and_b32_e32 v103, 0x80000000, v103
	v_ffbh_u32_e32 v114, v113
	v_cmp_eq_u32_e32 vcc_lo, 0, v116
	v_min_u32_e32 v114, 32, v114
	v_subrev_nc_u32_e32 v115, 28, v114
	v_sub_nc_u32_e32 v114, 29, v114
	v_lshlrev_b32_e32 v112, v115, v112
	v_cndmask_b32_e32 v114, v116, v114, vcc_lo
	v_and_b32_e32 v112, 7, v112
	v_cndmask_b32_e32 v112, v113, v112, vcc_lo
	v_lshl_add_u32 v113, v114, 23, 0x3b800000
	v_lshlrev_b32_e32 v112, 20, v112
	v_or3_b32 v112, v103, v113, v112
.LBB2_4713:                             ;   in Loop: Header=BB2_4615 Depth=2
	s_or_b32 exec_lo, exec_lo, s26
	v_mul_f32_e32 v112, v96, v112
	v_and_b32_e32 v103, 0x7f800000, v112
	v_cmp_ne_u32_e32 vcc_lo, 0x7f800000, v103
	v_mov_b32_e32 v103, 0x80
	s_and_saveexec_b32 s26, vcc_lo
	s_cbranch_execz .LBB2_4721
; %bb.4714:                             ;   in Loop: Header=BB2_4615 Depth=2
	v_mov_b32_e32 v103, 0
	s_mov_b32 s27, exec_lo
	v_cmpx_ne_u32_e32 0, v112
	s_cbranch_execz .LBB2_4720
; %bb.4715:                             ;   in Loop: Header=BB2_4615 Depth=2
	v_bfe_u32 v103, v112, 23, 8
	v_and_b32_e32 v113, 0x7fffff, v112
	v_sub_nc_u32_e32 v114, 0x78, v103
	v_cmp_gt_u32_e32 vcc_lo, 0x79, v103
	v_or_b32_e32 v115, 0x800000, v113
	v_cndmask_b32_e32 v114, 0, v114, vcc_lo
	v_cmp_eq_u32_e32 vcc_lo, 0, v103
	v_add_nc_u32_e32 v103, 0xffffff89, v103
	v_cndmask_b32_e64 v114, v114, 0x77, vcc_lo
	v_cndmask_b32_e32 v113, v115, v113, vcc_lo
	v_cndmask_b32_e64 v103, v103, 0xffffff8a, vcc_lo
	v_lshl_add_u32 v115, 0x100000, v114, -1
	v_lshrrev_b32_e32 v116, v114, v113
	v_lshlrev_b32_e64 v118, v114, 0x80000
	v_add_nc_u32_e32 v114, v114, v103
	v_and_b32_e32 v113, v115, v113
	v_bfe_u32 v117, v116, 20, 1
	v_cmp_eq_u32_e64 s13, v113, v118
	v_add_nc_u32_e32 v115, -1, v117
	v_cndmask_b32_e64 v113, 0, v115, s13
	v_lshrrev_b32_e32 v115, 23, v116
	s_mov_b32 s13, exec_lo
	v_add_nc_u32_e32 v113, v113, v116
	v_xor_b32_e32 v115, 1, v115
	v_and_b32_e32 v103, 0xfffff, v113
	v_add_nc_u32_e32 v113, v103, v116
                                        ; implicit-def: $vgpr103
	v_cmpx_ne_u32_e64 v114, v115
	s_xor_b32 s13, exec_lo, s13
; %bb.4716:                             ;   in Loop: Header=BB2_4615 Depth=2
	v_cmp_lt_u32_e32 vcc_lo, 0xffffff, v113
	v_sub_nc_u32_e32 v103, v114, v115
	v_cndmask_b32_e64 v114, 0, 1, vcc_lo
	v_add_co_ci_u32_e64 v103, null, 0, v103, vcc_lo
	v_lshrrev_b32_e32 v113, v114, v113
; %bb.4717:                             ;   in Loop: Header=BB2_4615 Depth=2
	s_andn2_saveexec_b32 s13, s13
; %bb.4718:                             ;   in Loop: Header=BB2_4615 Depth=2
	v_bfe_u32 v103, v113, 23, 1
; %bb.4719:                             ;   in Loop: Header=BB2_4615 Depth=2
	s_or_b32 exec_lo, exec_lo, s13
	v_lshrrev_b32_e32 v113, 20, v113
	v_cmp_gt_i32_e32 vcc_lo, 16, v103
	v_min_i32_e32 v114, 15, v103
	v_and_b32_sdwa v112, v112, v83 dst_sel:DWORD dst_unused:UNUSED_PAD src0_sel:BYTE_3 src1_sel:DWORD
	v_cndmask_b32_e32 v113, 7, v113, vcc_lo
	v_lshlrev_b32_e32 v114, 3, v114
	v_and_b32_e32 v115, 7, v113
	v_or_b32_e32 v103, v103, v113
	v_or3_b32 v112, v114, v112, v115
	v_cmp_ne_u32_e32 vcc_lo, 0, v103
	v_cndmask_b32_e32 v103, 0, v112, vcc_lo
.LBB2_4720:                             ;   in Loop: Header=BB2_4615 Depth=2
	s_or_b32 exec_lo, exec_lo, s27
.LBB2_4721:                             ;   in Loop: Header=BB2_4615 Depth=2
	s_or_b32 exec_lo, exec_lo, s26
	flat_load_ubyte v10, v[10:11] offset:224 slc
	s_mov_b32 s13, 0
	s_mov_b32 s26, exec_lo
	s_waitcnt vmcnt(0) lgkmcnt(0)
	v_cmpx_lt_i16_e32 0x7f, v10
	s_xor_b32 s26, exec_lo, s26
	s_cbranch_execz .LBB2_4747
; %bb.4722:                             ;   in Loop: Header=BB2_4615 Depth=2
	s_mov_b32 s13, -1
	s_mov_b32 s27, exec_lo
	v_cmpx_eq_u16_e32 0x80, v10
; %bb.4723:                             ;   in Loop: Header=BB2_4615 Depth=2
	s_xor_b32 s13, exec_lo, -1
; %bb.4724:                             ;   in Loop: Header=BB2_4615 Depth=2
	s_or_b32 exec_lo, exec_lo, s27
	s_and_b32 s13, s13, exec_lo
	s_or_saveexec_b32 s26, s26
	v_mov_b32_e32 v11, 0x7f800001
	s_xor_b32 exec_lo, exec_lo, s26
	s_cbranch_execnz .LBB2_4748
.LBB2_4725:                             ;   in Loop: Header=BB2_4615 Depth=2
	s_or_b32 exec_lo, exec_lo, s26
	s_and_saveexec_b32 s26, s13
	s_cbranch_execz .LBB2_4727
.LBB2_4726:                             ;   in Loop: Header=BB2_4615 Depth=2
	v_and_b32_e32 v11, 0xffff, v10
	v_lshlrev_b32_e32 v10, 24, v10
	v_and_b32_e32 v112, 7, v11
	v_bfe_u32 v115, v11, 3, 4
	v_and_b32_e32 v10, 0x80000000, v10
	v_ffbh_u32_e32 v113, v112
	v_cmp_eq_u32_e32 vcc_lo, 0, v115
	v_min_u32_e32 v113, 32, v113
	v_subrev_nc_u32_e32 v114, 28, v113
	v_sub_nc_u32_e32 v113, 29, v113
	v_lshlrev_b32_e32 v11, v114, v11
	v_cndmask_b32_e32 v113, v115, v113, vcc_lo
	v_and_b32_e32 v11, 7, v11
	v_cndmask_b32_e32 v11, v112, v11, vcc_lo
	v_lshl_add_u32 v112, v113, 23, 0x3b800000
	v_lshlrev_b32_e32 v11, 20, v11
	v_or3_b32 v11, v10, v112, v11
.LBB2_4727:                             ;   in Loop: Header=BB2_4615 Depth=2
	s_or_b32 exec_lo, exec_lo, s26
	v_mul_f32_e32 v10, v96, v11
	v_and_b32_e32 v11, 0x7f800000, v10
	v_cmp_ne_u32_e32 vcc_lo, 0x7f800000, v11
	v_mov_b32_e32 v11, 0x80
	s_and_saveexec_b32 s26, vcc_lo
	s_cbranch_execz .LBB2_4614
; %bb.4728:                             ;   in Loop: Header=BB2_4615 Depth=2
	v_mov_b32_e32 v11, 0
	s_mov_b32 s27, exec_lo
	v_cmpx_ne_u32_e32 0, v10
	s_cbranch_execz .LBB2_4613
; %bb.4729:                             ;   in Loop: Header=BB2_4615 Depth=2
	v_bfe_u32 v11, v10, 23, 8
	v_and_b32_e32 v96, 0x7fffff, v10
	v_sub_nc_u32_e32 v112, 0x78, v11
	v_cmp_gt_u32_e32 vcc_lo, 0x79, v11
	v_or_b32_e32 v113, 0x800000, v96
	v_cndmask_b32_e32 v112, 0, v112, vcc_lo
	v_cmp_eq_u32_e32 vcc_lo, 0, v11
	v_add_nc_u32_e32 v11, 0xffffff89, v11
	v_cndmask_b32_e64 v112, v112, 0x77, vcc_lo
	v_cndmask_b32_e32 v96, v113, v96, vcc_lo
	v_cndmask_b32_e64 v11, v11, 0xffffff8a, vcc_lo
	v_lshl_add_u32 v113, 0x100000, v112, -1
	v_lshrrev_b32_e32 v114, v112, v96
	v_lshlrev_b32_e64 v116, v112, 0x80000
	v_add_nc_u32_e32 v112, v112, v11
	v_and_b32_e32 v96, v113, v96
	v_bfe_u32 v115, v114, 20, 1
	v_cmp_eq_u32_e64 s13, v96, v116
	v_add_nc_u32_e32 v113, -1, v115
	v_cndmask_b32_e64 v96, 0, v113, s13
	v_lshrrev_b32_e32 v113, 23, v114
	s_mov_b32 s13, exec_lo
	v_add_nc_u32_e32 v96, v96, v114
	v_xor_b32_e32 v113, 1, v113
	v_and_b32_e32 v11, 0xfffff, v96
	v_add_nc_u32_e32 v96, v11, v114
                                        ; implicit-def: $vgpr11
	v_cmpx_ne_u32_e64 v112, v113
	s_xor_b32 s13, exec_lo, s13
; %bb.4730:                             ;   in Loop: Header=BB2_4615 Depth=2
	v_cmp_lt_u32_e32 vcc_lo, 0xffffff, v96
	v_sub_nc_u32_e32 v11, v112, v113
	v_cndmask_b32_e64 v112, 0, 1, vcc_lo
	v_add_co_ci_u32_e64 v11, null, 0, v11, vcc_lo
	v_lshrrev_b32_e32 v96, v112, v96
; %bb.4731:                             ;   in Loop: Header=BB2_4615 Depth=2
	s_andn2_saveexec_b32 s13, s13
	s_cbranch_execz .LBB2_4612
; %bb.4732:                             ;   in Loop: Header=BB2_4615 Depth=2
	v_bfe_u32 v11, v96, 23, 1
	s_branch .LBB2_4612
.LBB2_4733:                             ;   in Loop: Header=BB2_4615 Depth=2
	s_or_saveexec_b32 s26, s26
	v_mov_b32_e32 v98, 0x7f800001
	s_xor_b32 exec_lo, exec_lo, s26
	s_cbranch_execz .LBB2_4627
.LBB2_4734:                             ;   in Loop: Header=BB2_4615 Depth=2
	v_cmp_ne_u16_e32 vcc_lo, 0, v97
	v_mov_b32_e32 v98, 0
	s_andn2_b32 s13, s13, exec_lo
	s_and_b32 s27, vcc_lo, exec_lo
	s_or_b32 s13, s13, s27
	s_or_b32 exec_lo, exec_lo, s26
	s_and_saveexec_b32 s26, s13
	s_cbranch_execnz .LBB2_4628
	s_branch .LBB2_4629
.LBB2_4735:                             ;   in Loop: Header=BB2_4615 Depth=2
	s_or_saveexec_b32 s26, s26
	v_mov_b32_e32 v99, 0x7f800001
	s_xor_b32 exec_lo, exec_lo, s26
	s_cbranch_execz .LBB2_4641
.LBB2_4736:                             ;   in Loop: Header=BB2_4615 Depth=2
	v_cmp_ne_u16_e32 vcc_lo, 0, v98
	v_mov_b32_e32 v99, 0
	s_andn2_b32 s13, s13, exec_lo
	s_and_b32 s27, vcc_lo, exec_lo
	s_or_b32 s13, s13, s27
	s_or_b32 exec_lo, exec_lo, s26
	s_and_saveexec_b32 s26, s13
	s_cbranch_execnz .LBB2_4642
	s_branch .LBB2_4643
.LBB2_4737:                             ;   in Loop: Header=BB2_4615 Depth=2
	s_or_saveexec_b32 s26, s26
	v_mov_b32_e32 v100, 0x7f800001
	s_xor_b32 exec_lo, exec_lo, s26
	s_cbranch_execz .LBB2_4655
.LBB2_4738:                             ;   in Loop: Header=BB2_4615 Depth=2
	v_cmp_ne_u16_e32 vcc_lo, 0, v99
	v_mov_b32_e32 v100, 0
	s_andn2_b32 s13, s13, exec_lo
	s_and_b32 s27, vcc_lo, exec_lo
	s_or_b32 s13, s13, s27
	s_or_b32 exec_lo, exec_lo, s26
	s_and_saveexec_b32 s26, s13
	s_cbranch_execnz .LBB2_4656
	s_branch .LBB2_4657
.LBB2_4739:                             ;   in Loop: Header=BB2_4615 Depth=2
	s_or_saveexec_b32 s26, s26
	v_mov_b32_e32 v101, 0x7f800001
	s_xor_b32 exec_lo, exec_lo, s26
	s_cbranch_execz .LBB2_4669
.LBB2_4740:                             ;   in Loop: Header=BB2_4615 Depth=2
	v_cmp_ne_u16_e32 vcc_lo, 0, v100
	v_mov_b32_e32 v101, 0
	s_andn2_b32 s13, s13, exec_lo
	s_and_b32 s27, vcc_lo, exec_lo
	s_or_b32 s13, s13, s27
	s_or_b32 exec_lo, exec_lo, s26
	s_and_saveexec_b32 s26, s13
	s_cbranch_execnz .LBB2_4670
	s_branch .LBB2_4671
.LBB2_4741:                             ;   in Loop: Header=BB2_4615 Depth=2
	s_or_saveexec_b32 s26, s26
	v_mov_b32_e32 v102, 0x7f800001
	s_xor_b32 exec_lo, exec_lo, s26
	s_cbranch_execz .LBB2_4683
.LBB2_4742:                             ;   in Loop: Header=BB2_4615 Depth=2
	v_cmp_ne_u16_e32 vcc_lo, 0, v101
	v_mov_b32_e32 v102, 0
	s_andn2_b32 s13, s13, exec_lo
	s_and_b32 s27, vcc_lo, exec_lo
	s_or_b32 s13, s13, s27
	s_or_b32 exec_lo, exec_lo, s26
	s_and_saveexec_b32 s26, s13
	s_cbranch_execnz .LBB2_4684
	s_branch .LBB2_4685
.LBB2_4743:                             ;   in Loop: Header=BB2_4615 Depth=2
	s_or_saveexec_b32 s26, s26
	v_mov_b32_e32 v103, 0x7f800001
	s_xor_b32 exec_lo, exec_lo, s26
	s_cbranch_execz .LBB2_4697
.LBB2_4744:                             ;   in Loop: Header=BB2_4615 Depth=2
	v_cmp_ne_u16_e32 vcc_lo, 0, v102
	v_mov_b32_e32 v103, 0
	s_andn2_b32 s13, s13, exec_lo
	s_and_b32 s27, vcc_lo, exec_lo
	s_or_b32 s13, s13, s27
	s_or_b32 exec_lo, exec_lo, s26
	s_and_saveexec_b32 s26, s13
	s_cbranch_execnz .LBB2_4698
	s_branch .LBB2_4699
.LBB2_4745:                             ;   in Loop: Header=BB2_4615 Depth=2
	s_or_saveexec_b32 s26, s26
	v_mov_b32_e32 v112, 0x7f800001
	s_xor_b32 exec_lo, exec_lo, s26
	s_cbranch_execz .LBB2_4711
.LBB2_4746:                             ;   in Loop: Header=BB2_4615 Depth=2
	v_cmp_ne_u16_e32 vcc_lo, 0, v103
	v_mov_b32_e32 v112, 0
	s_andn2_b32 s13, s13, exec_lo
	s_and_b32 s27, vcc_lo, exec_lo
	s_or_b32 s13, s13, s27
	s_or_b32 exec_lo, exec_lo, s26
	s_and_saveexec_b32 s26, s13
	s_cbranch_execnz .LBB2_4712
	s_branch .LBB2_4713
.LBB2_4747:                             ;   in Loop: Header=BB2_4615 Depth=2
	s_or_saveexec_b32 s26, s26
	v_mov_b32_e32 v11, 0x7f800001
	s_xor_b32 exec_lo, exec_lo, s26
	s_cbranch_execz .LBB2_4725
.LBB2_4748:                             ;   in Loop: Header=BB2_4615 Depth=2
	v_cmp_ne_u16_e32 vcc_lo, 0, v10
	v_mov_b32_e32 v11, 0
	s_andn2_b32 s13, s13, exec_lo
	s_and_b32 s27, vcc_lo, exec_lo
	s_or_b32 s13, s13, s27
	s_or_b32 exec_lo, exec_lo, s26
	s_and_saveexec_b32 s26, s13
	s_cbranch_execnz .LBB2_4726
	s_branch .LBB2_4727
.LBB2_4749:                             ;   in Loop: Header=BB2_3743 Depth=1
	s_or_b32 exec_lo, exec_lo, s25
.LBB2_4750:                             ;   in Loop: Header=BB2_3743 Depth=1
	s_or_b32 exec_lo, exec_lo, s24
	v_and_b32_e32 v49, 0xffffff00, v13
	v_cmp_ne_u32_e32 vcc_lo, v13, v49
	s_and_b32 exec_lo, exec_lo, vcc_lo
	s_cbranch_execz .LBB2_4778
; %bb.4751:                             ;   in Loop: Header=BB2_3743 Depth=1
	v_lshlrev_b32_e32 v10, 5, v53
	v_lshlrev_b32_e32 v11, 5, v54
	v_sub_nc_u32_e32 v10, v52, v10
	v_sub_nc_u32_e32 v50, v10, v11
	v_sub_nc_u32_sdwa v48, v13, v50 dst_sel:DWORD dst_unused:UNUSED_PAD src0_sel:BYTE_0 src1_sel:DWORD
	v_cmp_lt_i32_e32 vcc_lo, 0, v48
	s_and_b32 exec_lo, exec_lo, vcc_lo
	s_cbranch_execz .LBB2_4778
; %bb.4752:                             ;   in Loop: Header=BB2_3743 Depth=1
	s_trap 2
	ds_read_b64 v[10:11], v0
	v_add3_u32 v49, v49, v12, v50
	s_mov_b32 s24, 0
	v_ashrrev_i32_e32 v50, 31, v49
	s_branch .LBB2_4756
.LBB2_4753:                             ;   in Loop: Header=BB2_4756 Depth=2
	s_or_b32 exec_lo, exec_lo, s13
	v_lshrrev_b32_e32 v53, 20, v53
	v_cmp_gt_i32_e32 vcc_lo, 16, v52
	v_min_i32_e32 v54, 15, v52
	v_and_b32_sdwa v51, v51, v83 dst_sel:DWORD dst_unused:UNUSED_PAD src0_sel:BYTE_3 src1_sel:DWORD
	v_cndmask_b32_e32 v53, 7, v53, vcc_lo
	v_lshlrev_b32_e32 v54, 3, v54
	v_and_b32_e32 v55, 7, v53
	v_or_b32_e32 v52, v52, v53
	v_or3_b32 v51, v54, v51, v55
	v_cmp_ne_u32_e32 vcc_lo, 0, v52
	v_cndmask_b32_e32 v52, 0, v51, vcc_lo
.LBB2_4754:                             ;   in Loop: Header=BB2_4756 Depth=2
	s_or_b32 exec_lo, exec_lo, s26
.LBB2_4755:                             ;   in Loop: Header=BB2_4756 Depth=2
	s_or_b32 exec_lo, exec_lo, s25
	v_sub_nc_u32_e32 v48, v48, v80
	v_add_co_u32 v49, s13, v49, v80
	v_add_co_ci_u32_e64 v50, null, 0, v50, s13
	v_cmp_gt_i32_e32 vcc_lo, 1, v48
	flat_store_byte v[12:13], v52 glc slc
	s_or_b32 s24, vcc_lo, s24
	s_andn2_b32 exec_lo, exec_lo, s24
	s_cbranch_execz .LBB2_4778
.LBB2_4756:                             ;   Parent Loop BB2_3743 Depth=1
                                        ; =>  This Inner Loop Header: Depth=2
	s_trap 2
	ds_read_b64 v[12:13], v0
	s_waitcnt lgkmcnt(0)
	v_readfirstlane_b32 s13, v12
	s_and_b32 s25, s13, 0xff
	s_cmpk_lt_i32 s25, 0x80
	s_cbranch_scc1 .LBB2_4760
; %bb.4757:                             ;   in Loop: Header=BB2_4756 Depth=2
	s_and_b32 s26, 0xffff, s25
	s_cmpk_eq_i32 s26, 0x80
	s_mov_b32 s26, -1
	s_cbranch_scc0 .LBB2_4759
; %bb.4758:                             ;   in Loop: Header=BB2_4756 Depth=2
	s_mov_b32 s26, 0
.LBB2_4759:                             ;   in Loop: Header=BB2_4756 Depth=2
	s_mov_b32 s27, 0x7f800001
	s_branch .LBB2_4762
.LBB2_4760:                             ;   in Loop: Header=BB2_4756 Depth=2
	s_mov_b32 s26, 0
	s_mov_b32 s27, 0x7f800001
	s_cbranch_execz .LBB2_4762
; %bb.4761:                             ;   in Loop: Header=BB2_4756 Depth=2
	s_and_b32 s25, 0xffff, s25
	s_mov_b32 s27, 0
	s_cmp_lg_u32 s25, 0
	s_cselect_b32 s26, -1, 0
.LBB2_4762:                             ;   in Loop: Header=BB2_4756 Depth=2
	v_mov_b32_e32 v51, s27
	s_andn2_b32 vcc_lo, exec_lo, s26
	s_cbranch_vccnz .LBB2_4764
; %bb.4763:                             ;   in Loop: Header=BB2_4756 Depth=2
	s_and_b32 s25, s13, 7
	s_bfe_u32 s27, s13, 0x40003
	s_flbit_i32_b32 s26, s25
	v_lshlrev_b32_e32 v12, 24, v12
	s_min_u32 s26, s26, 32
	s_sub_i32 s28, s26, 28
	s_sub_i32 s26, 29, s26
	s_lshl_b32 s13, s13, s28
	v_and_b32_e32 v12, 0x80000000, v12
	s_and_b32 s13, s13, 7
	s_cmp_eq_u32 s27, 0
	s_cselect_b32 s26, s26, s27
	s_cselect_b32 s13, s13, s25
	s_lshl_b32 s25, s26, 23
	s_lshl_b32 s13, s13, 20
	s_add_i32 s25, s25, 0x3b800000
	v_or_b32_e32 v12, s25, v12
	v_or_b32_e32 v51, s13, v12
.LBB2_4764:                             ;   in Loop: Header=BB2_4756 Depth=2
	v_add_co_u32 v12, vcc_lo, v10, v49
	v_add_co_ci_u32_e64 v13, null, v11, v50, vcc_lo
	s_mov_b32 s13, 0
	s_mov_b32 s25, exec_lo
	flat_load_ubyte v52, v[12:13] slc
	s_waitcnt vmcnt(0) lgkmcnt(0)
	v_cmpx_lt_i16_e32 0x7f, v52
	s_xor_b32 s25, exec_lo, s25
	s_cbranch_execz .LBB2_4776
; %bb.4765:                             ;   in Loop: Header=BB2_4756 Depth=2
	s_mov_b32 s13, -1
	s_mov_b32 s26, exec_lo
	v_cmpx_eq_u16_e32 0x80, v52
; %bb.4766:                             ;   in Loop: Header=BB2_4756 Depth=2
	s_xor_b32 s13, exec_lo, -1
; %bb.4767:                             ;   in Loop: Header=BB2_4756 Depth=2
	s_or_b32 exec_lo, exec_lo, s26
	s_and_b32 s13, s13, exec_lo
	s_or_saveexec_b32 s25, s25
	v_mov_b32_e32 v53, 0x7f800001
	s_xor_b32 exec_lo, exec_lo, s25
	s_cbranch_execnz .LBB2_4777
.LBB2_4768:                             ;   in Loop: Header=BB2_4756 Depth=2
	s_or_b32 exec_lo, exec_lo, s25
	s_and_saveexec_b32 s25, s13
	s_cbranch_execz .LBB2_4770
.LBB2_4769:                             ;   in Loop: Header=BB2_4756 Depth=2
	v_and_b32_e32 v53, 0xffff, v52
	v_lshlrev_b32_e32 v52, 24, v52
	v_and_b32_e32 v54, 7, v53
	v_bfe_u32 v96, v53, 3, 4
	v_and_b32_e32 v52, 0x80000000, v52
	v_ffbh_u32_e32 v55, v54
	v_cmp_eq_u32_e32 vcc_lo, 0, v96
	v_min_u32_e32 v55, 32, v55
	v_subrev_nc_u32_e32 v87, 28, v55
	v_sub_nc_u32_e32 v55, 29, v55
	v_lshlrev_b32_e32 v53, v87, v53
	v_cndmask_b32_e32 v55, v96, v55, vcc_lo
	v_and_b32_e32 v53, 7, v53
	v_cndmask_b32_e32 v53, v54, v53, vcc_lo
	v_lshl_add_u32 v54, v55, 23, 0x3b800000
	v_lshlrev_b32_e32 v53, 20, v53
	v_or3_b32 v53, v52, v54, v53
.LBB2_4770:                             ;   in Loop: Header=BB2_4756 Depth=2
	s_or_b32 exec_lo, exec_lo, s25
	v_mul_f32_e32 v51, v51, v53
	v_and_b32_e32 v52, 0x7f800000, v51
	v_cmp_ne_u32_e32 vcc_lo, 0x7f800000, v52
	v_mov_b32_e32 v52, 0x80
	s_and_saveexec_b32 s25, vcc_lo
	s_cbranch_execz .LBB2_4755
; %bb.4771:                             ;   in Loop: Header=BB2_4756 Depth=2
	v_mov_b32_e32 v52, 0
	s_mov_b32 s26, exec_lo
	v_cmpx_ne_u32_e32 0, v51
	s_cbranch_execz .LBB2_4754
; %bb.4772:                             ;   in Loop: Header=BB2_4756 Depth=2
	v_bfe_u32 v52, v51, 23, 8
	v_and_b32_e32 v53, 0x7fffff, v51
	v_sub_nc_u32_e32 v54, 0x78, v52
	v_cmp_gt_u32_e32 vcc_lo, 0x79, v52
	v_or_b32_e32 v55, 0x800000, v53
	v_cndmask_b32_e32 v54, 0, v54, vcc_lo
	v_cmp_eq_u32_e32 vcc_lo, 0, v52
	v_add_nc_u32_e32 v52, 0xffffff89, v52
	v_cndmask_b32_e64 v54, v54, 0x77, vcc_lo
	v_cndmask_b32_e32 v53, v55, v53, vcc_lo
	v_cndmask_b32_e64 v52, v52, 0xffffff8a, vcc_lo
	v_lshl_add_u32 v55, 0x100000, v54, -1
	v_lshrrev_b32_e32 v87, v54, v53
	v_lshlrev_b32_e64 v97, v54, 0x80000
	v_add_nc_u32_e32 v54, v54, v52
	v_and_b32_e32 v53, v55, v53
	v_bfe_u32 v96, v87, 20, 1
	v_cmp_eq_u32_e64 s13, v53, v97
	v_add_nc_u32_e32 v55, -1, v96
	v_cndmask_b32_e64 v53, 0, v55, s13
	v_lshrrev_b32_e32 v55, 23, v87
	s_mov_b32 s13, exec_lo
	v_add_nc_u32_e32 v53, v53, v87
	v_xor_b32_e32 v55, 1, v55
	v_and_b32_e32 v52, 0xfffff, v53
	v_add_nc_u32_e32 v53, v52, v87
                                        ; implicit-def: $vgpr52
	v_cmpx_ne_u32_e64 v54, v55
	s_xor_b32 s13, exec_lo, s13
; %bb.4773:                             ;   in Loop: Header=BB2_4756 Depth=2
	v_cmp_lt_u32_e32 vcc_lo, 0xffffff, v53
	v_sub_nc_u32_e32 v52, v54, v55
	v_cndmask_b32_e64 v54, 0, 1, vcc_lo
	v_add_co_ci_u32_e64 v52, null, 0, v52, vcc_lo
	v_lshrrev_b32_e32 v53, v54, v53
; %bb.4774:                             ;   in Loop: Header=BB2_4756 Depth=2
	s_andn2_saveexec_b32 s13, s13
	s_cbranch_execz .LBB2_4753
; %bb.4775:                             ;   in Loop: Header=BB2_4756 Depth=2
	v_bfe_u32 v52, v53, 23, 1
	s_branch .LBB2_4753
.LBB2_4776:                             ;   in Loop: Header=BB2_4756 Depth=2
	s_or_saveexec_b32 s25, s25
	v_mov_b32_e32 v53, 0x7f800001
	s_xor_b32 exec_lo, exec_lo, s25
	s_cbranch_execz .LBB2_4768
.LBB2_4777:                             ;   in Loop: Header=BB2_4756 Depth=2
	v_cmp_ne_u16_e32 vcc_lo, 0, v52
	v_mov_b32_e32 v53, 0
	s_andn2_b32 s13, s13, exec_lo
	s_and_b32 s26, vcc_lo, exec_lo
	s_or_b32 s13, s13, s26
	s_or_b32 exec_lo, exec_lo, s25
	s_and_saveexec_b32 s25, s13
	s_cbranch_execnz .LBB2_4769
	s_branch .LBB2_4770
.LBB2_4778:                             ;   in Loop: Header=BB2_3743 Depth=1
	s_or_b32 exec_lo, exec_lo, s14
	v_cmp_ne_u32_e64 s13, 0, v39
	s_and_saveexec_b32 s14, s6
	s_cbranch_execz .LBB2_4797
.LBB2_4779:                             ;   in Loop: Header=BB2_3743 Depth=1
	s_and_saveexec_b32 s24, s16
	s_xor_b32 s24, exec_lo, s24
	s_cbranch_execz .LBB2_4794
; %bb.4780:                             ;   in Loop: Header=BB2_3743 Depth=1
	s_and_saveexec_b32 s25, s7
	s_cbranch_execz .LBB2_4793
; %bb.4781:                             ;   in Loop: Header=BB2_3743 Depth=1
	s_mov_b32 s27, exec_lo
	s_mov_b32 s26, exec_lo
	v_mbcnt_lo_u32_b32 v10, s27, 0
	s_waitcnt vmcnt(0) lgkmcnt(0)
	s_waitcnt_vscnt null, 0x0
	buffer_gl1_inv
	buffer_gl0_inv
	v_cmpx_eq_u32_e32 0, v10
	s_cbranch_execz .LBB2_4783
; %bb.4782:                             ;   in Loop: Header=BB2_3743 Depth=1
	s_bcnt1_i32_b32 s27, s27
	v_mov_b32_e32 v11, v33
	v_mov_b32_e32 v10, s27
	ds_add_u64 v0, v[10:11]
	s_trap 2
.LBB2_4783:                             ;   in Loop: Header=BB2_3743 Depth=1
	s_or_b32 exec_lo, exec_lo, s26
	s_trap 2
	ds_read_b64 v[10:11], v0
	s_waitcnt lgkmcnt(0)
	buffer_gl0_inv
	v_add_co_u32 v22, vcc_lo, v22, v67
	v_add_co_ci_u32_e64 v23, null, 0, v23, vcc_lo
	s_mov_b32 s26, exec_lo
	v_cmpx_lt_u64_e64 v[10:11], v[22:23]
	s_cbranch_execz .LBB2_4792
; %bb.4784:                             ;   in Loop: Header=BB2_3743 Depth=1
	s_mov_b32 s27, 0
	s_mov_b32 s40, 0
                                        ; implicit-def: $sgpr28
                                        ; implicit-def: $sgpr29
	s_inst_prefetch 0x1
	s_branch .LBB2_4786
	.p2align	6
.LBB2_4785:                             ;   in Loop: Header=BB2_4786 Depth=2
	s_or_b32 exec_lo, exec_lo, s42
	s_and_b32 s41, exec_lo, s43
	s_or_b32 s27, s41, s27
	s_andn2_b32 s28, s28, exec_lo
	s_and_b32 s41, s29, exec_lo
	s_or_b32 s28, s28, s41
	s_andn2_b32 exec_lo, exec_lo, s27
	s_cbranch_execz .LBB2_4790
.LBB2_4786:                             ;   Parent Loop BB2_3743 Depth=1
                                        ; =>  This Inner Loop Header: Depth=2
	s_add_i32 s40, s40, 1
	s_cmpk_lg_i32 s40, 0x2710
	s_cselect_b32 s41, -1, 0
	s_and_b32 vcc_lo, exec_lo, s41
	s_cbranch_vccz .LBB2_4788
; %bb.4787:                             ;   in Loop: Header=BB2_4786 Depth=2
	s_mov_b32 s43, -1
	s_or_b32 s29, s29, exec_lo
	s_and_saveexec_b32 s42, s41
	s_cbranch_execz .LBB2_4785
	s_branch .LBB2_4789
	.p2align	6
.LBB2_4788:                             ;   in Loop: Header=BB2_4786 Depth=2
	s_trap 2
	ds_read_b64 v[10:11], v0
	s_andn2_b32 s41, s41, exec_lo
	s_mov_b32 s40, 0
	s_waitcnt lgkmcnt(0)
	flat_load_dword v10, v[10:11] glc dlc
	s_waitcnt vmcnt(0) lgkmcnt(0)
	buffer_gl1_inv
	buffer_gl0_inv
	v_cmp_eq_u32_e32 vcc_lo, 0, v10
	s_and_b32 s42, vcc_lo, exec_lo
	s_or_b32 s41, s41, s42
	s_mov_b32 s43, -1
	s_or_b32 s29, s29, exec_lo
	s_and_saveexec_b32 s42, s41
	s_cbranch_execz .LBB2_4785
.LBB2_4789:                             ;   in Loop: Header=BB2_4786 Depth=2
	s_sleep 1
	s_trap 2
	ds_read_b64 v[10:11], v0
	s_waitcnt lgkmcnt(0)
	buffer_gl0_inv
	s_andn2_b32 s29, s29, exec_lo
	v_cmp_ge_u64_e32 vcc_lo, v[10:11], v[22:23]
	s_orn2_b32 s43, vcc_lo, exec_lo
	s_branch .LBB2_4785
.LBB2_4790:                             ;   in Loop: Header=BB2_3743 Depth=1
	s_inst_prefetch 0x2
	s_or_b32 exec_lo, exec_lo, s27
	s_and_saveexec_b32 s27, s28
	s_xor_b32 s27, exec_lo, s27
	s_cbranch_execz .LBB2_4792
; %bb.4791:                             ;   in Loop: Header=BB2_3743 Depth=1
	ds_write_b32 v0, v81
	s_trap 2
.LBB2_4792:                             ;   in Loop: Header=BB2_3743 Depth=1
	s_or_b32 exec_lo, exec_lo, s26
	;;#ASMSTART
	s_wakeup
	;;#ASMEND
.LBB2_4793:                             ;   in Loop: Header=BB2_3743 Depth=1
	s_or_b32 exec_lo, exec_lo, s25
.LBB2_4794:                             ;   in Loop: Header=BB2_3743 Depth=1
	s_andn2_saveexec_b32 s24, s24
	s_cbranch_execz .LBB2_4796
; %bb.4795:                             ;   in Loop: Header=BB2_3743 Depth=1
	s_waitcnt vmcnt(0) lgkmcnt(0)
	s_waitcnt_vscnt null, 0x0
	buffer_gl1_inv
	buffer_gl0_inv
	s_barrier
.LBB2_4796:                             ;   in Loop: Header=BB2_3743 Depth=1
	s_or_b32 exec_lo, exec_lo, s24
.LBB2_4797:                             ;   in Loop: Header=BB2_3743 Depth=1
	s_or_b32 exec_lo, exec_lo, s14
	v_and_b32_e32 v10, 16, v64
	v_cmp_ne_u32_e32 vcc_lo, 0, v10
	s_and_b32 s14, vcc_lo, s13
	s_and_saveexec_b32 s13, s14
	s_cbranch_execz .LBB2_4799
; %bb.4798:                             ;   in Loop: Header=BB2_3743 Depth=1
	s_waitcnt vmcnt(0) lgkmcnt(0)
	s_waitcnt_vscnt null, 0x0
	buffer_gl1_inv
	buffer_gl0_inv
.LBB2_4799:                             ;   in Loop: Header=BB2_3743 Depth=1
	s_or_b32 exec_lo, exec_lo, s13
	s_mov_b32 s13, exec_lo
	v_cmpx_ne_u32_e32 0, v10
	s_cbranch_execz .LBB2_4803
; %bb.4800:                             ;   in Loop: Header=BB2_3743 Depth=1
	s_and_saveexec_b32 s14, s12
	s_cbranch_execz .LBB2_4802
; %bb.4801:                             ;   in Loop: Header=BB2_3743 Depth=1
	s_waitcnt vmcnt(0) lgkmcnt(0)
	s_waitcnt_vscnt null, 0x0
	flat_store_dword v[28:29], v81
.LBB2_4802:                             ;   in Loop: Header=BB2_3743 Depth=1
	s_or_b32 exec_lo, exec_lo, s14
	v_add_co_u32 v8, vcc_lo, v8, 1
	v_add_co_ci_u32_e64 v9, null, 0, v9, vcc_lo
	s_waitcnt vmcnt(0) lgkmcnt(0)
	s_waitcnt_vscnt null, 0x0
	flat_store_dwordx2 v[18:19], v[8:9]
.LBB2_4803:                             ;   in Loop: Header=BB2_3743 Depth=1
	s_or_b32 exec_lo, exec_lo, s13
	v_mov_b32_e32 v10, v32
.LBB2_4804:                             ;   in Loop: Header=BB2_3743 Depth=1
	s_or_b32 exec_lo, exec_lo, s23
	s_and_saveexec_b32 s14, s22
	s_cbranch_execz .LBB2_3742
; %bb.4805:                             ;   in Loop: Header=BB2_3743 Depth=1
	v_sub_nc_u32_e32 v10, v38, v10
	v_and_b32_e32 v11, 8, v64
	s_mov_b32 s22, exec_lo
	v_min_i32_e32 v10, v32, v10
	v_cmpx_ne_u32_e32 0, v11
	s_cbranch_execz .LBB2_4827
; %bb.4806:                             ;   in Loop: Header=BB2_3743 Depth=1
	s_waitcnt vmcnt(0)
	v_add_co_u32 v38, vcc_lo, v24, 8
	v_add_co_ci_u32_e64 v39, null, 0, v25, vcc_lo
	s_waitcnt lgkmcnt(0)
	v_add_co_u32 v12, vcc_lo, v8, 1
	v_add_co_ci_u32_e64 v13, null, 0, v9, vcc_lo
	s_mov_b32 s23, exec_lo
	v_cmpx_lt_u64_e64 v[38:39], v[12:13]
	s_cbranch_execz .LBB2_4818
; %bb.4807:                             ;   in Loop: Header=BB2_3743 Depth=1
	v_and_b32_e32 v9, 64, v64
	s_mov_b32 s24, 0
	s_mov_b32 s28, 0
                                        ; implicit-def: $sgpr25
                                        ; implicit-def: $sgpr26
                                        ; implicit-def: $sgpr27
	v_cmp_eq_u32_e32 vcc_lo, 0, v9
	s_branch .LBB2_4811
.LBB2_4808:                             ;   in Loop: Header=BB2_4811 Depth=2
	s_waitcnt vmcnt(0) lgkmcnt(0)
	v_add_co_u32 v38, s13, v24, 8
	v_add_co_ci_u32_e64 v39, null, 0, v25, s13
	s_or_b32 s41, s41, exec_lo
	v_cmp_ge_u64_e64 s13, v[38:39], v[12:13]
	s_orn2_b32 s40, s13, exec_lo
.LBB2_4809:                             ;   in Loop: Header=BB2_4811 Depth=2
	s_or_b32 exec_lo, exec_lo, s43
	s_andn2_b32 s13, s27, exec_lo
	s_and_b32 s27, s41, exec_lo
	s_andn2_b32 s26, s26, exec_lo
	s_and_b32 s40, s40, exec_lo
	s_or_b32 s27, s13, s27
	s_or_b32 s26, s26, s40
.LBB2_4810:                             ;   in Loop: Header=BB2_4811 Depth=2
	s_or_b32 exec_lo, exec_lo, s29
	s_and_b32 s13, exec_lo, s26
	s_or_b32 s24, s13, s24
	s_andn2_b32 s13, s25, exec_lo
	s_and_b32 s25, s27, exec_lo
	s_or_b32 s25, s13, s25
	s_andn2_b32 exec_lo, exec_lo, s24
	s_cbranch_execz .LBB2_4815
.LBB2_4811:                             ;   Parent Loop BB2_3743 Depth=1
                                        ; =>  This Inner Loop Header: Depth=2
	s_sleep 1
	s_waitcnt vmcnt(0) lgkmcnt(0)
	flat_load_dwordx2 v[24:25], v[18:19] glc dlc
	s_or_b32 s27, s27, exec_lo
	s_or_b32 s26, s26, exec_lo
                                        ; implicit-def: $vgpr9
	s_and_saveexec_b32 s29, vcc_lo
	s_cbranch_execz .LBB2_4810
; %bb.4812:                             ;   in Loop: Header=BB2_4811 Depth=2
	s_cmpk_lt_i32 s28, 0x270f
	s_mov_b32 s40, -1
	s_cselect_b32 s42, -1, 0
	s_cmpk_gt_i32 s28, 0x270e
	s_cbranch_scc0 .LBB2_4814
; %bb.4813:                             ;   in Loop: Header=BB2_4811 Depth=2
	s_trap 2
	ds_read_b64 v[38:39], v0
	s_andn2_b32 s28, s42, exec_lo
	s_mov_b32 s41, 0
	s_waitcnt vmcnt(0) lgkmcnt(0)
	s_waitcnt_vscnt null, 0x0
	flat_load_dword v9, v[38:39] glc dlc
	s_waitcnt vmcnt(0) lgkmcnt(0)
	buffer_gl1_inv
	buffer_gl0_inv
	v_cmp_eq_u32_e64 s13, 0, v9
	s_and_b32 s13, s13, exec_lo
	s_or_b32 s42, s28, s13
	s_mov_b32 s28, 0
	s_and_saveexec_b32 s43, s42
	s_cbranch_execz .LBB2_4809
	s_branch .LBB2_4808
.LBB2_4814:                             ;   in Loop: Header=BB2_4811 Depth=2
	s_add_i32 s28, s28, 1
	s_mov_b32 s41, -1
                                        ; implicit-def: $vgpr9
	s_and_saveexec_b32 s43, s42
	s_cbranch_execz .LBB2_4809
	s_branch .LBB2_4808
.LBB2_4815:                             ;   in Loop: Header=BB2_3743 Depth=1
	s_or_b32 exec_lo, exec_lo, s24
	s_xor_b32 s13, s25, -1
	s_and_saveexec_b32 s24, s13
	s_xor_b32 s13, exec_lo, s24
	s_cbranch_execz .LBB2_4817
; %bb.4816:                             ;   in Loop: Header=BB2_3743 Depth=1
	v_or_b32_e32 v64, 64, v64
	s_waitcnt vmcnt(0) lgkmcnt(0)
	s_waitcnt_vscnt null, 0x0
	ds_write_b32 v0, v9
	s_trap 2
.LBB2_4817:                             ;   in Loop: Header=BB2_3743 Depth=1
	s_or_b32 exec_lo, exec_lo, s13
.LBB2_4818:                             ;   in Loop: Header=BB2_3743 Depth=1
	s_or_b32 exec_lo, exec_lo, s23
	v_and_b32_e32 v9, 0x100, v64
	v_and_b32_e32 v32, 7, v8
	s_mov_b32 s13, -1
	;;#ASMSTART
	s_wakeup
	;;#ASMEND
	v_cmp_ne_u32_e32 vcc_lo, 0, v9
                                        ; implicit-def: $vgpr8_vgpr9
	s_and_saveexec_b32 s23, vcc_lo
	s_cbranch_execz .LBB2_4822
; %bb.4819:                             ;   in Loop: Header=BB2_3743 Depth=1
	v_mad_u64_u32 v[38:39], null, v32, 24, v[6:7]
	v_ashrrev_i32_e32 v11, 31, v10
	flat_load_dword v8, v[38:39]
	flat_store_dwordx2 v[38:39], v[10:11] offset:8
	s_waitcnt vmcnt(0) lgkmcnt(1)
	v_cmp_eq_u32_e64 s13, 1, v8
	v_cmp_ne_u32_e32 vcc_lo, 1, v8
                                        ; implicit-def: $vgpr8_vgpr9
	s_and_saveexec_b32 s24, s13
	s_cbranch_execz .LBB2_4821
; %bb.4820:                             ;   in Loop: Header=BB2_3743 Depth=1
	flat_load_dword v8, v[38:39] offset:4 glc dlc
	s_waitcnt vmcnt(0) lgkmcnt(0)
	v_ashrrev_i32_e32 v9, 31, v8
.LBB2_4821:                             ;   in Loop: Header=BB2_3743 Depth=1
	s_or_b32 exec_lo, exec_lo, s24
	s_orn2_b32 s13, vcc_lo, exec_lo
.LBB2_4822:                             ;   in Loop: Header=BB2_3743 Depth=1
	s_or_b32 exec_lo, exec_lo, s23
	s_and_saveexec_b32 s23, s13
; %bb.4823:                             ;   in Loop: Header=BB2_3743 Depth=1
	v_mad_i64_i32 v[8:9], null, v32, v65, 0
; %bb.4824:                             ;   in Loop: Header=BB2_3743 Depth=1
	s_or_b32 exec_lo, exec_lo, s23
	v_add_co_u32 v8, vcc_lo, v20, v8
	v_and_b32_e32 v11, 0x2000, v64
	v_add_co_ci_u32_e64 v9, null, v21, v9, vcc_lo
	s_mov_b32 s13, exec_lo
	ds_write_b64 v0, v[8:9] offset:784
	v_cmpx_ne_u32_e32 0, v11
	s_cbranch_execz .LBB2_4826
; %bb.4825:                             ;   in Loop: Header=BB2_3743 Depth=1
	ds_read_b64 v[8:9], v0 offset:872
	s_waitcnt lgkmcnt(0)
	v_add_co_u32 v8, vcc_lo, v8, 1
	v_add_co_ci_u32_e64 v9, null, 0, v9, vcc_lo
	ds_write_b64 v0, v[8:9] offset:872
.LBB2_4826:                             ;   in Loop: Header=BB2_3743 Depth=1
	s_or_b32 exec_lo, exec_lo, s13
	v_mov_b32_e32 v8, v12
	v_mov_b32_e32 v9, v13
.LBB2_4827:                             ;   in Loop: Header=BB2_3743 Depth=1
	s_or_b32 exec_lo, exec_lo, s22
	s_and_saveexec_b32 s13, s6
	s_cbranch_execz .LBB2_4846
; %bb.4828:                             ;   in Loop: Header=BB2_3743 Depth=1
	s_and_saveexec_b32 s22, s16
	s_xor_b32 s22, exec_lo, s22
	s_cbranch_execz .LBB2_4843
; %bb.4829:                             ;   in Loop: Header=BB2_3743 Depth=1
	s_and_saveexec_b32 s23, s7
	s_cbranch_execz .LBB2_4842
; %bb.4830:                             ;   in Loop: Header=BB2_3743 Depth=1
	s_mov_b32 s25, exec_lo
	s_mov_b32 s24, exec_lo
	v_mbcnt_lo_u32_b32 v11, s25, 0
	s_waitcnt vmcnt(0) lgkmcnt(0)
	s_waitcnt_vscnt null, 0x0
	buffer_gl1_inv
	buffer_gl0_inv
	v_cmpx_eq_u32_e32 0, v11
	s_cbranch_execz .LBB2_4832
; %bb.4831:                             ;   in Loop: Header=BB2_3743 Depth=1
	s_bcnt1_i32_b32 s25, s25
	v_mov_b32_e32 v32, s25
	ds_add_u64 v0, v[32:33]
	s_trap 2
.LBB2_4832:                             ;   in Loop: Header=BB2_3743 Depth=1
	s_or_b32 exec_lo, exec_lo, s24
	s_trap 2
	ds_read_b64 v[11:12], v0
	s_waitcnt lgkmcnt(0)
	buffer_gl0_inv
	v_add_co_u32 v22, vcc_lo, v22, v67
	v_add_co_ci_u32_e64 v23, null, 0, v23, vcc_lo
	s_mov_b32 s24, exec_lo
	v_cmpx_lt_u64_e64 v[11:12], v[22:23]
	s_cbranch_execz .LBB2_4841
; %bb.4833:                             ;   in Loop: Header=BB2_3743 Depth=1
	s_mov_b32 s25, 0
	s_mov_b32 s28, 0
                                        ; implicit-def: $sgpr26
                                        ; implicit-def: $sgpr27
	s_inst_prefetch 0x1
	s_branch .LBB2_4835
	.p2align	6
.LBB2_4834:                             ;   in Loop: Header=BB2_4835 Depth=2
	s_or_b32 exec_lo, exec_lo, s40
	s_and_b32 s29, exec_lo, s41
	s_or_b32 s25, s29, s25
	s_andn2_b32 s26, s26, exec_lo
	s_and_b32 s29, s27, exec_lo
	s_or_b32 s26, s26, s29
	s_andn2_b32 exec_lo, exec_lo, s25
	s_cbranch_execz .LBB2_4839
.LBB2_4835:                             ;   Parent Loop BB2_3743 Depth=1
                                        ; =>  This Inner Loop Header: Depth=2
	s_add_i32 s28, s28, 1
	s_cmpk_lg_i32 s28, 0x2710
	s_cselect_b32 s29, -1, 0
	s_and_b32 vcc_lo, exec_lo, s29
	s_cbranch_vccz .LBB2_4837
; %bb.4836:                             ;   in Loop: Header=BB2_4835 Depth=2
	s_mov_b32 s41, -1
	s_or_b32 s27, s27, exec_lo
	s_and_saveexec_b32 s40, s29
	s_cbranch_execz .LBB2_4834
	s_branch .LBB2_4838
	.p2align	6
.LBB2_4837:                             ;   in Loop: Header=BB2_4835 Depth=2
	s_trap 2
	ds_read_b64 v[11:12], v0
	s_andn2_b32 s29, s29, exec_lo
	s_mov_b32 s28, 0
	s_waitcnt lgkmcnt(0)
	flat_load_dword v11, v[11:12] glc dlc
	s_waitcnt vmcnt(0) lgkmcnt(0)
	buffer_gl1_inv
	buffer_gl0_inv
	v_cmp_eq_u32_e32 vcc_lo, 0, v11
	s_and_b32 s40, vcc_lo, exec_lo
	s_or_b32 s29, s29, s40
	s_mov_b32 s41, -1
	s_or_b32 s27, s27, exec_lo
	s_and_saveexec_b32 s40, s29
	s_cbranch_execz .LBB2_4834
.LBB2_4838:                             ;   in Loop: Header=BB2_4835 Depth=2
	s_sleep 1
	s_trap 2
	ds_read_b64 v[11:12], v0
	s_waitcnt lgkmcnt(0)
	buffer_gl0_inv
	s_andn2_b32 s27, s27, exec_lo
	v_cmp_ge_u64_e32 vcc_lo, v[11:12], v[22:23]
	s_orn2_b32 s41, vcc_lo, exec_lo
	s_branch .LBB2_4834
.LBB2_4839:                             ;   in Loop: Header=BB2_3743 Depth=1
	s_inst_prefetch 0x2
	s_or_b32 exec_lo, exec_lo, s25
	s_and_saveexec_b32 s25, s26
	s_xor_b32 s25, exec_lo, s25
	s_cbranch_execz .LBB2_4841
; %bb.4840:                             ;   in Loop: Header=BB2_3743 Depth=1
	ds_write_b32 v0, v81
	s_trap 2
.LBB2_4841:                             ;   in Loop: Header=BB2_3743 Depth=1
	s_or_b32 exec_lo, exec_lo, s24
	;;#ASMSTART
	s_wakeup
	;;#ASMEND
.LBB2_4842:                             ;   in Loop: Header=BB2_3743 Depth=1
	s_or_b32 exec_lo, exec_lo, s23
.LBB2_4843:                             ;   in Loop: Header=BB2_3743 Depth=1
	s_andn2_saveexec_b32 s22, s22
	s_cbranch_execz .LBB2_4845
; %bb.4844:                             ;   in Loop: Header=BB2_3743 Depth=1
	s_waitcnt vmcnt(0) lgkmcnt(0)
	s_waitcnt_vscnt null, 0x0
	buffer_gl1_inv
	buffer_gl0_inv
	s_barrier
.LBB2_4845:                             ;   in Loop: Header=BB2_3743 Depth=1
	s_or_b32 exec_lo, exec_lo, s22
.LBB2_4846:                             ;   in Loop: Header=BB2_3743 Depth=1
	s_or_b32 exec_lo, exec_lo, s13
	s_trap 2
	ds_read_b32 v11, v0
	v_cmp_lt_i32_e32 vcc_lo, 0, v10
	s_waitcnt lgkmcnt(0)
	v_readfirstlane_b32 s13, v11
	v_and_b32_e32 v11, 16, v64
	s_cmp_eq_u32 s13, 0
	v_cmp_ne_u32_e64 s13, 0, v11
	s_cselect_b32 s22, -1, 0
	s_and_b32 s22, vcc_lo, s22
	s_and_b32 s22, s13, s22
	s_and_saveexec_b32 s13, s22
	s_cbranch_execz .LBB2_4848
; %bb.4847:                             ;   in Loop: Header=BB2_3743 Depth=1
	s_waitcnt vmcnt(0)
	s_waitcnt_vscnt null, 0x0
	buffer_gl1_inv
	buffer_gl0_inv
.LBB2_4848:                             ;   in Loop: Header=BB2_3743 Depth=1
	s_or_b32 exec_lo, exec_lo, s13
	s_mov_b32 s13, exec_lo
	v_cmpx_ne_u32_e32 0, v11
	s_cbranch_execz .LBB2_3741
; %bb.4849:                             ;   in Loop: Header=BB2_3743 Depth=1
	s_and_saveexec_b32 s22, s12
	s_cbranch_execz .LBB2_3740
; %bb.4850:                             ;   in Loop: Header=BB2_3743 Depth=1
	s_waitcnt vmcnt(0)
	s_waitcnt_vscnt null, 0x0
	flat_store_dword v[28:29], v81
	s_branch .LBB2_3740
.LBB2_4851:
	s_or_b32 exec_lo, exec_lo, s19
.LBB2_4852:
	s_or_b32 exec_lo, exec_lo, s18
.LBB2_4853:
	s_or_b32 exec_lo, exec_lo, s17
	v_and_b32_e32 v0, 0x800, v64
	s_mov_b32 s5, exec_lo
	v_cmpx_eq_u32_e32 0, v0
	s_cbranch_execz .LBB2_4886
; %bb.4854:
	v_and_b32_e32 v0, 48, v64
	s_mov_b32 s4, exec_lo
	v_cmpx_ne_u32_e32 0, v0
	s_cbranch_execz .LBB2_4856
; %bb.4855:
	s_waitcnt vmcnt(0) lgkmcnt(0)
	flat_store_dwordx2 v[16:17], v[8:9] offset:104
.LBB2_4856:
	s_or_b32 exec_lo, exec_lo, s4
	v_and_b32_e32 v0, 0x88, v64
	s_mov_b32 s6, exec_lo
	v_cmpx_eq_u32_e32 0x88, v0
	s_cbranch_execz .LBB2_4866
; %bb.4857:
	s_waitcnt vmcnt(0) lgkmcnt(0)
	v_add_nc_u32_e32 v0, -1, v8
	s_mov_b32 s7, 0
	v_and_b32_e32 v0, 7, v0
	v_mad_u64_u32 v[4:5], null, v0, 24, v[6:7]
	v_and_b32_e32 v0, 64, v64
	v_cmp_eq_u32_e64 s4, 0, v0
	flat_load_dwordx2 v[6:7], v[4:5] offset:8 glc dlc
	s_waitcnt vmcnt(0) lgkmcnt(0)
	v_cmp_ne_u64_e32 vcc_lo, -1, v[6:7]
	s_and_b32 s4, vcc_lo, s4
	s_and_b32 exec_lo, exec_lo, s4
	s_cbranch_execz .LBB2_4866
; %bb.4858:
	s_mov_b32 s11, 0
                                        ; implicit-def: $sgpr4
                                        ; implicit-def: $sgpr10
	s_inst_prefetch 0x1
	s_branch .LBB2_4861
	.p2align	6
.LBB2_4859:                             ;   in Loop: Header=BB2_4861 Depth=1
	flat_load_dwordx2 v[6:7], v[4:5] offset:8 glc dlc
	s_waitcnt vmcnt(0)
	s_andn2_b32 s10, s10, exec_lo
	s_waitcnt lgkmcnt(0)
	v_cmp_eq_u64_e32 vcc_lo, -1, v[6:7]
	s_orn2_b32 s13, vcc_lo, exec_lo
.LBB2_4860:                             ;   in Loop: Header=BB2_4861 Depth=1
	s_or_b32 exec_lo, exec_lo, s14
	s_and_b32 s12, exec_lo, s13
	s_or_b32 s7, s12, s7
	s_andn2_b32 s4, s4, exec_lo
	s_and_b32 s12, s10, exec_lo
	s_or_b32 s4, s4, s12
	s_andn2_b32 exec_lo, exec_lo, s7
	s_cbranch_execz .LBB2_4864
.LBB2_4861:                             ; =>This Inner Loop Header: Depth=1
	s_cmpk_lt_i32 s11, 0x270f
	s_cselect_b32 s12, -1, 0
	s_and_b32 vcc_lo, exec_lo, s12
	s_cbranch_vccnz .LBB2_4863
; %bb.4862:                             ;   in Loop: Header=BB2_4861 Depth=1
	s_trap 2
	ds_read_b64 v[6:7], v0
	s_andn2_b32 s12, s12, exec_lo
	s_mov_b32 s11, 0
	s_waitcnt lgkmcnt(0)
	s_waitcnt_vscnt null, 0x0
	flat_load_dword v0, v[6:7] glc dlc
	s_waitcnt vmcnt(0) lgkmcnt(0)
	buffer_gl1_inv
	buffer_gl0_inv
	v_cmp_eq_u32_e32 vcc_lo, 0, v0
	s_and_b32 s13, vcc_lo, exec_lo
	s_or_b32 s12, s12, s13
	s_mov_b32 s13, -1
	s_or_b32 s10, s10, exec_lo
	s_and_saveexec_b32 s14, s12
	s_cbranch_execz .LBB2_4860
	s_branch .LBB2_4859
	.p2align	6
.LBB2_4863:                             ;   in Loop: Header=BB2_4861 Depth=1
	s_add_i32 s11, s11, 1
                                        ; implicit-def: $vgpr0
	s_mov_b32 s13, -1
	s_or_b32 s10, s10, exec_lo
	s_and_saveexec_b32 s14, s12
	s_cbranch_execz .LBB2_4860
	s_branch .LBB2_4859
.LBB2_4864:
	s_inst_prefetch 0x2
	s_or_b32 exec_lo, exec_lo, s7
	s_and_saveexec_b32 s7, s4
	s_xor_b32 s7, exec_lo, s7
	s_cbranch_execz .LBB2_4866
; %bb.4865:
	s_waitcnt_vscnt null, 0x0
	ds_write_b32 v0, v0
	s_trap 2
.LBB2_4866:
	s_or_b32 exec_lo, exec_lo, s6
	v_and_b32_e32 v0, 0x2000, v64
	s_mov_b32 s4, exec_lo
	v_cmpx_ne_u32_e32 0, v0
	s_cbranch_execz .LBB2_4868
; %bb.4867:
	s_trap 2
	ds_read_b64 v[4:5], v0
	s_waitcnt lgkmcnt(0)
	flat_store_dwordx2 v[2:3], v[4:5] offset:16
.LBB2_4868:
	s_or_b32 exec_lo, exec_lo, s4
	v_cmp_ne_u32_e32 vcc_lo, 32, v1
	s_and_b32 exec_lo, exec_lo, vcc_lo
	s_cbranch_execz .LBB2_4886
; %bb.4869:
	s_waitcnt vmcnt(0)
	v_cmp_ne_u32_sdwa s4, v1, v30 src0_sel:DWORD src1_sel:WORD_0
	s_and_saveexec_b32 s6, s4
	s_xor_b32 s4, exec_lo, s6
	s_cbranch_execz .LBB2_4884
; %bb.4870:
	v_and_b32_e32 v0, 31, v31
	s_mov_b32 s6, exec_lo
	v_cmpx_eq_u32_e32 0, v0
	s_cbranch_execz .LBB2_4883
; %bb.4871:
	s_mov_b32 s10, exec_lo
	s_mov_b32 s7, exec_lo
	v_mbcnt_lo_u32_b32 v0, s10, 0
	s_waitcnt lgkmcnt(0)
	s_waitcnt_vscnt null, 0x0
	buffer_gl1_inv
	buffer_gl0_inv
	v_cmpx_eq_u32_e32 0, v0
	s_cbranch_execz .LBB2_4873
; %bb.4872:
	s_bcnt1_i32_b32 s10, s10
	v_mov_b32_e32 v3, 0
	v_mov_b32_e32 v2, s10
	ds_add_u64 v0, v[2:3]
	s_trap 2
.LBB2_4873:
	s_or_b32 exec_lo, exec_lo, s7
	s_trap 2
	ds_read_b64 v[2:3], v0
	s_waitcnt lgkmcnt(0)
	buffer_gl0_inv
	v_lshrrev_b32_e32 v0, 5, v1
	s_mov_b32 s7, exec_lo
	v_add_co_u32 v0, vcc_lo, v22, v0
	v_add_co_ci_u32_e64 v1, null, 0, v23, vcc_lo
	v_cmpx_lt_u64_e64 v[2:3], v[0:1]
	s_cbranch_execz .LBB2_4882
; %bb.4874:
	s_mov_b32 s10, 0
	s_mov_b32 s13, 0
                                        ; implicit-def: $sgpr11
                                        ; implicit-def: $sgpr12
	s_inst_prefetch 0x1
	s_branch .LBB2_4876
	.p2align	6
.LBB2_4875:                             ;   in Loop: Header=BB2_4876 Depth=1
	s_or_b32 exec_lo, exec_lo, s16
	s_and_b32 s14, exec_lo, s17
	s_or_b32 s10, s14, s10
	s_andn2_b32 s11, s11, exec_lo
	s_and_b32 s14, s12, exec_lo
	s_or_b32 s11, s11, s14
	s_andn2_b32 exec_lo, exec_lo, s10
	s_cbranch_execz .LBB2_4880
.LBB2_4876:                             ; =>This Inner Loop Header: Depth=1
	s_add_i32 s13, s13, 1
	s_cmpk_lg_i32 s13, 0x2710
	s_cselect_b32 s14, -1, 0
	s_and_b32 vcc_lo, exec_lo, s14
	s_cbranch_vccz .LBB2_4878
; %bb.4877:                             ;   in Loop: Header=BB2_4876 Depth=1
	s_mov_b32 s17, -1
	s_or_b32 s12, s12, exec_lo
	s_and_saveexec_b32 s16, s14
	s_cbranch_execz .LBB2_4875
	s_branch .LBB2_4879
.LBB2_4878:                             ;   in Loop: Header=BB2_4876 Depth=1
	s_trap 2
	ds_read_b64 v[2:3], v0
	s_andn2_b32 s14, s14, exec_lo
	s_mov_b32 s13, 0
	s_waitcnt lgkmcnt(0)
	flat_load_dword v2, v[2:3] glc dlc
	s_waitcnt vmcnt(0) lgkmcnt(0)
	buffer_gl1_inv
	buffer_gl0_inv
	v_cmp_eq_u32_e32 vcc_lo, 0, v2
	s_and_b32 s16, vcc_lo, exec_lo
	s_or_b32 s14, s14, s16
	s_mov_b32 s17, -1
	s_or_b32 s12, s12, exec_lo
	s_and_saveexec_b32 s16, s14
	s_cbranch_execz .LBB2_4875
.LBB2_4879:                             ;   in Loop: Header=BB2_4876 Depth=1
	s_sleep 1
	s_trap 2
	ds_read_b64 v[2:3], v0
	s_waitcnt lgkmcnt(0)
	buffer_gl0_inv
	s_andn2_b32 s12, s12, exec_lo
	v_cmp_ge_u64_e32 vcc_lo, v[2:3], v[0:1]
	s_orn2_b32 s17, vcc_lo, exec_lo
	s_branch .LBB2_4875
.LBB2_4880:
	s_inst_prefetch 0x2
	s_or_b32 exec_lo, exec_lo, s10
	s_and_saveexec_b32 s10, s11
	s_xor_b32 s10, exec_lo, s10
	s_cbranch_execz .LBB2_4882
; %bb.4881:
	v_mov_b32_e32 v0, 1
	ds_write_b32 v0, v0
	s_trap 2
.LBB2_4882:
	s_or_b32 exec_lo, exec_lo, s7
	;;#ASMSTART
	s_wakeup
	;;#ASMEND
.LBB2_4883:
	s_or_b32 exec_lo, exec_lo, s6
.LBB2_4884:
	s_andn2_saveexec_b32 s4, s4
	s_cbranch_execz .LBB2_4886
; %bb.4885:
	s_waitcnt lgkmcnt(0)
	s_waitcnt_vscnt null, 0x0
	buffer_gl1_inv
	buffer_gl0_inv
	s_barrier
.LBB2_4886:
	s_or_b32 exec_lo, exec_lo, s5
.LBB2_4887:
	s_andn2_saveexec_b32 s25, s15
	s_cbranch_execz .LBB2_4889
; %bb.4888:
	s_getpc_b64 s[4:5]
	s_add_u32 s4, s4, __PRETTY_FUNCTION__._ZN10PrimitivesI11rccl_float813FuncPreMulSumIS0_E12FanSymmetricILi1EELi0E11ProtoSimpleILi1ELi1ELi0ELi1ELi0ELi0EELi0ELb0ELi0ELi0ELi0EEC2EiiPKiS9_PKvPvmhhhP15ncclDevWorkCollP14ncclDevWorkP2pii@rel32@lo+4
	s_addc_u32 s5, s5, __PRETTY_FUNCTION__._ZN10PrimitivesI11rccl_float813FuncPreMulSumIS0_E12FanSymmetricILi1EELi0E11ProtoSimpleILi1ELi1ELi0ELi1ELi0ELi0EELi0ELb0ELi0ELi0ELi0EEC2EiiPKiS9_PKvPvmhhhP15ncclDevWorkCollP14ncclDevWorkP2pii@rel32@hi+12
	v_mov_b32_e32 v0, s4
	v_mov_b32_e32 v1, s5
	s_getpc_b64 s[6:7]
	s_add_u32 s6, s6, __assert_fail@rel32@lo+4
	s_addc_u32 s7, s7, __assert_fail@rel32@hi+12
	s_swappc_b64 s[30:31], s[6:7]
	; divergent unreachable
.LBB2_4889:
	s_or_b32 exec_lo, exec_lo, s25
	s_clause 0x10
	buffer_load_dword v72, off, s[0:3], s33
	buffer_load_dword v63, off, s[0:3], s33 offset:4
	buffer_load_dword v62, off, s[0:3], s33 offset:8
	;; [unrolled: 1-line block ×16, first 2 shown]
	v_readlane_b32 s30, v73, 0
	v_readlane_b32 s31, v73, 1
	s_mov_b32 s32, s33
	s_or_saveexec_b32 s4, -1
	buffer_load_dword v73, off, s[0:3], s33 offset:68 ; 4-byte Folded Reload
	s_mov_b32 exec_lo, s4
	s_mov_b32 s33, s47
	s_waitcnt vmcnt(0) lgkmcnt(0)
	s_setpc_b64 s[30:31]
.Lfunc_end2:
	.size	_ZN12_GLOBAL__N_17runRingI11rccl_float813FuncPreMulSumIS1_E11ProtoSimpleILi1ELi1ELi0ELi1ELi0ELi0EELi0ELi1ELi0EEEviiP15ncclDevWorkColl, .Lfunc_end2-_ZN12_GLOBAL__N_17runRingI11rccl_float813FuncPreMulSumIS1_E11ProtoSimpleILi1ELi1ELi0ELi1ELi0ELi0EELi0ELi1ELi0EEEviiP15ncclDevWorkColl
                                        ; -- End function
	.set .L_ZN12_GLOBAL__N_17runRingI11rccl_float813FuncPreMulSumIS1_E11ProtoSimpleILi1ELi1ELi0ELi1ELi0ELi0EELi0ELi1ELi0EEEviiP15ncclDevWorkColl.num_vgpr, max(120, .L__assert_fail.num_vgpr)
	.set .L_ZN12_GLOBAL__N_17runRingI11rccl_float813FuncPreMulSumIS1_E11ProtoSimpleILi1ELi1ELi0ELi1ELi0ELi0EELi0ELi1ELi0EEEviiP15ncclDevWorkColl.num_agpr, max(0, .L__assert_fail.num_agpr)
	.set .L_ZN12_GLOBAL__N_17runRingI11rccl_float813FuncPreMulSumIS1_E11ProtoSimpleILi1ELi1ELi0ELi1ELi0ELi0EELi0ELi1ELi0EEEviiP15ncclDevWorkColl.numbered_sgpr, max(48, .L__assert_fail.numbered_sgpr)
	.set .L_ZN12_GLOBAL__N_17runRingI11rccl_float813FuncPreMulSumIS1_E11ProtoSimpleILi1ELi1ELi0ELi1ELi0ELi0EELi0ELi1ELi0EEEviiP15ncclDevWorkColl.num_named_barrier, max(0, .L__assert_fail.num_named_barrier)
	.set .L_ZN12_GLOBAL__N_17runRingI11rccl_float813FuncPreMulSumIS1_E11ProtoSimpleILi1ELi1ELi0ELi1ELi0ELi0EELi0ELi1ELi0EEEviiP15ncclDevWorkColl.private_seg_size, 80+max(.L__assert_fail.private_seg_size)
	.set .L_ZN12_GLOBAL__N_17runRingI11rccl_float813FuncPreMulSumIS1_E11ProtoSimpleILi1ELi1ELi0ELi1ELi0ELi0EELi0ELi1ELi0EEEviiP15ncclDevWorkColl.uses_vcc, or(1, .L__assert_fail.uses_vcc)
	.set .L_ZN12_GLOBAL__N_17runRingI11rccl_float813FuncPreMulSumIS1_E11ProtoSimpleILi1ELi1ELi0ELi1ELi0ELi0EELi0ELi1ELi0EEEviiP15ncclDevWorkColl.uses_flat_scratch, or(1, .L__assert_fail.uses_flat_scratch)
	.set .L_ZN12_GLOBAL__N_17runRingI11rccl_float813FuncPreMulSumIS1_E11ProtoSimpleILi1ELi1ELi0ELi1ELi0ELi0EELi0ELi1ELi0EEEviiP15ncclDevWorkColl.has_dyn_sized_stack, or(0, .L__assert_fail.has_dyn_sized_stack)
	.set .L_ZN12_GLOBAL__N_17runRingI11rccl_float813FuncPreMulSumIS1_E11ProtoSimpleILi1ELi1ELi0ELi1ELi0ELi0EELi0ELi1ELi0EEEviiP15ncclDevWorkColl.has_recursion, or(1, .L__assert_fail.has_recursion)
	.set .L_ZN12_GLOBAL__N_17runRingI11rccl_float813FuncPreMulSumIS1_E11ProtoSimpleILi1ELi1ELi0ELi1ELi0ELi0EELi0ELi1ELi0EEEviiP15ncclDevWorkColl.has_indirect_call, or(0, .L__assert_fail.has_indirect_call)
	.section	.AMDGPU.csdata,"",@progbits
; Function info:
; codeLenInByte = 174824
; TotalNumSgprs: 50
; NumVgprs: 120
; ScratchSize: 144
; MemoryBound: 1
	.text
	.p2align	2                               ; -- Begin function _Z53ncclDevFunc_Reduce_RING_SIMPLE_PreMulSum_f8e4m3_0_0_1v
	.type	_Z53ncclDevFunc_Reduce_RING_SIMPLE_PreMulSum_f8e4m3_0_0_1v,@function
_Z53ncclDevFunc_Reduce_RING_SIMPLE_PreMulSum_f8e4m3_0_0_1v: ; @_Z53ncclDevFunc_Reduce_RING_SIMPLE_PreMulSum_f8e4m3_0_0_1v
; %bb.0:
	s_waitcnt vmcnt(0) expcnt(0) lgkmcnt(0)
	s_mov_b32 s61, s33
	s_mov_b32 s33, s32
	s_or_saveexec_b32 s4, -1
	buffer_store_dword v43, off, s[0:3], s33 offset:16 ; 4-byte Folded Spill
	s_mov_b32 exec_lo, s4
	s_addk_i32 s32, 0x400
	buffer_store_dword v40, off, s[0:3], s33 offset:12 ; 4-byte Folded Spill
	buffer_store_dword v41, off, s[0:3], s33 offset:8 ; 4-byte Folded Spill
	buffer_store_dword v42, off, s[0:3], s33 offset:4 ; 4-byte Folded Spill
	buffer_store_dword v73, off, s[0:3], s33 ; 4-byte Folded Spill
	v_writelane_b32 v43, s34, 0
	v_writelane_b32 v43, s35, 1
	v_writelane_b32 v43, s30, 2
	v_writelane_b32 v43, s31, 3
	s_trap 2
	ds_read_b32 v0, v0
	v_mov_b32_e32 v40, v31
	s_mov_b32 s58, s12
	s_mov_b64 s[56:57], s[8:9]
	s_mov_b32 s4, exec_lo
	v_and_b32_e32 v41, 0x3ff, v40
	s_waitcnt lgkmcnt(0)
	v_cmpx_lt_i32_e64 v41, v0
	s_cbranch_execz .LBB3_5
; %bb.1:
	s_load_dword s5, s[56:57], 0x0
	v_mov_b32_e32 v1, 0
	v_mov_b32_e32 v3, v41
                                        ; implicit-def: $vgpr4
	s_waitcnt lgkmcnt(0)
	s_cmp_lt_u32 s58, s5
	s_cselect_b32 s5, 12, 18
	s_add_u32 s6, s56, s5
	s_addc_u32 s7, s57, 0
	s_mov_b32 s5, 0
	global_load_ushort v1, v1, s[6:7]
	s_trap 2
	ds_read_b32 v2, v0
	s_mov_b32 s6, 0
	s_waitcnt vmcnt(0) lgkmcnt(0)
	v_mul_lo_u32 v2, v2, v1
	s_branch .LBB3_3
	.p2align	6
.LBB3_2:                                ;   in Loop: Header=BB3_3 Depth=1
	s_or_b32 exec_lo, exec_lo, s7
	v_add_nc_u32_e32 v3, v3, v1
	v_add_nc_u32_e32 v4, v4, v2
	v_cmp_ge_i32_e32 vcc_lo, v3, v0
	s_or_b32 s6, vcc_lo, s6
	s_andn2_b32 exec_lo, exec_lo, s6
	s_cbranch_execz .LBB3_5
.LBB3_3:                                ; =>This Inner Loop Header: Depth=1
	ds_read_b32 v5, v4
	s_mov_b32 s7, exec_lo
	s_waitcnt lgkmcnt(0)
	v_and_b32_e32 v5, 0x1000000, v5
	v_cmpx_ne_u32_e32 0, v5
	s_cbranch_execz .LBB3_2
; %bb.4:                                ;   in Loop: Header=BB3_3 Depth=1
	ds_read_b64 v[5:6], v4 offset:104
	s_waitcnt lgkmcnt(0)
	flat_load_ubyte v5, v[5:6]
	v_mov_b32_e32 v6, s5
	s_waitcnt vmcnt(0) lgkmcnt(0)
	v_and_b32_e32 v5, 0xffff, v5
	ds_write_b64 v4, v[5:6] offset:104
	s_branch .LBB3_2
.LBB3_5:
	s_or_b32 exec_lo, exec_lo, s4
	s_waitcnt lgkmcnt(0)
	s_waitcnt_vscnt null, 0x0
	s_barrier
	buffer_gl0_inv
	s_trap 2
	ds_read_b32 v0, v0
	s_waitcnt lgkmcnt(0)
	v_cmp_gt_i32_e32 vcc_lo, 1, v0
	s_cbranch_vccnz .LBB3_13
; %bb.6:
	v_mov_b32_e32 v42, 5
	s_mov_b32 s59, 0
	s_inst_prefetch 0x1
	s_branch .LBB3_8
	.p2align	6
.LBB3_7:                                ;   in Loop: Header=BB3_8 Depth=1
	s_or_b32 exec_lo, exec_lo, s60
	s_trap 2
	ds_read_b32 v0, v0
	s_add_i32 s59, s59, 1
	s_waitcnt lgkmcnt(0)
	v_cmp_lt_i32_e32 vcc_lo, s59, v0
	s_cbranch_vccz .LBB3_13
.LBB3_8:                                ; =>This Inner Loop Header: Depth=1
	s_trap 2
	ds_read_b32 v0, v0
	s_cmp_eq_u32 s59, 0
	s_cbranch_scc1 .LBB3_11
; %bb.9:                                ;   in Loop: Header=BB3_8 Depth=1
	s_trap 2
	s_waitcnt lgkmcnt(0)
	ds_read_b32 v1, v0
	s_waitcnt lgkmcnt(0)
	v_xor_b32_e32 v1, v1, v0
	v_and_b32_e32 v1, 0xff0000, v1
	v_cmp_eq_u32_e32 vcc_lo, 0, v1
	s_cbranch_vccnz .LBB3_11
; %bb.10:                               ;   in Loop: Header=BB3_8 Depth=1
	s_barrier
	buffer_gl0_inv
	ds_read_b32 v0, v0
.LBB3_11:                               ;   in Loop: Header=BB3_8 Depth=1
	s_waitcnt lgkmcnt(0)
	v_lshlrev_b32_sdwa v1, v42, v0 dst_sel:DWORD dst_unused:UNUSED_PAD src0_sel:DWORD src1_sel:BYTE_2
	s_mov_b32 s60, exec_lo
	v_cmpx_lt_u32_e64 v41, v1
	s_cbranch_execz .LBB3_7
; %bb.12:                               ;   in Loop: Header=BB3_8 Depth=1
	s_mov_b64 s[4:5], src_shared_base
	v_mov_b32_e32 v31, v40
	v_mov_b32_e32 v0, v41
	;; [unrolled: 1-line block ×3, first 2 shown]
	s_getpc_b64 s[6:7]
	s_add_u32 s6, s6, _ZN12_GLOBAL__N_17runRingI11rccl_float813FuncPreMulSumIS1_E11ProtoSimpleILi1ELi1ELi0ELi1ELi0ELi0EELi0ELi1ELi0EEEviiP15ncclDevWorkColl@rel32@lo+4
	s_addc_u32 s7, s7, _ZN12_GLOBAL__N_17runRingI11rccl_float813FuncPreMulSumIS1_E11ProtoSimpleILi1ELi1ELi0ELi1ELi0ELi0EELi0ELi1ELi0EEEviiP15ncclDevWorkColl@rel32@hi+12
	s_mov_b64 s[8:9], s[56:57]
	s_mov_b32 s12, s58
	s_swappc_b64 s[30:31], s[6:7]
	s_branch .LBB3_7
.LBB3_13:
	s_inst_prefetch 0x2
	s_clause 0x3
	buffer_load_dword v73, off, s[0:3], s33
	buffer_load_dword v42, off, s[0:3], s33 offset:4
	buffer_load_dword v41, off, s[0:3], s33 offset:8
	;; [unrolled: 1-line block ×3, first 2 shown]
	v_readlane_b32 s30, v43, 2
	v_readlane_b32 s31, v43, 3
	;; [unrolled: 1-line block ×4, first 2 shown]
	s_mov_b32 s32, s33
	s_or_saveexec_b32 s4, -1
	buffer_load_dword v43, off, s[0:3], s33 offset:16 ; 4-byte Folded Reload
	s_mov_b32 exec_lo, s4
	s_mov_b32 s33, s61
	s_waitcnt vmcnt(0)
	s_setpc_b64 s[30:31]
.Lfunc_end3:
	.size	_Z53ncclDevFunc_Reduce_RING_SIMPLE_PreMulSum_f8e4m3_0_0_1v, .Lfunc_end3-_Z53ncclDevFunc_Reduce_RING_SIMPLE_PreMulSum_f8e4m3_0_0_1v
                                        ; -- End function
	.set .L_Z53ncclDevFunc_Reduce_RING_SIMPLE_PreMulSum_f8e4m3_0_0_1v.num_vgpr, max(74, .L_ZN12_GLOBAL__N_17runRingI11rccl_float813FuncPreMulSumIS1_E11ProtoSimpleILi1ELi1ELi0ELi1ELi0ELi0EELi0ELi1ELi0EEEviiP15ncclDevWorkColl.num_vgpr)
	.set .L_Z53ncclDevFunc_Reduce_RING_SIMPLE_PreMulSum_f8e4m3_0_0_1v.num_agpr, max(0, .L_ZN12_GLOBAL__N_17runRingI11rccl_float813FuncPreMulSumIS1_E11ProtoSimpleILi1ELi1ELi0ELi1ELi0ELi0EELi0ELi1ELi0EEEviiP15ncclDevWorkColl.num_agpr)
	.set .L_Z53ncclDevFunc_Reduce_RING_SIMPLE_PreMulSum_f8e4m3_0_0_1v.numbered_sgpr, max(62, .L_ZN12_GLOBAL__N_17runRingI11rccl_float813FuncPreMulSumIS1_E11ProtoSimpleILi1ELi1ELi0ELi1ELi0ELi0EELi0ELi1ELi0EEEviiP15ncclDevWorkColl.numbered_sgpr)
	.set .L_Z53ncclDevFunc_Reduce_RING_SIMPLE_PreMulSum_f8e4m3_0_0_1v.num_named_barrier, max(0, .L_ZN12_GLOBAL__N_17runRingI11rccl_float813FuncPreMulSumIS1_E11ProtoSimpleILi1ELi1ELi0ELi1ELi0ELi0EELi0ELi1ELi0EEEviiP15ncclDevWorkColl.num_named_barrier)
	.set .L_Z53ncclDevFunc_Reduce_RING_SIMPLE_PreMulSum_f8e4m3_0_0_1v.private_seg_size, 32+max(.L_ZN12_GLOBAL__N_17runRingI11rccl_float813FuncPreMulSumIS1_E11ProtoSimpleILi1ELi1ELi0ELi1ELi0ELi0EELi0ELi1ELi0EEEviiP15ncclDevWorkColl.private_seg_size)
	.set .L_Z53ncclDevFunc_Reduce_RING_SIMPLE_PreMulSum_f8e4m3_0_0_1v.uses_vcc, or(1, .L_ZN12_GLOBAL__N_17runRingI11rccl_float813FuncPreMulSumIS1_E11ProtoSimpleILi1ELi1ELi0ELi1ELi0ELi0EELi0ELi1ELi0EEEviiP15ncclDevWorkColl.uses_vcc)
	.set .L_Z53ncclDevFunc_Reduce_RING_SIMPLE_PreMulSum_f8e4m3_0_0_1v.uses_flat_scratch, or(0, .L_ZN12_GLOBAL__N_17runRingI11rccl_float813FuncPreMulSumIS1_E11ProtoSimpleILi1ELi1ELi0ELi1ELi0ELi0EELi0ELi1ELi0EEEviiP15ncclDevWorkColl.uses_flat_scratch)
	.set .L_Z53ncclDevFunc_Reduce_RING_SIMPLE_PreMulSum_f8e4m3_0_0_1v.has_dyn_sized_stack, or(0, .L_ZN12_GLOBAL__N_17runRingI11rccl_float813FuncPreMulSumIS1_E11ProtoSimpleILi1ELi1ELi0ELi1ELi0ELi0EELi0ELi1ELi0EEEviiP15ncclDevWorkColl.has_dyn_sized_stack)
	.set .L_Z53ncclDevFunc_Reduce_RING_SIMPLE_PreMulSum_f8e4m3_0_0_1v.has_recursion, or(1, .L_ZN12_GLOBAL__N_17runRingI11rccl_float813FuncPreMulSumIS1_E11ProtoSimpleILi1ELi1ELi0ELi1ELi0ELi0EELi0ELi1ELi0EEEviiP15ncclDevWorkColl.has_recursion)
	.set .L_Z53ncclDevFunc_Reduce_RING_SIMPLE_PreMulSum_f8e4m3_0_0_1v.has_indirect_call, or(0, .L_ZN12_GLOBAL__N_17runRingI11rccl_float813FuncPreMulSumIS1_E11ProtoSimpleILi1ELi1ELi0ELi1ELi0ELi0EELi0ELi1ELi0EEEviiP15ncclDevWorkColl.has_indirect_call)
	.section	.AMDGPU.csdata,"",@progbits
; Function info:
; codeLenInByte = 744
; TotalNumSgprs: 64
; NumVgprs: 120
; ScratchSize: 176
; MemoryBound: 0
	.text
	.p2align	2                               ; -- Begin function _ZN12_GLOBAL__N_17runRingI11rccl_float813FuncPreMulSumIS1_E11ProtoSimpleILi1ELi1ELi0ELi2ELi0ELi0EELi0ELi2ELi0EEEviiP15ncclDevWorkColl
	.type	_ZN12_GLOBAL__N_17runRingI11rccl_float813FuncPreMulSumIS1_E11ProtoSimpleILi1ELi1ELi0ELi2ELi0ELi0EELi0ELi2ELi0EEEviiP15ncclDevWorkColl,@function
_ZN12_GLOBAL__N_17runRingI11rccl_float813FuncPreMulSumIS1_E11ProtoSimpleILi1ELi1ELi0ELi2ELi0ELi0EELi0ELi2ELi0EEEviiP15ncclDevWorkColl: ; @_ZN12_GLOBAL__N_17runRingI11rccl_float813FuncPreMulSumIS1_E11ProtoSimpleILi1ELi1ELi0ELi2ELi0ELi0EELi0ELi2ELi0EEEviiP15ncclDevWorkColl
; %bb.0:
	s_waitcnt vmcnt(0) expcnt(0) lgkmcnt(0)
	s_mov_b32 s47, s33
	s_mov_b32 s33, s32
	s_or_saveexec_b32 s4, -1
	buffer_store_dword v127, off, s[0:3], s33 offset:188 ; 4-byte Folded Spill
	s_mov_b32 exec_lo, s4
	s_addk_i32 s32, 0x1a00
	buffer_store_dword v40, off, s[0:3], s33 offset:184 ; 4-byte Folded Spill
	buffer_store_dword v41, off, s[0:3], s33 offset:180 ; 4-byte Folded Spill
	;; [unrolled: 1-line block ×46, first 2 shown]
	buffer_store_dword v126, off, s[0:3], s33 ; 4-byte Folded Spill
	v_writelane_b32 v127, s30, 0
	v_writelane_b32 v127, s31, 1
	s_trap 2
	ds_read_b64 v[14:15], v0
	ds_read_b32 v6, v0
	flat_load_dwordx2 v[8:9], v[2:3]
                                        ; implicit-def: $vgpr26_vgpr27
                                        ; implicit-def: $vgpr18_vgpr19
	s_waitcnt lgkmcnt(2)
	v_ashrrev_i32_e32 v5, 31, v15
	v_mov_b32_e32 v4, v15
	v_lshlrev_b64 v[4:5], 2, v[4:5]
	v_add_co_u32 v4, vcc_lo, v14, v4
	v_add_co_ci_u32_e64 v5, null, v15, v5, vcc_lo
	v_add_co_u32 v4, vcc_lo, -4, v4
	v_add_co_ci_u32_e64 v5, null, -1, v5, vcc_lo
	flat_load_ushort v16, v[2:3] offset:8
	flat_load_dword v39, v[4:5]
                                        ; implicit-def: $vgpr4_vgpr5
	s_waitcnt vmcnt(2) lgkmcnt(2)
	v_mov_b32_e32 v15, v9
	v_cmp_ne_u32_sdwa s4, v6, v8 src0_sel:DWORD src1_sel:BYTE_0
	s_and_saveexec_b32 s5, s4
	s_xor_b32 s4, exec_lo, s5
	s_cbranch_execz .LBB4_6
; %bb.1:
	v_not_b32_sdwa v9, v8 dst_sel:DWORD dst_unused:UNUSED_PAD src0_sel:BYTE_0
	v_cmp_ne_u32_sdwa s5, v6, v8 src0_sel:DWORD src1_sel:BYTE_1
                                        ; implicit-def: $vgpr26_vgpr27
                                        ; implicit-def: $vgpr4_vgpr5
                                        ; implicit-def: $vgpr18_vgpr19
	s_and_saveexec_b32 s6, s5
	s_xor_b32 s5, exec_lo, s6
	s_cbranch_execz .LBB4_3
; %bb.2:
	s_clause 0x1
	flat_load_dwordx4 v[10:13], v[2:3] offset:72
	flat_load_dwordx2 v[4:5], v[2:3] offset:96
	v_add_nc_u32_e32 v6, v6, v9
                                        ; implicit-def: $vgpr8
                                        ; implicit-def: $vgpr9
	v_ashrrev_i32_e32 v7, 31, v6
	s_waitcnt vmcnt(1) lgkmcnt(1)
	v_mul_lo_u32 v7, v12, v7
	v_mad_u64_u32 v[18:19], null, v12, v6, v[10:11]
	v_mul_lo_u32 v6, v13, v6
	s_waitcnt vmcnt(0) lgkmcnt(0)
	v_lshrrev_b64 v[26:27], 12, v[4:5]
	v_mov_b32_e32 v4, v12
	v_mov_b32_e32 v5, v13
	v_add3_u32 v19, v6, v19, v7
.LBB4_3:
	s_andn2_saveexec_b32 s5, s5
	s_cbranch_execz .LBB4_5
; %bb.4:
	s_clause 0x1
	flat_load_dwordx4 v[10:13], v[2:3] offset:72
	flat_load_dwordx4 v[4:7], v[2:3] offset:88
	s_waitcnt vmcnt(0) lgkmcnt(0)
	v_add_nc_u32_sdwa v6, v8, v9 dst_sel:DWORD dst_unused:UNUSED_PAD src0_sel:BYTE_1 src1_sel:DWORD
	v_ashrrev_i32_e32 v8, 31, v6
	v_mul_lo_u32 v8, v12, v8
	v_mad_u64_u32 v[18:19], null, v12, v6, v[10:11]
	v_mul_lo_u32 v6, v13, v6
	v_lshrrev_b32_e32 v26, 1, v7
	v_add3_u32 v19, v6, v19, v8
.LBB4_5:
	s_or_b32 exec_lo, exec_lo, s5
.LBB4_6:
	s_andn2_saveexec_b32 s4, s4
	s_cbranch_execz .LBB4_8
; %bb.7:
	s_clause 0x1
	flat_load_dwordx2 v[6:7], v[2:3] offset:96
	flat_load_dwordx2 v[4:5], v[2:3] offset:72
	v_mov_b32_e32 v18, 0
	v_mov_b32_e32 v19, 0
	s_waitcnt vmcnt(1) lgkmcnt(1)
	v_lshlrev_b64 v[26:27], 9, v[6:7]
.LBB4_8:
	s_or_b32 exec_lo, exec_lo, s4
	s_trap 2
	ds_read_b64 v[6:7], v0
	s_mov_b32 s5, exec_lo
	s_waitcnt lgkmcnt(0)
	v_cmp_ne_u32_e32 vcc_lo, -1, v6
	v_cndmask_b32_e64 v38, 0, 1, vcc_lo
	v_cmp_ne_u32_e32 vcc_lo, -1, v7
	v_add_co_ci_u32_e64 v6, null, 0, v38, vcc_lo
	v_lshlrev_b32_e32 v7, 1, v6
	v_cmpx_le_u32_e64 v7, v1
	s_xor_b32 s15, exec_lo, s5
	s_cbranch_execnz .LBB4_9
; %bb.7450:
	s_getpc_b64 s[34:35]
.Lpost_getpc2:
	s_add_u32 s34, s34, (.LBB4_7447-.Lpost_getpc2)&4294967295
	s_addc_u32 s35, s35, (.LBB4_7447-.Lpost_getpc2)>>32
	s_setpc_b64 s[34:35]
.LBB4_9:
	s_clause 0x1
	flat_load_dwordx4 v[10:13], v[2:3] offset:16
	flat_load_dwordx2 v[32:33], v[2:3] offset:104
	s_trap 2
	s_load_dword s4, s[8:9], 0x0
	v_mov_b32_e32 v2, 0
	v_mov_b32_e32 v68, 4
	s_waitcnt lgkmcnt(0)
	s_cmp_lt_u32 s12, s4
	s_cselect_b32 s4, 12, 18
	s_add_u32 s4, s8, s4
	s_addc_u32 s5, s9, 0
	global_load_ushort v30, v2, s[4:5]
	ds_read_b32 v2, v0
	s_mov_b32 s5, exec_lo
	s_waitcnt lgkmcnt(0)
	v_readfirstlane_b32 s16, v2
	v_cmpx_ge_u32_e64 v0, v38
	s_cbranch_execz .LBB4_19
; %bb.10:
	v_cmp_ge_u32_e64 s4, v0, v6
                                        ; implicit-def: $vgpr68
	s_and_saveexec_b32 s6, s4
	s_xor_b32 s4, exec_lo, s6
	s_cbranch_execz .LBB4_16
; %bb.11:
	v_cndmask_b32_e64 v2, 0, 1, vcc_lo
	s_mov_b32 s6, exec_lo
	v_sub_nc_u32_e32 v2, v1, v2
	v_cmpx_ge_u32_e64 v0, v2
	s_xor_b32 s6, exec_lo, s6
; %bb.12:
                                        ; implicit-def: $vgpr6
; %bb.13:
	s_or_saveexec_b32 s6, s6
	v_mov_b32_e32 v68, 16
	s_xor_b32 exec_lo, exec_lo, s6
; %bb.14:
	v_sub_nc_u32_e32 v2, v1, v6
	v_cmp_lt_i32_e32 vcc_lo, v0, v2
	v_cndmask_b32_e64 v68, 32, 0, vcc_lo
; %bb.15:
	s_or_b32 exec_lo, exec_lo, s6
.LBB4_16:
	s_andn2_saveexec_b32 s4, s4
; %bb.17:
	v_mov_b32_e32 v68, 8
; %bb.18:
	s_or_b32 exec_lo, exec_lo, s4
.LBB4_19:
	s_or_b32 exec_lo, exec_lo, s5
	v_and_b32_e32 v2, 36, v68
	v_mov_b32_e32 v36, -1
	v_cmp_ne_u32_e32 vcc_lo, 0, v2
	s_and_saveexec_b32 s4, vcc_lo
	s_cbranch_execz .LBB4_21
; %bb.20:
	s_trap 2
	ds_read_b32 v36, v0
.LBB4_21:
	s_or_b32 exec_lo, exec_lo, s4
	v_and_b32_e32 v2, 24, v68
	s_mov_b32 s5, exec_lo
	v_cmpx_ne_u32_e32 0, v2
	s_cbranch_execz .LBB4_23
; %bb.22:
	s_trap 2
	s_waitcnt lgkmcnt(0)
	ds_read_b32 v36, v0
.LBB4_23:
	s_or_b32 exec_lo, exec_lo, s5
	s_waitcnt vmcnt(4)
	v_lshrrev_b64 v[2:3], 31, v[15:16]
	v_mov_b32_e32 v20, 0
	v_mov_b32_e32 v6, 0
	;; [unrolled: 1-line block ×3, first 2 shown]
	s_waitcnt lgkmcnt(0)
	v_ashrrev_i32_e32 v37, 31, v36
	v_mov_b32_e32 v7, 0
	v_and_b32_e32 v2, 3, v2
                                        ; implicit-def: $vgpr69
                                        ; implicit-def: $vgpr28_vgpr29
                                        ; implicit-def: $vgpr24_vgpr25
                                        ; implicit-def: $vgpr22_vgpr23
	v_and_b32_e32 v27, 0xffff, v2
                                        ; implicit-def: $vgpr2_vgpr3
	s_and_saveexec_b32 s4, vcc_lo
	s_cbranch_execz .LBB4_33
; %bb.24:
	s_trap 2
	ds_read_b64 v[2:3], v0
	v_lshlrev_b64 v[6:7], 3, v[36:37]
	s_waitcnt lgkmcnt(0)
	v_add_co_u32 v2, vcc_lo, v2, v6
	v_add_co_ci_u32_e64 v3, null, v3, v7, vcc_lo
	flat_load_dwordx2 v[2:3], v[2:3]
	s_waitcnt vmcnt(0) lgkmcnt(0)
	v_mad_u64_u32 v[16:17], null, 0xa8, v27, v[2:3]
	flat_load_dword v2, v[16:17] offset:640
	s_waitcnt vmcnt(0) lgkmcnt(0)
	v_cmp_eq_u32_e32 vcc_lo, 1, v2
                                        ; implicit-def: $vgpr2_vgpr3
	s_and_saveexec_b32 s5, vcc_lo
	s_cbranch_execz .LBB4_26
; %bb.25:
	flat_load_dwordx2 v[2:3], v[16:17] offset:648
	v_or_b32_e32 v68, 0x2000, v68
	s_waitcnt vmcnt(0) lgkmcnt(0)
	flat_load_dwordx2 v[6:7], v[2:3]
	s_trap 2
	s_waitcnt vmcnt(0) lgkmcnt(0)
	ds_write_b64 v0, v[6:7]
	flat_load_dwordx2 v[6:7], v[2:3] offset:8
	s_waitcnt vmcnt(0) lgkmcnt(0)
	ds_write_b64 v0, v[6:7]
	flat_load_dwordx2 v[6:7], v[2:3] offset:16
	s_waitcnt vmcnt(0) lgkmcnt(0)
	ds_write_b64 v0, v[6:7]
.LBB4_26:
	s_or_b32 exec_lo, exec_lo, s5
	flat_load_dwordx2 v[8:9], v[16:17] offset:608
	v_and_b32_e32 v6, 32, v68
	s_mov_b32 s5, exec_lo
                                        ; implicit-def: $vgpr22_vgpr23
	v_cmpx_ne_u32_e32 0, v6
	s_cbranch_execz .LBB4_28
; %bb.27:
	flat_load_dwordx2 v[22:23], v[16:17] offset:560
	s_waitcnt vmcnt(0) lgkmcnt(0)
	s_waitcnt_vscnt null, 0x0
	flat_store_dwordx2 v[22:23], v[8:9]
.LBB4_28:
	s_or_b32 exec_lo, exec_lo, s5
	v_and_b32_e32 v24, 4, v68
	v_add_co_u32 v20, vcc_lo, 0x1f8, v16
	v_mov_b32_e32 v6, 0
	v_add_co_ci_u32_e64 v21, null, 0, v17, vcc_lo
	v_mov_b32_e32 v7, 0
	v_cmp_ne_u32_e32 vcc_lo, 0, v24
                                        ; implicit-def: $vgpr69
                                        ; implicit-def: $vgpr28_vgpr29
                                        ; implicit-def: $vgpr24_vgpr25
	s_and_saveexec_b32 s5, vcc_lo
	s_cbranch_execz .LBB4_32
; %bb.29:
	v_and_b32_e32 v6, 0x800, v68
	s_mov_b32 s6, exec_lo
	v_cmpx_eq_u32_e32 0, v6
	s_cbranch_execz .LBB4_31
; %bb.30:
	s_trap 2
	ds_write_b64 v0, v[20:21]
.LBB4_31:
	s_or_b32 exec_lo, exec_lo, s6
	flat_load_dwordx2 v[22:23], v[16:17] offset:552
	s_waitcnt vmcnt(0) lgkmcnt(0)
	flat_load_dwordx2 v[28:29], v[22:23] glc dlc
	s_clause 0x2
	flat_load_dwordx2 v[6:7], v[16:17] offset:600
	flat_load_dword v69, v[16:17] offset:576
	flat_load_dwordx2 v[24:25], v[16:17] offset:520
	v_or_b32_e32 v16, 0x100, v68
	s_waitcnt vmcnt(2) lgkmcnt(2)
	v_cmp_eq_u64_e32 vcc_lo, 0, v[6:7]
	v_cndmask_b32_e32 v68, v16, v68, vcc_lo
.LBB4_32:
	s_or_b32 exec_lo, exec_lo, s5
.LBB4_33:
	s_or_b32 exec_lo, exec_lo, s4
	v_and_b32_e32 v16, 24, v68
	s_mov_b32 s4, exec_lo
                                        ; implicit-def: $vgpr34_vgpr35
	v_cmpx_ne_u32_e32 0, v16
	s_cbranch_execz .LBB4_41
; %bb.34:
	s_trap 2
	ds_read_b64 v[6:7], v0
	s_waitcnt vmcnt(0) lgkmcnt(1)
	v_lshlrev_b64 v[8:9], 3, v[36:37]
	v_or_b32_e32 v16, 0x100, v68
	s_mov_b32 s5, exec_lo
                                        ; implicit-def: $vgpr34_vgpr35
	s_waitcnt lgkmcnt(0)
	v_add_co_u32 v6, vcc_lo, v6, v8
	v_add_co_ci_u32_e64 v7, null, v7, v9, vcc_lo
	flat_load_dwordx2 v[6:7], v[6:7]
	s_waitcnt vmcnt(0) lgkmcnt(0)
	v_mad_u64_u32 v[20:21], null, 0xa8, v27, v[6:7]
	flat_load_dwordx4 v[6:9], v[20:21] offset:96
	s_waitcnt vmcnt(0) lgkmcnt(0)
	v_cmp_eq_u64_e32 vcc_lo, 0, v[6:7]
	v_cndmask_b32_e32 v68, v16, v68, vcc_lo
	v_and_b32_e32 v16, 16, v68
	v_cmpx_ne_u32_e32 0, v16
	s_cbranch_execz .LBB4_36
; %bb.35:
	s_clause 0x2
	flat_load_dwordx2 v[22:23], v[20:21] offset:48
	flat_load_dwordx2 v[34:35], v[20:21] offset:120
	flat_load_dwordx2 v[24:25], v[20:21] offset:16
.LBB4_36:
	s_or_b32 exec_lo, exec_lo, s5
	v_and_b32_e32 v16, 8, v68
	s_mov_b32 s5, exec_lo
	v_cmpx_ne_u32_e32 0, v16
	s_cbranch_execz .LBB4_40
; %bb.37:
	v_and_b32_e32 v16, 0x800, v68
	s_mov_b32 s6, exec_lo
	v_cmpx_eq_u32_e32 0, v16
	s_cbranch_execz .LBB4_39
; %bb.38:
	s_trap 2
	ds_write_b64 v0, v[20:21]
.LBB4_39:
	s_or_b32 exec_lo, exec_lo, s6
	s_waitcnt vmcnt(2) lgkmcnt(2)
	flat_load_dwordx2 v[22:23], v[20:21] offset:56
	s_waitcnt vmcnt(0) lgkmcnt(0)
	flat_load_dwordx2 v[28:29], v[22:23] glc dlc
	s_clause 0x1
	flat_load_dword v69, v[20:21] offset:72
	flat_load_dwordx2 v[24:25], v[20:21] offset:16
.LBB4_40:
	s_or_b32 exec_lo, exec_lo, s5
.LBB4_41:
	s_or_b32 exec_lo, exec_lo, s4
	v_cmp_eq_u32_e64 s4, 0, v0
	s_and_saveexec_b32 s5, s4
	s_cbranch_execz .LBB4_43
; %bb.42:
	v_mov_b32_e32 v16, 0
	s_waitcnt vmcnt(2)
	ds_write2_b64 v0, v[12:13], v[10:11] offset1:1
	s_trap 2
	v_mov_b32_e32 v17, v16
	ds_write_b64 v0, v[16:17]
	s_waitcnt vmcnt(1)
	ds_write_b64 v0, v[32:33]
.LBB4_43:
	s_or_b32 exec_lo, exec_lo, s5
	s_waitcnt vmcnt(2)
	v_bfe_u32 v10, v15, 1, 30
	s_waitcnt vmcnt(1)
	v_and_b32_e32 v32, 0x3ffffe00, v26
	v_mov_b32_e32 v33, 0
                                        ; implicit-def: $vgpr26_vgpr27
	s_mov_b32 s5, exec_lo
	v_cmpx_ne_u32_e64 v39, v10
	s_xor_b32 s17, exec_lo, s5
	s_cbranch_execnz .LBB4_44
; %bb.7452:
	s_getpc_b64 s[34:35]
.Lpost_getpc3:
	s_add_u32 s34, s34, (.LBB4_5657-.Lpost_getpc3)&4294967295
	s_addc_u32 s35, s35, (.LBB4_5657-.Lpost_getpc3)>>32
	s_setpc_b64 s[34:35]
.LBB4_44:
                                        ; implicit-def: $vgpr26_vgpr27
	s_mov_b32 s5, exec_lo
	v_cmpx_ne_u32_e64 v14, v10
	s_xor_b32 s18, exec_lo, s5
	s_cbranch_execz .LBB4_2856
; %bb.45:
	v_mov_b32_e32 v26, 0
	v_mov_b32_e32 v27, 0
	s_mov_b32 s19, exec_lo
	v_cmpx_ne_u64_e32 0, v[4:5]
	s_cbranch_execz .LBB4_2855
; %bb.46:
	v_and_b32_e32 v10, 31, v31
	v_lshrrev_b32_e32 v71, 5, v0
	v_and_b32_e32 v80, 31, v0
	v_lshrrev_b32_e32 v81, 5, v1
	s_ashr_i32 s6, s16, 31
	v_cmp_eq_u32_e64 s7, 0, v10
	v_lshlrev_b32_e32 v10, 10, v71
	s_lshr_b32 s6, s6, 24
	v_cmp_eq_u32_e32 vcc_lo, 32, v1
	v_cmp_le_u32_e64 s10, v80, v38
	v_cmp_lt_u32_e64 s11, v80, v38
	v_mov_b32_e32 v38, 0
	s_waitcnt lgkmcnt(1)
	v_cmp_eq_u64_e64 s12, 0, v[34:35]
	v_mov_b32_e32 v26, 0
	v_cmp_ge_u32_e64 s5, v0, v1
	v_ashrrev_i32_e32 v70, 31, v69
	s_add_i32 s13, s16, s6
	v_cmp_ne_u32_e64 s6, 32, v1
	s_waitcnt vmcnt(0)
	v_cmp_ne_u32_sdwa s20, v1, v30 src0_sel:DWORD src1_sel:WORD_0
	v_mov_b32_e32 v36, 0
	v_lshl_or_b32 v82, v80, 4, v10
	v_lshlrev_b32_e32 v83, 10, v81
	v_lshlrev_b32_e32 v84, 9, v81
	v_and_b32_e32 v85, 0x1fe0, v1
	v_mov_b32_e32 v39, 0
	v_mov_b32_e32 v86, 1
	;; [unrolled: 1-line block ×10, first 2 shown]
	s_ashr_i32 s22, s13, 8
	s_mov_b32 s21, 0
	s_xor_b32 s23, vcc_lo, -1
	s_trap 2
	s_branch .LBB4_49
.LBB4_47:                               ;   in Loop: Header=BB4_49 Depth=1
	s_or_b32 exec_lo, exec_lo, s13
.LBB4_48:                               ;   in Loop: Header=BB4_49 Depth=1
	s_or_b32 exec_lo, exec_lo, s14
	v_add_co_u32 v38, vcc_lo, v38, v32
	v_add_co_ci_u32_e64 v39, null, 0, v39, vcc_lo
	v_cmp_ge_u64_e32 vcc_lo, v[38:39], v[4:5]
	s_or_b32 s21, vcc_lo, s21
	s_andn2_b32 exec_lo, exec_lo, s21
	s_cbranch_execz .LBB4_2854
.LBB4_49:                               ; =>This Loop Header: Depth=1
                                        ;     Child Loop BB4_58 Depth 2
                                        ;     Child Loop BB4_86 Depth 2
	;; [unrolled: 1-line block ×10, first 2 shown]
	v_sub_co_u32 v10, vcc_lo, v4, v38
	v_sub_co_ci_u32_e64 v11, null, v5, v39, vcc_lo
	v_cmp_lt_u64_e32 vcc_lo, v[32:33], v[10:11]
	v_cndmask_b32_e32 v48, v10, v32, vcc_lo
	v_cndmask_b32_e64 v49, v11, 0, vcc_lo
	v_add_nc_u32_e32 v10, 15, v48
	v_cmp_eq_u64_e32 vcc_lo, 0, v[48:49]
	v_and_b32_e32 v10, 0x7ffffff0, v10
	s_or_b32 s24, s5, vcc_lo
	s_xor_b32 s13, s24, -1
	v_max_i32_e32 v49, s22, v10
	v_mov_b32_e32 v10, 0
	s_and_saveexec_b32 s25, s13
	s_cbranch_execz .LBB4_2802
; %bb.50:                               ;   in Loop: Header=BB4_49 Depth=1
	s_and_saveexec_b32 s13, s4
	s_cbranch_execz .LBB4_52
; %bb.51:                               ;   in Loop: Header=BB4_49 Depth=1
	s_trap 2
	ds_read_b64 v[10:11], v0
	v_mov_b32_e32 v37, v36
	s_waitcnt lgkmcnt(0)
	v_add_co_u32 v10, vcc_lo, v10, v18
	v_add_co_ci_u32_e64 v11, null, v11, v19, vcc_lo
	v_add_co_u32 v10, vcc_lo, v10, v38
	v_add_co_ci_u32_e64 v11, null, v11, v39, vcc_lo
	ds_write_b64 v0, v[10:11]
	ds_write_b64 v0, v[36:37]
.LBB4_52:                               ;   in Loop: Header=BB4_49 Depth=1
	s_or_b32 exec_lo, exec_lo, s13
	v_and_b32_e32 v10, 12, v68
	v_min_u32_e32 v49, v49, v48
	s_mov_b32 s14, exec_lo
	v_cmpx_ne_u32_e32 0, v10
	s_cbranch_execz .LBB4_78
; %bb.53:                               ;   in Loop: Header=BB4_49 Depth=1
	v_and_b32_e32 v14, 8, v68
	s_mov_b32 s26, exec_lo
	s_waitcnt vmcnt(0)
	v_add_co_u32 v12, vcc_lo, v28, v14
	v_add_co_ci_u32_e64 v13, null, 0, v29, vcc_lo
	s_waitcnt lgkmcnt(0)
	v_add_co_u32 v10, vcc_lo, v8, 1
	v_add_co_ci_u32_e64 v11, null, 0, v9, vcc_lo
	v_cmpx_lt_u64_e64 v[12:13], v[10:11]
	s_cbranch_execz .LBB4_65
; %bb.54:                               ;   in Loop: Header=BB4_49 Depth=1
	v_and_b32_e32 v9, 64, v68
	s_mov_b32 s27, 0
	s_mov_b32 s41, 0
                                        ; implicit-def: $sgpr28
                                        ; implicit-def: $sgpr29
                                        ; implicit-def: $sgpr40
	v_cmp_eq_u32_e32 vcc_lo, 0, v9
	s_branch .LBB4_58
.LBB4_55:                               ;   in Loop: Header=BB4_58 Depth=2
	s_waitcnt vmcnt(0) lgkmcnt(0)
	v_add_co_u32 v12, s13, v28, v14
	v_add_co_ci_u32_e64 v13, null, 0, v29, s13
	s_or_b32 s44, s44, exec_lo
	v_cmp_ge_u64_e64 s13, v[12:13], v[10:11]
	s_orn2_b32 s43, s13, exec_lo
.LBB4_56:                               ;   in Loop: Header=BB4_58 Depth=2
	s_or_b32 exec_lo, exec_lo, s46
	s_andn2_b32 s13, s40, exec_lo
	s_and_b32 s40, s44, exec_lo
	s_andn2_b32 s29, s29, exec_lo
	s_and_b32 s43, s43, exec_lo
	s_or_b32 s40, s13, s40
	s_or_b32 s29, s29, s43
.LBB4_57:                               ;   in Loop: Header=BB4_58 Depth=2
	s_or_b32 exec_lo, exec_lo, s42
	s_and_b32 s13, exec_lo, s29
	s_or_b32 s27, s13, s27
	s_andn2_b32 s13, s28, exec_lo
	s_and_b32 s28, s40, exec_lo
	s_or_b32 s28, s13, s28
	s_andn2_b32 exec_lo, exec_lo, s27
	s_cbranch_execz .LBB4_62
.LBB4_58:                               ;   Parent Loop BB4_49 Depth=1
                                        ; =>  This Inner Loop Header: Depth=2
	s_sleep 1
	s_waitcnt vmcnt(0) lgkmcnt(0)
	flat_load_dwordx2 v[28:29], v[22:23] glc dlc
	s_or_b32 s40, s40, exec_lo
	s_or_b32 s29, s29, exec_lo
                                        ; implicit-def: $vgpr9
	s_and_saveexec_b32 s42, vcc_lo
	s_cbranch_execz .LBB4_57
; %bb.59:                               ;   in Loop: Header=BB4_58 Depth=2
	s_cmpk_lt_i32 s41, 0x270f
	s_mov_b32 s43, -1
	s_cselect_b32 s45, -1, 0
	s_cmpk_gt_i32 s41, 0x270e
	s_cbranch_scc0 .LBB4_61
; %bb.60:                               ;   in Loop: Header=BB4_58 Depth=2
	s_trap 2
	ds_read_b64 v[12:13], v0
	s_andn2_b32 s41, s45, exec_lo
	s_mov_b32 s44, 0
	s_waitcnt vmcnt(0) lgkmcnt(0)
	s_waitcnt_vscnt null, 0x0
	flat_load_dword v9, v[12:13] glc dlc
	s_waitcnt vmcnt(0) lgkmcnt(0)
	buffer_gl1_inv
	buffer_gl0_inv
	v_cmp_eq_u32_e64 s13, 0, v9
	s_and_b32 s13, s13, exec_lo
	s_or_b32 s45, s41, s13
	s_mov_b32 s41, 0
	s_and_saveexec_b32 s46, s45
	s_cbranch_execz .LBB4_56
	s_branch .LBB4_55
.LBB4_61:                               ;   in Loop: Header=BB4_58 Depth=2
	s_add_i32 s41, s41, 1
	s_mov_b32 s44, -1
                                        ; implicit-def: $vgpr9
	s_and_saveexec_b32 s46, s45
	s_cbranch_execz .LBB4_56
	s_branch .LBB4_55
.LBB4_62:                               ;   in Loop: Header=BB4_49 Depth=1
	s_or_b32 exec_lo, exec_lo, s27
	s_xor_b32 s13, s28, -1
	s_and_saveexec_b32 s27, s13
	s_xor_b32 s13, exec_lo, s27
	s_cbranch_execz .LBB4_64
; %bb.63:                               ;   in Loop: Header=BB4_49 Depth=1
	v_or_b32_e32 v68, 64, v68
	s_waitcnt vmcnt(0) lgkmcnt(0)
	s_waitcnt_vscnt null, 0x0
	ds_write_b32 v0, v9
	s_trap 2
.LBB4_64:                               ;   in Loop: Header=BB4_49 Depth=1
	s_or_b32 exec_lo, exec_lo, s13
.LBB4_65:                               ;   in Loop: Header=BB4_49 Depth=1
	s_or_b32 exec_lo, exec_lo, s26
	v_and_b32_e32 v9, 0x108, v68
	v_and_b32_e32 v15, 7, v8
	s_mov_b32 s13, exec_lo
	;;#ASMSTART
	s_wakeup
	;;#ASMEND
	v_cmpx_ne_u32_e32 0x108, v9
	s_xor_b32 s13, exec_lo, s13
                                        ; implicit-def: $vgpr16
; %bb.66:                               ;   in Loop: Header=BB4_49 Depth=1
	v_mov_b32_e32 v16, v36
; %bb.67:                               ;   in Loop: Header=BB4_49 Depth=1
	s_andn2_saveexec_b32 s13, s13
	s_cbranch_execz .LBB4_69
; %bb.68:                               ;   in Loop: Header=BB4_49 Depth=1
	v_mad_u64_u32 v[8:9], null, v15, 24, v[6:7]
	v_mov_b32_e32 v50, v36
	v_mov_b32_e32 v16, v36
	flat_store_dwordx2 v[8:9], v[49:50] offset:8
.LBB4_69:                               ;   in Loop: Header=BB4_49 Depth=1
	s_or_b32 exec_lo, exec_lo, s13
	v_and_b32_e32 v8, 0x100, v68
	s_mov_b32 s13, -1
	v_cmp_ne_u32_e32 vcc_lo, 0, v8
                                        ; implicit-def: $vgpr8_vgpr9
	s_and_saveexec_b32 s26, vcc_lo
	s_cbranch_execz .LBB4_73
; %bb.70:                               ;   in Loop: Header=BB4_49 Depth=1
	v_mad_u64_u32 v[12:13], null, v15, 24, v[6:7]
	v_mov_b32_e32 v8, v13
	v_mad_u64_u32 v[8:9], null, v16, 24, v[8:9]
	v_mov_b32_e32 v13, v8
	flat_load_dword v8, v[12:13]
	s_waitcnt vmcnt(0) lgkmcnt(0)
	v_cmp_eq_u32_e64 s13, 1, v8
	v_cmp_ne_u32_e32 vcc_lo, 1, v8
                                        ; implicit-def: $vgpr8_vgpr9
	s_and_saveexec_b32 s27, s13
	s_cbranch_execz .LBB4_72
; %bb.71:                               ;   in Loop: Header=BB4_49 Depth=1
	flat_load_dword v8, v[12:13] offset:4 glc dlc
	s_waitcnt vmcnt(0) lgkmcnt(0)
	v_ashrrev_i32_e32 v9, 31, v8
.LBB4_72:                               ;   in Loop: Header=BB4_49 Depth=1
	s_or_b32 exec_lo, exec_lo, s27
	s_orn2_b32 s13, vcc_lo, exec_lo
.LBB4_73:                               ;   in Loop: Header=BB4_49 Depth=1
	s_or_b32 exec_lo, exec_lo, s26
	s_and_saveexec_b32 s26, s13
; %bb.74:                               ;   in Loop: Header=BB4_49 Depth=1
	v_mul_lo_u32 v12, v16, v69
	v_mul_lo_u32 v13, v15, v70
	v_mad_u64_u32 v[8:9], null, v15, v69, 0
	v_add3_u32 v9, v9, v13, v12
; %bb.75:                               ;   in Loop: Header=BB4_49 Depth=1
	s_or_b32 exec_lo, exec_lo, s26
	v_cmp_eq_u32_e32 vcc_lo, 0, v14
	v_and_b32_e32 v13, 0x2000, v68
	s_mov_b32 s13, exec_lo
	v_cndmask_b32_e32 v12, 0xc8, v87, vcc_lo
	v_add_co_u32 v8, vcc_lo, v24, v8
	v_add_co_ci_u32_e64 v9, null, v25, v9, vcc_lo
	v_add_nc_u32_e32 v12, v0, v12
	ds_write_b64 v12, v[8:9] offset:584
	v_cmpx_ne_u32_e32 0, v13
	s_cbranch_execz .LBB4_77
; %bb.76:                               ;   in Loop: Header=BB4_49 Depth=1
	ds_read_b64 v[8:9], v0 offset:872
	s_waitcnt lgkmcnt(0)
	v_add_co_u32 v8, vcc_lo, v8, 1
	v_add_co_ci_u32_e64 v9, null, 0, v9, vcc_lo
	ds_write_b64 v0, v[8:9] offset:872
.LBB4_77:                               ;   in Loop: Header=BB4_49 Depth=1
	s_or_b32 exec_lo, exec_lo, s13
	v_mov_b32_e32 v8, v10
	v_mov_b32_e32 v9, v11
.LBB4_78:                               ;   in Loop: Header=BB4_49 Depth=1
	s_or_b32 exec_lo, exec_lo, s14
	s_and_saveexec_b32 s13, s6
	s_cbranch_execz .LBB4_97
; %bb.79:                               ;   in Loop: Header=BB4_49 Depth=1
	s_and_saveexec_b32 s14, s20
	s_xor_b32 s14, exec_lo, s14
	s_cbranch_execz .LBB4_94
; %bb.80:                               ;   in Loop: Header=BB4_49 Depth=1
	s_and_saveexec_b32 s26, s7
	s_cbranch_execz .LBB4_93
; %bb.81:                               ;   in Loop: Header=BB4_49 Depth=1
	s_mov_b32 s28, exec_lo
	s_mov_b32 s27, exec_lo
	v_mbcnt_lo_u32_b32 v10, s28, 0
	s_waitcnt vmcnt(0) lgkmcnt(0)
	s_waitcnt_vscnt null, 0x0
	buffer_gl1_inv
	buffer_gl0_inv
	v_cmpx_eq_u32_e32 0, v10
	s_cbranch_execz .LBB4_83
; %bb.82:                               ;   in Loop: Header=BB4_49 Depth=1
	s_bcnt1_i32_b32 s28, s28
	v_mov_b32_e32 v11, v36
	v_mov_b32_e32 v10, s28
	ds_add_u64 v0, v[10:11]
	s_trap 2
.LBB4_83:                               ;   in Loop: Header=BB4_49 Depth=1
	s_or_b32 exec_lo, exec_lo, s27
	s_trap 2
	ds_read_b64 v[10:11], v0
	s_waitcnt lgkmcnt(0)
	buffer_gl0_inv
	v_add_co_u32 v26, vcc_lo, v26, v81
	v_add_co_ci_u32_e64 v27, null, 0, v27, vcc_lo
	s_mov_b32 s27, exec_lo
	v_cmpx_lt_u64_e64 v[10:11], v[26:27]
	s_cbranch_execz .LBB4_92
; %bb.84:                               ;   in Loop: Header=BB4_49 Depth=1
	s_mov_b32 s28, 0
	s_mov_b32 s41, 0
                                        ; implicit-def: $sgpr29
                                        ; implicit-def: $sgpr40
	s_inst_prefetch 0x1
	s_branch .LBB4_86
	.p2align	6
.LBB4_85:                               ;   in Loop: Header=BB4_86 Depth=2
	s_or_b32 exec_lo, exec_lo, s43
	s_and_b32 s42, exec_lo, s44
	s_or_b32 s28, s42, s28
	s_andn2_b32 s29, s29, exec_lo
	s_and_b32 s42, s40, exec_lo
	s_or_b32 s29, s29, s42
	s_andn2_b32 exec_lo, exec_lo, s28
	s_cbranch_execz .LBB4_90
.LBB4_86:                               ;   Parent Loop BB4_49 Depth=1
                                        ; =>  This Inner Loop Header: Depth=2
	s_add_i32 s41, s41, 1
	s_cmpk_lg_i32 s41, 0x2710
	s_cselect_b32 s42, -1, 0
	s_and_b32 vcc_lo, exec_lo, s42
	s_cbranch_vccz .LBB4_88
; %bb.87:                               ;   in Loop: Header=BB4_86 Depth=2
	s_mov_b32 s44, -1
	s_or_b32 s40, s40, exec_lo
	s_and_saveexec_b32 s43, s42
	s_cbranch_execz .LBB4_85
	s_branch .LBB4_89
	.p2align	6
.LBB4_88:                               ;   in Loop: Header=BB4_86 Depth=2
	s_trap 2
	ds_read_b64 v[10:11], v0
	s_andn2_b32 s42, s42, exec_lo
	s_mov_b32 s41, 0
	s_waitcnt lgkmcnt(0)
	flat_load_dword v10, v[10:11] glc dlc
	s_waitcnt vmcnt(0) lgkmcnt(0)
	buffer_gl1_inv
	buffer_gl0_inv
	v_cmp_eq_u32_e32 vcc_lo, 0, v10
	s_and_b32 s43, vcc_lo, exec_lo
	s_or_b32 s42, s42, s43
	s_mov_b32 s44, -1
	s_or_b32 s40, s40, exec_lo
	s_and_saveexec_b32 s43, s42
	s_cbranch_execz .LBB4_85
.LBB4_89:                               ;   in Loop: Header=BB4_86 Depth=2
	s_sleep 1
	s_trap 2
	ds_read_b64 v[10:11], v0
	s_waitcnt lgkmcnt(0)
	buffer_gl0_inv
	s_andn2_b32 s40, s40, exec_lo
	v_cmp_ge_u64_e32 vcc_lo, v[10:11], v[26:27]
	s_orn2_b32 s44, vcc_lo, exec_lo
	s_branch .LBB4_85
.LBB4_90:                               ;   in Loop: Header=BB4_49 Depth=1
	s_inst_prefetch 0x2
	s_or_b32 exec_lo, exec_lo, s28
	s_and_saveexec_b32 s28, s29
	s_xor_b32 s28, exec_lo, s28
	s_cbranch_execz .LBB4_92
; %bb.91:                               ;   in Loop: Header=BB4_49 Depth=1
	ds_write_b32 v0, v86
	s_trap 2
.LBB4_92:                               ;   in Loop: Header=BB4_49 Depth=1
	s_or_b32 exec_lo, exec_lo, s27
	;;#ASMSTART
	s_wakeup
	;;#ASMEND
.LBB4_93:                               ;   in Loop: Header=BB4_49 Depth=1
	s_or_b32 exec_lo, exec_lo, s26
.LBB4_94:                               ;   in Loop: Header=BB4_49 Depth=1
	s_andn2_saveexec_b32 s14, s14
	s_cbranch_execz .LBB4_96
; %bb.95:                               ;   in Loop: Header=BB4_49 Depth=1
	s_waitcnt vmcnt(0) lgkmcnt(0)
	s_waitcnt_vscnt null, 0x0
	buffer_gl1_inv
	buffer_gl0_inv
	s_barrier
.LBB4_96:                               ;   in Loop: Header=BB4_49 Depth=1
	s_or_b32 exec_lo, exec_lo, s14
.LBB4_97:                               ;   in Loop: Header=BB4_49 Depth=1
	s_or_b32 exec_lo, exec_lo, s13
	s_trap 2
	ds_read_b32 v10, v0
	v_and_b32_e32 v11, 0x4000, v68
	v_cmp_ne_u32_e32 vcc_lo, 0, v11
	s_and_b32 s14, s23, vcc_lo
	s_and_saveexec_b32 s13, s14
	s_cbranch_execz .LBB4_116
; %bb.98:                               ;   in Loop: Header=BB4_49 Depth=1
	s_and_saveexec_b32 s14, s20
	s_xor_b32 s14, exec_lo, s14
	s_cbranch_execz .LBB4_113
; %bb.99:                               ;   in Loop: Header=BB4_49 Depth=1
	s_and_saveexec_b32 s26, s7
	s_cbranch_execz .LBB4_112
; %bb.100:                              ;   in Loop: Header=BB4_49 Depth=1
	s_mov_b32 s28, exec_lo
	s_mov_b32 s27, exec_lo
	v_mbcnt_lo_u32_b32 v11, s28, 0
	s_waitcnt vmcnt(0) lgkmcnt(0)
	s_waitcnt_vscnt null, 0x0
	buffer_gl1_inv
	buffer_gl0_inv
	v_cmpx_eq_u32_e32 0, v11
	s_cbranch_execz .LBB4_102
; %bb.101:                              ;   in Loop: Header=BB4_49 Depth=1
	s_bcnt1_i32_b32 s28, s28
	v_mov_b32_e32 v12, v36
	v_mov_b32_e32 v11, s28
	ds_add_u64 v0, v[11:12]
	s_trap 2
.LBB4_102:                              ;   in Loop: Header=BB4_49 Depth=1
	s_or_b32 exec_lo, exec_lo, s27
	s_trap 2
	ds_read_b64 v[11:12], v0
	s_waitcnt lgkmcnt(0)
	buffer_gl0_inv
	v_add_co_u32 v26, vcc_lo, v26, v81
	v_add_co_ci_u32_e64 v27, null, 0, v27, vcc_lo
	s_mov_b32 s27, exec_lo
	v_cmpx_lt_u64_e64 v[11:12], v[26:27]
	s_cbranch_execz .LBB4_111
; %bb.103:                              ;   in Loop: Header=BB4_49 Depth=1
	s_mov_b32 s28, 0
	s_mov_b32 s41, 0
                                        ; implicit-def: $sgpr29
                                        ; implicit-def: $sgpr40
	s_inst_prefetch 0x1
	s_branch .LBB4_105
	.p2align	6
.LBB4_104:                              ;   in Loop: Header=BB4_105 Depth=2
	s_or_b32 exec_lo, exec_lo, s43
	s_and_b32 s42, exec_lo, s44
	s_or_b32 s28, s42, s28
	s_andn2_b32 s29, s29, exec_lo
	s_and_b32 s42, s40, exec_lo
	s_or_b32 s29, s29, s42
	s_andn2_b32 exec_lo, exec_lo, s28
	s_cbranch_execz .LBB4_109
.LBB4_105:                              ;   Parent Loop BB4_49 Depth=1
                                        ; =>  This Inner Loop Header: Depth=2
	s_add_i32 s41, s41, 1
	s_cmpk_lg_i32 s41, 0x2710
	s_cselect_b32 s42, -1, 0
	s_and_b32 vcc_lo, exec_lo, s42
	s_cbranch_vccz .LBB4_107
; %bb.106:                              ;   in Loop: Header=BB4_105 Depth=2
	s_mov_b32 s44, -1
	s_or_b32 s40, s40, exec_lo
	s_and_saveexec_b32 s43, s42
	s_cbranch_execz .LBB4_104
	s_branch .LBB4_108
	.p2align	6
.LBB4_107:                              ;   in Loop: Header=BB4_105 Depth=2
	s_trap 2
	ds_read_b64 v[11:12], v0
	s_andn2_b32 s42, s42, exec_lo
	s_mov_b32 s41, 0
	s_waitcnt lgkmcnt(0)
	flat_load_dword v11, v[11:12] glc dlc
	s_waitcnt vmcnt(0) lgkmcnt(0)
	buffer_gl1_inv
	buffer_gl0_inv
	v_cmp_eq_u32_e32 vcc_lo, 0, v11
	s_and_b32 s43, vcc_lo, exec_lo
	s_or_b32 s42, s42, s43
	s_mov_b32 s44, -1
	s_or_b32 s40, s40, exec_lo
	s_and_saveexec_b32 s43, s42
	s_cbranch_execz .LBB4_104
.LBB4_108:                              ;   in Loop: Header=BB4_105 Depth=2
	s_sleep 1
	s_trap 2
	ds_read_b64 v[11:12], v0
	s_waitcnt lgkmcnt(0)
	buffer_gl0_inv
	s_andn2_b32 s40, s40, exec_lo
	v_cmp_ge_u64_e32 vcc_lo, v[11:12], v[26:27]
	s_orn2_b32 s44, vcc_lo, exec_lo
	s_branch .LBB4_104
.LBB4_109:                              ;   in Loop: Header=BB4_49 Depth=1
	s_inst_prefetch 0x2
	s_or_b32 exec_lo, exec_lo, s28
	s_and_saveexec_b32 s28, s29
	s_xor_b32 s28, exec_lo, s28
	s_cbranch_execz .LBB4_111
; %bb.110:                              ;   in Loop: Header=BB4_49 Depth=1
	ds_write_b32 v0, v86
	s_trap 2
.LBB4_111:                              ;   in Loop: Header=BB4_49 Depth=1
	s_or_b32 exec_lo, exec_lo, s27
	;;#ASMSTART
	s_wakeup
	;;#ASMEND
.LBB4_112:                              ;   in Loop: Header=BB4_49 Depth=1
	s_or_b32 exec_lo, exec_lo, s26
.LBB4_113:                              ;   in Loop: Header=BB4_49 Depth=1
	s_andn2_saveexec_b32 s14, s14
	s_cbranch_execz .LBB4_115
; %bb.114:                              ;   in Loop: Header=BB4_49 Depth=1
	s_waitcnt vmcnt(0) lgkmcnt(0)
	s_waitcnt_vscnt null, 0x0
	buffer_gl1_inv
	buffer_gl0_inv
	s_barrier
.LBB4_115:                              ;   in Loop: Header=BB4_49 Depth=1
	s_or_b32 exec_lo, exec_lo, s14
.LBB4_116:                              ;   in Loop: Header=BB4_49 Depth=1
	s_or_b32 exec_lo, exec_lo, s13
	s_trap 2
	ds_read_b64 v[50:51], v0
	s_waitcnt lgkmcnt(0)
	v_cmp_eq_u64_e32 vcc_lo, 0, v[50:51]
	s_cbranch_vccnz .LBB4_124
; %bb.117:                              ;   in Loop: Header=BB4_49 Depth=1
	s_trap 2
	ds_read_b64 v[52:53], v0
	s_waitcnt lgkmcnt(0)
	v_cmp_eq_u64_e32 vcc_lo, 0, v[52:53]
	s_cbranch_vccnz .LBB4_124
; %bb.118:                              ;   in Loop: Header=BB4_49 Depth=1
	s_mov_b32 s13, -1
	s_and_saveexec_b32 s14, s10
	s_cbranch_execz .LBB4_120
; %bb.119:                              ;   in Loop: Header=BB4_49 Depth=1
	ds_read_b32 v11, v0 offset:720
	s_waitcnt lgkmcnt(0)
	v_and_b32_e32 v11, 15, v11
	v_cmp_eq_u32_e32 vcc_lo, 0, v11
	s_orn2_b32 s13, vcc_lo, exec_lo
.LBB4_120:                              ;   in Loop: Header=BB4_49 Depth=1
	s_or_b32 exec_lo, exec_lo, s14
	s_and_saveexec_b32 s14, s11
	s_cbranch_execz .LBB4_122
; %bb.121:                              ;   in Loop: Header=BB4_49 Depth=1
	ds_read_b32 v11, v0 offset:784
	s_waitcnt lgkmcnt(0)
	v_and_b32_e32 v11, 15, v11
	v_cmp_eq_u32_e32 vcc_lo, 0, v11
	s_and_b32 s26, s13, vcc_lo
	s_andn2_b32 s13, s13, exec_lo
	s_and_b32 s26, s26, exec_lo
	s_or_b32 s13, s13, s26
.LBB4_122:                              ;   in Loop: Header=BB4_49 Depth=1
	s_or_b32 exec_lo, exec_lo, s14
	v_cmp_eq_u32_e32 vcc_lo, 0, v10
	s_xor_b32 s13, s13, -1
	v_mov_b32_e32 v54, 0
	v_cndmask_b32_e64 v11, 0, 1, s13
	v_mov_b32_e32 v64, v0
	v_cndmask_b32_e32 v37, 0, v49, vcc_lo
	s_mov_b32 s13, -1
	v_cmp_ne_u32_e32 vcc_lo, 0, v11
	v_mov_b32_e32 v55, v37
	s_cbranch_vccz .LBB4_125
; %bb.123:                              ;   in Loop: Header=BB4_49 Depth=1
	s_and_saveexec_b32 s14, s13
	s_cbranch_execnz .LBB4_2072
	s_branch .LBB4_2776
.LBB4_124:                              ;   in Loop: Header=BB4_49 Depth=1
	s_mov_b32 s13, 0
	s_and_saveexec_b32 s14, s6
	s_cbranch_execnz .LBB4_2777
	s_branch .LBB4_2795
.LBB4_125:                              ;   in Loop: Header=BB4_49 Depth=1
	v_lshrrev_b32_e32 v10, 10, v37
	s_mov_b32 s14, exec_lo
	v_sub_nc_u32_e32 v102, v10, v71
	v_cmpx_lt_i32_e32 0, v102
	s_cbranch_execz .LBB4_1417
; %bb.126:                              ;   in Loop: Header=BB4_49 Depth=1
	s_trap 2
	ds_read_b64 v[10:11], v0
	v_add_co_u32 v54, vcc_lo, v50, v82
	v_add_co_ci_u32_e64 v55, null, 0, v51, vcc_lo
	v_add_co_u32 v64, vcc_lo, v52, v82
	v_add_co_ci_u32_e64 v65, null, 0, v53, vcc_lo
	s_waitcnt lgkmcnt(0)
	v_readfirstlane_b32 s13, v10
	v_add_co_u32 v66, vcc_lo, v10, v82
	v_add_co_ci_u32_e64 v67, null, 0, v11, vcc_lo
	s_and_b32 s27, s13, 7
	s_bfe_u32 s40, s13, 0x40003
	s_flbit_i32_b32 s26, s27
	s_min_u32 s28, s26, 32
	s_mov_b32 s26, 0
	s_sub_i32 s29, s28, 28
	s_sub_i32 s28, 29, s28
	s_lshl_b32 s29, s13, s29
	s_and_b32 s29, s29, 7
	s_cmp_eq_u32 s40, 0
	s_cselect_b32 s28, s28, s40
	s_cselect_b32 s27, s29, s27
	s_lshl_b32 s29, s13, 24
	s_lshl_b32 s28, s28, 23
	s_and_b32 s29, s29, 0x80000000
	s_add_i32 s28, s28, 0x3b800000
	s_lshl_b32 s40, s27, 20
	s_or_b32 s28, s29, s28
	s_and_b32 s27, s13, 0xff
	s_or_b32 s28, s28, s40
	s_and_b32 s29, 0xffff, s27
	s_branch .LBB4_130
.LBB4_127:                              ;   in Loop: Header=BB4_130 Depth=2
	s_or_b32 exec_lo, exec_lo, s13
	v_lshrrev_b32_e32 v117, 20, v117
	v_min_i32_e32 v44, 15, v114
	v_cmp_gt_i32_e32 vcc_lo, 16, v114
	v_and_b32_sdwa v13, v13, v97 dst_sel:DWORD dst_unused:UNUSED_PAD src0_sel:BYTE_3 src1_sel:DWORD
	v_lshlrev_b32_e32 v44, 3, v44
	v_cndmask_b32_e32 v117, 7, v117, vcc_lo
	v_and_b32_e32 v44, 0xf8, v44
	v_and_b32_e32 v57, 7, v117
	v_or_b32_e32 v114, v114, v117
	v_or3_b32 v13, v13, v44, v57
	v_cmp_ne_u32_e32 vcc_lo, 0, v114
	v_lshlrev_b32_e32 v13, 8, v13
	v_cndmask_b32_e32 v114, 0, v13, vcc_lo
.LBB4_128:                              ;   in Loop: Header=BB4_130 Depth=2
	s_or_b32 exec_lo, exec_lo, s41
.LBB4_129:                              ;   in Loop: Header=BB4_130 Depth=2
	s_or_b32 exec_lo, exec_lo, s40
	v_or_b32_sdwa v13, v15, v63 dst_sel:WORD_1 dst_unused:UNUSED_PAD src0_sel:DWORD src1_sel:DWORD
	v_or_b32_sdwa v15, v14, v119 dst_sel:WORD_1 dst_unused:UNUSED_PAD src0_sel:DWORD src1_sel:DWORD
	;; [unrolled: 1-line block ×5, first 2 shown]
	v_or3_b32 v14, v59, v47, v13
	v_or3_b32 v13, v115, v103, v15
	;; [unrolled: 1-line block ×3, first 2 shown]
	v_or_b32_sdwa v16, v17, v58 dst_sel:WORD_1 dst_unused:UNUSED_PAD src0_sel:DWORD src1_sel:DWORD
	v_or_b32_sdwa v12, v12, v116 dst_sel:WORD_1 dst_unused:UNUSED_PAD src0_sel:DWORD src1_sel:DWORD
	;; [unrolled: 1-line block ×3, first 2 shown]
	v_sub_nc_u32_e32 v102, v102, v81
	v_or3_b32 v115, v46, v43, v11
	v_or3_b32 v16, v73, v61, v16
	;; [unrolled: 1-line block ×5, first 2 shown]
	v_add_co_u32 v54, vcc_lo, v54, v83
	v_add_co_ci_u32_e64 v55, null, 0, v55, vcc_lo
	v_add_co_u32 v66, vcc_lo, v66, v83
	global_store_dwordx4 v[64:65], v[13:16], off glc slc
	global_store_dwordx4 v[64:65], v[114:117], off offset:512 glc slc
	v_add_co_ci_u32_e64 v67, null, 0, v67, vcc_lo
	v_cmp_gt_i32_e32 vcc_lo, 1, v102
	v_add_co_u32 v64, s13, v64, v83
	v_add_co_ci_u32_e64 v65, null, 0, v65, s13
	s_or_b32 s26, vcc_lo, s26
	s_andn2_b32 exec_lo, exec_lo, s26
	s_cbranch_execz .LBB4_1416
.LBB4_130:                              ;   Parent Loop BB4_49 Depth=1
                                        ; =>  This Inner Loop Header: Depth=2
	s_cmpk_lt_i32 s27, 0x80
	s_cbranch_scc1 .LBB4_134
; %bb.131:                              ;   in Loop: Header=BB4_130 Depth=2
	s_cmpk_eq_i32 s29, 0x80
	s_mov_b32 s13, -1
	s_cbranch_scc0 .LBB4_133
; %bb.132:                              ;   in Loop: Header=BB4_130 Depth=2
	s_mov_b32 s13, 0
.LBB4_133:                              ;   in Loop: Header=BB4_130 Depth=2
	s_mov_b32 s40, 0x7f800001
	s_branch .LBB4_136
.LBB4_134:                              ;   in Loop: Header=BB4_130 Depth=2
	s_mov_b32 s13, 0
	s_mov_b32 s40, 0x7f800001
	s_cbranch_execz .LBB4_136
; %bb.135:                              ;   in Loop: Header=BB4_130 Depth=2
	s_cmp_lg_u32 s29, 0
	s_mov_b32 s40, 0
	s_cselect_b32 s13, -1, 0
.LBB4_136:                              ;   in Loop: Header=BB4_130 Depth=2
	s_andn2_b32 vcc_lo, exec_lo, s13
	s_cbranch_vccnz .LBB4_138
; %bb.137:                              ;   in Loop: Header=BB4_130 Depth=2
	s_mov_b32 s40, s28
.LBB4_138:                              ;   in Loop: Header=BB4_130 Depth=2
	global_load_dwordx4 v[10:13], v[54:55], off slc
	s_mov_b32 s13, 0
	s_waitcnt vmcnt(0)
	v_cmp_gt_i16_sdwa s41, v10, v96 src0_sel:BYTE_0 src1_sel:DWORD
	s_and_saveexec_b32 s42, s41
	s_xor_b32 s41, exec_lo, s42
	s_cbranch_execz .LBB4_1224
; %bb.139:                              ;   in Loop: Header=BB4_130 Depth=2
	v_cmp_eq_u16_sdwa s43, v10, v97 src0_sel:BYTE_0 src1_sel:DWORD
	s_mov_b32 s13, -1
	s_and_saveexec_b32 s42, s43
; %bb.140:                              ;   in Loop: Header=BB4_130 Depth=2
	s_xor_b32 s13, exec_lo, -1
; %bb.141:                              ;   in Loop: Header=BB4_130 Depth=2
	s_or_b32 exec_lo, exec_lo, s42
	s_and_b32 s13, s13, exec_lo
	s_or_saveexec_b32 s41, s41
	v_mov_b32_e32 v14, 0x7f800001
	s_xor_b32 exec_lo, exec_lo, s41
	s_cbranch_execnz .LBB4_1225
.LBB4_142:                              ;   in Loop: Header=BB4_130 Depth=2
	s_or_b32 exec_lo, exec_lo, s41
	s_and_saveexec_b32 s41, s13
	s_cbranch_execz .LBB4_144
.LBB4_143:                              ;   in Loop: Header=BB4_130 Depth=2
	v_and_b32_e32 v14, 7, v10
	v_bfe_u32 v17, v10, 3, 4
	v_lshlrev_b32_e32 v103, 24, v10
	v_ffbh_u32_e32 v15, v14
	v_cmp_eq_u32_e32 vcc_lo, 0, v17
	v_min_u32_e32 v15, 32, v15
	v_subrev_nc_u32_e32 v16, 28, v15
	v_sub_nc_u32_e32 v15, 29, v15
	v_lshlrev_b32_e32 v16, v16, v10
	v_cndmask_b32_e32 v15, v17, v15, vcc_lo
	v_and_b32_e32 v16, 7, v16
	v_lshl_add_u32 v15, v15, 23, 0x3b800000
	v_cndmask_b32_e32 v14, v14, v16, vcc_lo
	v_and_b32_e32 v16, 0x80000000, v103
	v_lshlrev_b32_e32 v14, 20, v14
	v_or3_b32 v14, v16, v15, v14
.LBB4_144:                              ;   in Loop: Header=BB4_130 Depth=2
	s_or_b32 exec_lo, exec_lo, s41
	v_mul_f32_e32 v14, s40, v14
	v_mov_b32_e32 v103, 0x80
	s_mov_b32 s41, exec_lo
	v_and_b32_e32 v15, 0x7f800000, v14
	v_cmpx_ne_u32_e32 0x7f800000, v15
	s_cbranch_execz .LBB4_152
; %bb.145:                              ;   in Loop: Header=BB4_130 Depth=2
	v_mov_b32_e32 v103, 0
	s_mov_b32 s42, exec_lo
	v_cmpx_ne_u32_e32 0, v14
	s_cbranch_execz .LBB4_151
; %bb.146:                              ;   in Loop: Header=BB4_130 Depth=2
	v_bfe_u32 v15, v14, 23, 8
	v_and_b32_e32 v16, 0x7fffff, v14
	v_sub_nc_u32_e32 v17, 0x78, v15
	v_cmp_gt_u32_e32 vcc_lo, 0x79, v15
	v_or_b32_e32 v103, 0x800000, v16
	v_cndmask_b32_e32 v17, 0, v17, vcc_lo
	v_cmp_eq_u32_e32 vcc_lo, 0, v15
	v_add_nc_u32_e32 v15, 0xffffff89, v15
	v_cndmask_b32_e64 v17, v17, 0x77, vcc_lo
	v_cndmask_b32_e32 v16, v103, v16, vcc_lo
	v_cndmask_b32_e64 v15, v15, 0xffffff8a, vcc_lo
	v_lshl_add_u32 v103, 0x100000, v17, -1
	v_lshrrev_b32_e32 v112, v17, v16
	v_lshlrev_b32_e64 v114, v17, 0x80000
	v_add_nc_u32_e32 v17, v17, v15
	v_and_b32_e32 v16, v103, v16
	v_bfe_u32 v113, v112, 20, 1
	v_cmp_eq_u32_e64 s13, v16, v114
	v_add_nc_u32_e32 v103, -1, v113
	v_cndmask_b32_e64 v16, 0, v103, s13
	v_lshrrev_b32_e32 v103, 23, v112
	s_mov_b32 s13, exec_lo
	v_add_nc_u32_e32 v16, v16, v112
	v_xor_b32_e32 v103, 1, v103
	v_and_b32_e32 v15, 0xfffff, v16
	v_add_nc_u32_e32 v16, v15, v112
                                        ; implicit-def: $vgpr15
	v_cmpx_ne_u32_e64 v17, v103
	s_xor_b32 s13, exec_lo, s13
; %bb.147:                              ;   in Loop: Header=BB4_130 Depth=2
	v_cmp_lt_u32_e32 vcc_lo, 0xffffff, v16
	v_sub_nc_u32_e32 v15, v17, v103
	v_cndmask_b32_e64 v17, 0, 1, vcc_lo
	v_add_co_ci_u32_e64 v15, null, 0, v15, vcc_lo
	v_lshrrev_b32_e32 v16, v17, v16
; %bb.148:                              ;   in Loop: Header=BB4_130 Depth=2
	s_andn2_saveexec_b32 s13, s13
; %bb.149:                              ;   in Loop: Header=BB4_130 Depth=2
	v_bfe_u32 v15, v16, 23, 1
; %bb.150:                              ;   in Loop: Header=BB4_130 Depth=2
	s_or_b32 exec_lo, exec_lo, s13
	v_lshrrev_b32_e32 v16, 20, v16
	v_min_i32_e32 v17, 15, v15
	v_cmp_gt_i32_e32 vcc_lo, 16, v15
	v_and_b32_sdwa v14, v14, v97 dst_sel:DWORD dst_unused:UNUSED_PAD src0_sel:BYTE_3 src1_sel:DWORD
	v_lshlrev_b32_e32 v17, 3, v17
	v_cndmask_b32_e32 v16, 7, v16, vcc_lo
	v_and_b32_e32 v17, 0xf8, v17
	v_and_b32_e32 v103, 7, v16
	v_or_b32_e32 v15, v15, v16
	v_or3_b32 v14, v17, v14, v103
	v_cmp_ne_u32_e32 vcc_lo, 0, v15
	v_cndmask_b32_e32 v103, 0, v14, vcc_lo
.LBB4_151:                              ;   in Loop: Header=BB4_130 Depth=2
	s_or_b32 exec_lo, exec_lo, s42
.LBB4_152:                              ;   in Loop: Header=BB4_130 Depth=2
	s_or_b32 exec_lo, exec_lo, s41
	v_cmp_gt_i16_sdwa s41, v10, v96 src0_sel:BYTE_1 src1_sel:DWORD
	s_mov_b32 s13, 0
	s_and_saveexec_b32 s42, s41
	s_xor_b32 s41, exec_lo, s42
	s_cbranch_execz .LBB4_1226
; %bb.153:                              ;   in Loop: Header=BB4_130 Depth=2
	v_cmp_eq_u16_sdwa s43, v10, v97 src0_sel:BYTE_1 src1_sel:DWORD
	s_mov_b32 s13, -1
	s_and_saveexec_b32 s42, s43
; %bb.154:                              ;   in Loop: Header=BB4_130 Depth=2
	s_xor_b32 s13, exec_lo, -1
; %bb.155:                              ;   in Loop: Header=BB4_130 Depth=2
	s_or_b32 exec_lo, exec_lo, s42
	s_and_b32 s13, s13, exec_lo
	s_or_saveexec_b32 s41, s41
	v_mov_b32_e32 v14, 0x7f800001
	s_xor_b32 exec_lo, exec_lo, s41
	s_cbranch_execnz .LBB4_1227
.LBB4_156:                              ;   in Loop: Header=BB4_130 Depth=2
	s_or_b32 exec_lo, exec_lo, s41
	s_and_saveexec_b32 s41, s13
	s_cbranch_execz .LBB4_158
.LBB4_157:                              ;   in Loop: Header=BB4_130 Depth=2
	v_and_b32_sdwa v14, v98, v10 dst_sel:DWORD dst_unused:UNUSED_PAD src0_sel:DWORD src1_sel:BYTE_1
	v_and_b32_e32 v15, 7, v14
	v_bfe_u32 v112, v14, 3, 4
	v_ffbh_u32_e32 v16, v15
	v_cmp_eq_u32_e32 vcc_lo, 0, v112
	v_min_u32_e32 v16, 32, v16
	v_subrev_nc_u32_e32 v17, 28, v16
	v_sub_nc_u32_e32 v16, 29, v16
	v_lshlrev_b32_e32 v14, v17, v14
	v_lshlrev_b32_sdwa v17, v99, v10 dst_sel:DWORD dst_unused:UNUSED_PAD src0_sel:DWORD src1_sel:BYTE_1
	v_cndmask_b32_e32 v16, v112, v16, vcc_lo
	v_and_b32_e32 v14, 7, v14
	v_lshl_add_u32 v16, v16, 23, 0x3b800000
	v_cndmask_b32_e32 v14, v15, v14, vcc_lo
	v_and_b32_e32 v15, 0x80000000, v17
	v_lshlrev_b32_e32 v14, 20, v14
	v_or3_b32 v14, v15, v16, v14
.LBB4_158:                              ;   in Loop: Header=BB4_130 Depth=2
	s_or_b32 exec_lo, exec_lo, s41
	v_mul_f32_e32 v14, s40, v14
	v_mov_b32_e32 v115, 0x8000
	s_mov_b32 s41, exec_lo
	v_and_b32_e32 v15, 0x7f800000, v14
	v_cmpx_ne_u32_e32 0x7f800000, v15
	s_cbranch_execz .LBB4_166
; %bb.159:                              ;   in Loop: Header=BB4_130 Depth=2
	v_mov_b32_e32 v115, 0
	s_mov_b32 s42, exec_lo
	v_cmpx_ne_u32_e32 0, v14
	s_cbranch_execz .LBB4_165
; %bb.160:                              ;   in Loop: Header=BB4_130 Depth=2
	v_bfe_u32 v15, v14, 23, 8
	v_and_b32_e32 v16, 0x7fffff, v14
	v_sub_nc_u32_e32 v17, 0x78, v15
	v_cmp_gt_u32_e32 vcc_lo, 0x79, v15
	v_or_b32_e32 v112, 0x800000, v16
	v_cndmask_b32_e32 v17, 0, v17, vcc_lo
	v_cmp_eq_u32_e32 vcc_lo, 0, v15
	v_add_nc_u32_e32 v15, 0xffffff89, v15
	v_cndmask_b32_e64 v17, v17, 0x77, vcc_lo
	v_cndmask_b32_e32 v16, v112, v16, vcc_lo
	v_cndmask_b32_e64 v15, v15, 0xffffff8a, vcc_lo
	v_lshl_add_u32 v112, 0x100000, v17, -1
	v_lshrrev_b32_e32 v113, v17, v16
	v_lshlrev_b32_e64 v115, v17, 0x80000
	v_add_nc_u32_e32 v17, v17, v15
	v_and_b32_e32 v16, v112, v16
	v_bfe_u32 v114, v113, 20, 1
	v_cmp_eq_u32_e64 s13, v16, v115
	v_add_nc_u32_e32 v112, -1, v114
	v_cndmask_b32_e64 v16, 0, v112, s13
	v_lshrrev_b32_e32 v112, 23, v113
	s_mov_b32 s13, exec_lo
	v_add_nc_u32_e32 v16, v16, v113
	v_xor_b32_e32 v112, 1, v112
	v_and_b32_e32 v15, 0xfffff, v16
	v_add_nc_u32_e32 v16, v15, v113
                                        ; implicit-def: $vgpr15
	v_cmpx_ne_u32_e64 v17, v112
	s_xor_b32 s13, exec_lo, s13
; %bb.161:                              ;   in Loop: Header=BB4_130 Depth=2
	v_cmp_lt_u32_e32 vcc_lo, 0xffffff, v16
	v_sub_nc_u32_e32 v15, v17, v112
	v_cndmask_b32_e64 v17, 0, 1, vcc_lo
	v_add_co_ci_u32_e64 v15, null, 0, v15, vcc_lo
	v_lshrrev_b32_e32 v16, v17, v16
; %bb.162:                              ;   in Loop: Header=BB4_130 Depth=2
	s_andn2_saveexec_b32 s13, s13
; %bb.163:                              ;   in Loop: Header=BB4_130 Depth=2
	v_bfe_u32 v15, v16, 23, 1
; %bb.164:                              ;   in Loop: Header=BB4_130 Depth=2
	s_or_b32 exec_lo, exec_lo, s13
	v_lshrrev_b32_e32 v16, 20, v16
	v_min_i32_e32 v17, 15, v15
	v_cmp_gt_i32_e32 vcc_lo, 16, v15
	v_and_b32_sdwa v14, v14, v97 dst_sel:DWORD dst_unused:UNUSED_PAD src0_sel:BYTE_3 src1_sel:DWORD
	v_lshlrev_b32_e32 v17, 3, v17
	v_cndmask_b32_e32 v16, 7, v16, vcc_lo
	v_and_b32_e32 v17, 0xf8, v17
	v_and_b32_e32 v112, 7, v16
	v_or_b32_e32 v15, v15, v16
	v_or3_b32 v14, v14, v17, v112
	v_cmp_ne_u32_e32 vcc_lo, 0, v15
	v_lshlrev_b32_e32 v14, 8, v14
	v_cndmask_b32_e32 v115, 0, v14, vcc_lo
.LBB4_165:                              ;   in Loop: Header=BB4_130 Depth=2
	s_or_b32 exec_lo, exec_lo, s42
.LBB4_166:                              ;   in Loop: Header=BB4_130 Depth=2
	s_or_b32 exec_lo, exec_lo, s41
	v_and_b32_sdwa v15, v10, v100 dst_sel:DWORD dst_unused:UNUSED_PAD src0_sel:WORD_1 src1_sel:DWORD
	s_mov_b32 s13, 0
	s_mov_b32 s41, exec_lo
	v_cmpx_lt_i16_e32 0x7f, v15
	s_xor_b32 s41, exec_lo, s41
	s_cbranch_execz .LBB4_1228
; %bb.167:                              ;   in Loop: Header=BB4_130 Depth=2
	s_mov_b32 s13, -1
	s_mov_b32 s42, exec_lo
	v_cmpx_eq_u16_e32 0x80, v15
; %bb.168:                              ;   in Loop: Header=BB4_130 Depth=2
	s_xor_b32 s13, exec_lo, -1
; %bb.169:                              ;   in Loop: Header=BB4_130 Depth=2
	s_or_b32 exec_lo, exec_lo, s42
	s_and_b32 s13, s13, exec_lo
                                        ; implicit-def: $vgpr15
	s_or_saveexec_b32 s41, s41
	v_mov_b32_e32 v14, 0x7f800001
	s_xor_b32 exec_lo, exec_lo, s41
	s_cbranch_execnz .LBB4_1229
.LBB4_170:                              ;   in Loop: Header=BB4_130 Depth=2
	s_or_b32 exec_lo, exec_lo, s41
	s_and_saveexec_b32 s41, s13
	s_cbranch_execz .LBB4_172
.LBB4_171:                              ;   in Loop: Header=BB4_130 Depth=2
	v_bfe_u32 v14, v10, 16, 3
	v_bfe_u32 v17, v10, 19, 4
	v_lshlrev_b32_e32 v112, 8, v10
	v_ffbh_u32_e32 v15, v14
	v_cmp_eq_u32_e32 vcc_lo, 0, v17
	v_min_u32_e32 v15, 32, v15
	v_subrev_nc_u32_e32 v16, 28, v15
	v_sub_nc_u32_e32 v15, 29, v15
	v_lshlrev_b32_sdwa v16, v16, v10 dst_sel:DWORD dst_unused:UNUSED_PAD src0_sel:DWORD src1_sel:WORD_1
	v_cndmask_b32_e32 v15, v17, v15, vcc_lo
	v_and_b32_e32 v16, 7, v16
	v_lshl_add_u32 v15, v15, 23, 0x3b800000
	v_cndmask_b32_e32 v14, v14, v16, vcc_lo
	v_and_b32_e32 v16, 0x80000000, v112
	v_lshlrev_b32_e32 v14, 20, v14
	v_or3_b32 v14, v16, v15, v14
.LBB4_172:                              ;   in Loop: Header=BB4_130 Depth=2
	s_or_b32 exec_lo, exec_lo, s41
	v_mul_f32_e32 v14, s40, v14
	v_mov_b32_e32 v119, 0x80
	s_mov_b32 s41, exec_lo
	v_and_b32_e32 v15, 0x7f800000, v14
	v_cmpx_ne_u32_e32 0x7f800000, v15
	s_cbranch_execz .LBB4_180
; %bb.173:                              ;   in Loop: Header=BB4_130 Depth=2
	v_mov_b32_e32 v119, 0
	s_mov_b32 s42, exec_lo
	v_cmpx_ne_u32_e32 0, v14
	s_cbranch_execz .LBB4_179
; %bb.174:                              ;   in Loop: Header=BB4_130 Depth=2
	v_bfe_u32 v15, v14, 23, 8
	v_and_b32_e32 v16, 0x7fffff, v14
	v_sub_nc_u32_e32 v17, 0x78, v15
	v_cmp_gt_u32_e32 vcc_lo, 0x79, v15
	v_or_b32_e32 v112, 0x800000, v16
	v_cndmask_b32_e32 v17, 0, v17, vcc_lo
	v_cmp_eq_u32_e32 vcc_lo, 0, v15
	v_add_nc_u32_e32 v15, 0xffffff89, v15
	v_cndmask_b32_e64 v17, v17, 0x77, vcc_lo
	v_cndmask_b32_e32 v16, v112, v16, vcc_lo
	v_cndmask_b32_e64 v15, v15, 0xffffff8a, vcc_lo
	v_lshl_add_u32 v112, 0x100000, v17, -1
	v_lshrrev_b32_e32 v113, v17, v16
	v_lshlrev_b32_e64 v116, v17, 0x80000
	v_add_nc_u32_e32 v17, v17, v15
	v_and_b32_e32 v16, v112, v16
	v_bfe_u32 v114, v113, 20, 1
	v_cmp_eq_u32_e64 s13, v16, v116
	v_add_nc_u32_e32 v112, -1, v114
	v_cndmask_b32_e64 v16, 0, v112, s13
	v_lshrrev_b32_e32 v112, 23, v113
	s_mov_b32 s13, exec_lo
	v_add_nc_u32_e32 v16, v16, v113
	v_xor_b32_e32 v112, 1, v112
	v_and_b32_e32 v15, 0xfffff, v16
	v_add_nc_u32_e32 v16, v15, v113
                                        ; implicit-def: $vgpr15
	v_cmpx_ne_u32_e64 v17, v112
	s_xor_b32 s13, exec_lo, s13
; %bb.175:                              ;   in Loop: Header=BB4_130 Depth=2
	v_cmp_lt_u32_e32 vcc_lo, 0xffffff, v16
	v_sub_nc_u32_e32 v15, v17, v112
	v_cndmask_b32_e64 v17, 0, 1, vcc_lo
	v_add_co_ci_u32_e64 v15, null, 0, v15, vcc_lo
	v_lshrrev_b32_e32 v16, v17, v16
; %bb.176:                              ;   in Loop: Header=BB4_130 Depth=2
	s_andn2_saveexec_b32 s13, s13
; %bb.177:                              ;   in Loop: Header=BB4_130 Depth=2
	v_bfe_u32 v15, v16, 23, 1
; %bb.178:                              ;   in Loop: Header=BB4_130 Depth=2
	s_or_b32 exec_lo, exec_lo, s13
	v_lshrrev_b32_e32 v16, 20, v16
	v_min_i32_e32 v17, 15, v15
	v_cmp_gt_i32_e32 vcc_lo, 16, v15
	v_and_b32_sdwa v14, v14, v97 dst_sel:DWORD dst_unused:UNUSED_PAD src0_sel:BYTE_3 src1_sel:DWORD
	v_lshlrev_b32_e32 v17, 3, v17
	v_cndmask_b32_e32 v16, 7, v16, vcc_lo
	v_and_b32_e32 v17, 0xf8, v17
	v_and_b32_e32 v112, 7, v16
	v_or_b32_e32 v15, v15, v16
	v_or3_b32 v14, v17, v14, v112
	v_cmp_ne_u32_e32 vcc_lo, 0, v15
	v_cndmask_b32_e32 v119, 0, v14, vcc_lo
.LBB4_179:                              ;   in Loop: Header=BB4_130 Depth=2
	s_or_b32 exec_lo, exec_lo, s42
.LBB4_180:                              ;   in Loop: Header=BB4_130 Depth=2
	s_or_b32 exec_lo, exec_lo, s41
	v_cmp_gt_i16_sdwa s41, v10, v96 src0_sel:BYTE_3 src1_sel:DWORD
	s_mov_b32 s13, 0
	s_and_saveexec_b32 s42, s41
	s_xor_b32 s41, exec_lo, s42
	s_cbranch_execz .LBB4_1230
; %bb.181:                              ;   in Loop: Header=BB4_130 Depth=2
	v_cmp_eq_u16_sdwa s43, v10, v97 src0_sel:BYTE_3 src1_sel:DWORD
	s_mov_b32 s13, -1
	s_and_saveexec_b32 s42, s43
; %bb.182:                              ;   in Loop: Header=BB4_130 Depth=2
	s_xor_b32 s13, exec_lo, -1
; %bb.183:                              ;   in Loop: Header=BB4_130 Depth=2
	s_or_b32 exec_lo, exec_lo, s42
	s_and_b32 s13, s13, exec_lo
	s_or_saveexec_b32 s41, s41
	v_mov_b32_e32 v14, 0x7f800001
	s_xor_b32 exec_lo, exec_lo, s41
	s_cbranch_execnz .LBB4_1231
.LBB4_184:                              ;   in Loop: Header=BB4_130 Depth=2
	s_or_b32 exec_lo, exec_lo, s41
	s_and_saveexec_b32 s41, s13
	s_cbranch_execz .LBB4_186
.LBB4_185:                              ;   in Loop: Header=BB4_130 Depth=2
	v_bfe_u32 v14, v10, 24, 3
	v_bfe_u32 v17, v10, 27, 4
	v_ffbh_u32_e32 v15, v14
	v_cmp_eq_u32_e32 vcc_lo, 0, v17
	v_min_u32_e32 v15, 32, v15
	v_subrev_nc_u32_e32 v16, 28, v15
	v_sub_nc_u32_e32 v15, 29, v15
	v_lshlrev_b32_sdwa v16, v16, v10 dst_sel:DWORD dst_unused:UNUSED_PAD src0_sel:DWORD src1_sel:BYTE_3
	v_cndmask_b32_e32 v15, v17, v15, vcc_lo
	v_and_b32_e32 v10, 0x80000000, v10
	v_and_b32_e32 v16, 7, v16
	v_lshl_add_u32 v15, v15, 23, 0x3b800000
	v_cndmask_b32_e32 v14, v14, v16, vcc_lo
	v_lshlrev_b32_e32 v14, 20, v14
	v_or3_b32 v14, v10, v15, v14
.LBB4_186:                              ;   in Loop: Header=BB4_130 Depth=2
	s_or_b32 exec_lo, exec_lo, s41
	v_mul_f32_e32 v10, s40, v14
	v_mov_b32_e32 v78, 0x8000
	s_mov_b32 s41, exec_lo
	v_and_b32_e32 v14, 0x7f800000, v10
	v_cmpx_ne_u32_e32 0x7f800000, v14
	s_cbranch_execz .LBB4_194
; %bb.187:                              ;   in Loop: Header=BB4_130 Depth=2
	v_mov_b32_e32 v78, 0
	s_mov_b32 s42, exec_lo
	v_cmpx_ne_u32_e32 0, v10
	s_cbranch_execz .LBB4_193
; %bb.188:                              ;   in Loop: Header=BB4_130 Depth=2
	v_bfe_u32 v14, v10, 23, 8
	v_and_b32_e32 v15, 0x7fffff, v10
	v_sub_nc_u32_e32 v16, 0x78, v14
	v_cmp_gt_u32_e32 vcc_lo, 0x79, v14
	v_or_b32_e32 v17, 0x800000, v15
	v_cndmask_b32_e32 v16, 0, v16, vcc_lo
	v_cmp_eq_u32_e32 vcc_lo, 0, v14
	v_add_nc_u32_e32 v14, 0xffffff89, v14
	v_cndmask_b32_e64 v16, v16, 0x77, vcc_lo
	v_cndmask_b32_e32 v15, v17, v15, vcc_lo
	v_cndmask_b32_e64 v14, v14, 0xffffff8a, vcc_lo
	v_lshl_add_u32 v17, 0x100000, v16, -1
	v_lshrrev_b32_e32 v112, v16, v15
	v_lshlrev_b32_e64 v114, v16, 0x80000
	v_add_nc_u32_e32 v16, v16, v14
	v_and_b32_e32 v15, v17, v15
	v_bfe_u32 v113, v112, 20, 1
	v_cmp_eq_u32_e64 s13, v15, v114
	v_add_nc_u32_e32 v17, -1, v113
	v_cndmask_b32_e64 v15, 0, v17, s13
	v_lshrrev_b32_e32 v17, 23, v112
	s_mov_b32 s13, exec_lo
	v_add_nc_u32_e32 v15, v15, v112
	v_xor_b32_e32 v17, 1, v17
	v_and_b32_e32 v14, 0xfffff, v15
	v_add_nc_u32_e32 v15, v14, v112
                                        ; implicit-def: $vgpr14
	v_cmpx_ne_u32_e64 v16, v17
	s_xor_b32 s13, exec_lo, s13
; %bb.189:                              ;   in Loop: Header=BB4_130 Depth=2
	v_cmp_lt_u32_e32 vcc_lo, 0xffffff, v15
	v_sub_nc_u32_e32 v14, v16, v17
	v_cndmask_b32_e64 v16, 0, 1, vcc_lo
	v_add_co_ci_u32_e64 v14, null, 0, v14, vcc_lo
	v_lshrrev_b32_e32 v15, v16, v15
; %bb.190:                              ;   in Loop: Header=BB4_130 Depth=2
	s_andn2_saveexec_b32 s13, s13
; %bb.191:                              ;   in Loop: Header=BB4_130 Depth=2
	v_bfe_u32 v14, v15, 23, 1
; %bb.192:                              ;   in Loop: Header=BB4_130 Depth=2
	s_or_b32 exec_lo, exec_lo, s13
	v_lshrrev_b32_e32 v15, 20, v15
	v_min_i32_e32 v16, 15, v14
	v_cmp_gt_i32_e32 vcc_lo, 16, v14
	v_and_b32_sdwa v10, v10, v97 dst_sel:DWORD dst_unused:UNUSED_PAD src0_sel:BYTE_3 src1_sel:DWORD
	v_lshlrev_b32_e32 v16, 3, v16
	v_cndmask_b32_e32 v15, 7, v15, vcc_lo
	v_and_b32_e32 v16, 0xf8, v16
	v_and_b32_e32 v17, 7, v15
	v_or_b32_e32 v14, v14, v15
	v_or3_b32 v10, v10, v16, v17
	v_cmp_ne_u32_e32 vcc_lo, 0, v14
	v_lshlrev_b32_e32 v10, 8, v10
	v_cndmask_b32_e32 v78, 0, v10, vcc_lo
.LBB4_193:                              ;   in Loop: Header=BB4_130 Depth=2
	s_or_b32 exec_lo, exec_lo, s42
.LBB4_194:                              ;   in Loop: Header=BB4_130 Depth=2
	s_or_b32 exec_lo, exec_lo, s41
	v_cmp_gt_i16_sdwa s41, v11, v96 src0_sel:BYTE_0 src1_sel:DWORD
	s_mov_b32 s13, 0
	s_and_saveexec_b32 s42, s41
	s_xor_b32 s41, exec_lo, s42
	s_cbranch_execz .LBB4_1232
; %bb.195:                              ;   in Loop: Header=BB4_130 Depth=2
	v_cmp_eq_u16_sdwa s43, v11, v97 src0_sel:BYTE_0 src1_sel:DWORD
	s_mov_b32 s13, -1
	s_and_saveexec_b32 s42, s43
; %bb.196:                              ;   in Loop: Header=BB4_130 Depth=2
	s_xor_b32 s13, exec_lo, -1
; %bb.197:                              ;   in Loop: Header=BB4_130 Depth=2
	s_or_b32 exec_lo, exec_lo, s42
	s_and_b32 s13, s13, exec_lo
	s_or_saveexec_b32 s41, s41
	v_mov_b32_e32 v10, 0x7f800001
	s_xor_b32 exec_lo, exec_lo, s41
	s_cbranch_execnz .LBB4_1233
.LBB4_198:                              ;   in Loop: Header=BB4_130 Depth=2
	s_or_b32 exec_lo, exec_lo, s41
	s_and_saveexec_b32 s41, s13
	s_cbranch_execz .LBB4_200
.LBB4_199:                              ;   in Loop: Header=BB4_130 Depth=2
	v_and_b32_e32 v10, 7, v11
	v_bfe_u32 v16, v11, 3, 4
	v_lshlrev_b32_e32 v17, 24, v11
	v_ffbh_u32_e32 v14, v10
	v_cmp_eq_u32_e32 vcc_lo, 0, v16
	v_min_u32_e32 v14, 32, v14
	v_subrev_nc_u32_e32 v15, 28, v14
	v_sub_nc_u32_e32 v14, 29, v14
	v_lshlrev_b32_e32 v15, v15, v11
	v_cndmask_b32_e32 v14, v16, v14, vcc_lo
	v_and_b32_e32 v15, 7, v15
	v_lshl_add_u32 v14, v14, 23, 0x3b800000
	v_cndmask_b32_e32 v10, v10, v15, vcc_lo
	v_and_b32_e32 v15, 0x80000000, v17
	v_lshlrev_b32_e32 v10, 20, v10
	v_or3_b32 v10, v15, v14, v10
.LBB4_200:                              ;   in Loop: Header=BB4_130 Depth=2
	s_or_b32 exec_lo, exec_lo, s41
	v_mul_f32_e32 v10, s40, v10
	v_mov_b32_e32 v47, 0x80
	s_mov_b32 s41, exec_lo
	v_and_b32_e32 v14, 0x7f800000, v10
	v_cmpx_ne_u32_e32 0x7f800000, v14
	s_cbranch_execz .LBB4_208
; %bb.201:                              ;   in Loop: Header=BB4_130 Depth=2
	v_mov_b32_e32 v47, 0
	s_mov_b32 s42, exec_lo
	v_cmpx_ne_u32_e32 0, v10
	s_cbranch_execz .LBB4_207
; %bb.202:                              ;   in Loop: Header=BB4_130 Depth=2
	v_bfe_u32 v14, v10, 23, 8
	v_and_b32_e32 v15, 0x7fffff, v10
	v_sub_nc_u32_e32 v16, 0x78, v14
	v_cmp_gt_u32_e32 vcc_lo, 0x79, v14
	v_or_b32_e32 v17, 0x800000, v15
	v_cndmask_b32_e32 v16, 0, v16, vcc_lo
	v_cmp_eq_u32_e32 vcc_lo, 0, v14
	v_add_nc_u32_e32 v14, 0xffffff89, v14
	v_cndmask_b32_e64 v16, v16, 0x77, vcc_lo
	v_cndmask_b32_e32 v15, v17, v15, vcc_lo
	v_cndmask_b32_e64 v14, v14, 0xffffff8a, vcc_lo
	v_lshl_add_u32 v17, 0x100000, v16, -1
	v_lshrrev_b32_e32 v112, v16, v15
	v_lshlrev_b32_e64 v114, v16, 0x80000
	v_add_nc_u32_e32 v16, v16, v14
	v_and_b32_e32 v15, v17, v15
	v_bfe_u32 v113, v112, 20, 1
	v_cmp_eq_u32_e64 s13, v15, v114
	v_add_nc_u32_e32 v17, -1, v113
	v_cndmask_b32_e64 v15, 0, v17, s13
	v_lshrrev_b32_e32 v17, 23, v112
	s_mov_b32 s13, exec_lo
	v_add_nc_u32_e32 v15, v15, v112
	v_xor_b32_e32 v17, 1, v17
	v_and_b32_e32 v14, 0xfffff, v15
	v_add_nc_u32_e32 v15, v14, v112
                                        ; implicit-def: $vgpr14
	v_cmpx_ne_u32_e64 v16, v17
	s_xor_b32 s13, exec_lo, s13
; %bb.203:                              ;   in Loop: Header=BB4_130 Depth=2
	v_cmp_lt_u32_e32 vcc_lo, 0xffffff, v15
	v_sub_nc_u32_e32 v14, v16, v17
	v_cndmask_b32_e64 v16, 0, 1, vcc_lo
	v_add_co_ci_u32_e64 v14, null, 0, v14, vcc_lo
	v_lshrrev_b32_e32 v15, v16, v15
; %bb.204:                              ;   in Loop: Header=BB4_130 Depth=2
	s_andn2_saveexec_b32 s13, s13
; %bb.205:                              ;   in Loop: Header=BB4_130 Depth=2
	v_bfe_u32 v14, v15, 23, 1
; %bb.206:                              ;   in Loop: Header=BB4_130 Depth=2
	s_or_b32 exec_lo, exec_lo, s13
	v_lshrrev_b32_e32 v15, 20, v15
	v_min_i32_e32 v16, 15, v14
	v_cmp_gt_i32_e32 vcc_lo, 16, v14
	v_and_b32_sdwa v10, v10, v97 dst_sel:DWORD dst_unused:UNUSED_PAD src0_sel:BYTE_3 src1_sel:DWORD
	v_lshlrev_b32_e32 v16, 3, v16
	v_cndmask_b32_e32 v15, 7, v15, vcc_lo
	v_and_b32_e32 v16, 0xf8, v16
	v_and_b32_e32 v17, 7, v15
	v_or_b32_e32 v14, v14, v15
	v_or3_b32 v10, v16, v10, v17
	v_cmp_ne_u32_e32 vcc_lo, 0, v14
	v_cndmask_b32_e32 v47, 0, v10, vcc_lo
.LBB4_207:                              ;   in Loop: Header=BB4_130 Depth=2
	s_or_b32 exec_lo, exec_lo, s42
.LBB4_208:                              ;   in Loop: Header=BB4_130 Depth=2
	s_or_b32 exec_lo, exec_lo, s41
	v_cmp_gt_i16_sdwa s41, v11, v96 src0_sel:BYTE_1 src1_sel:DWORD
	s_mov_b32 s13, 0
	s_and_saveexec_b32 s42, s41
	s_xor_b32 s41, exec_lo, s42
	s_cbranch_execz .LBB4_1234
; %bb.209:                              ;   in Loop: Header=BB4_130 Depth=2
	v_cmp_eq_u16_sdwa s43, v11, v97 src0_sel:BYTE_1 src1_sel:DWORD
	s_mov_b32 s13, -1
	s_and_saveexec_b32 s42, s43
; %bb.210:                              ;   in Loop: Header=BB4_130 Depth=2
	s_xor_b32 s13, exec_lo, -1
; %bb.211:                              ;   in Loop: Header=BB4_130 Depth=2
	s_or_b32 exec_lo, exec_lo, s42
	s_and_b32 s13, s13, exec_lo
	s_or_saveexec_b32 s41, s41
	v_mov_b32_e32 v10, 0x7f800001
	s_xor_b32 exec_lo, exec_lo, s41
	s_cbranch_execnz .LBB4_1235
.LBB4_212:                              ;   in Loop: Header=BB4_130 Depth=2
	s_or_b32 exec_lo, exec_lo, s41
	s_and_saveexec_b32 s41, s13
	s_cbranch_execz .LBB4_214
.LBB4_213:                              ;   in Loop: Header=BB4_130 Depth=2
	v_and_b32_sdwa v10, v98, v11 dst_sel:DWORD dst_unused:UNUSED_PAD src0_sel:DWORD src1_sel:BYTE_1
	v_and_b32_e32 v14, 7, v10
	v_bfe_u32 v17, v10, 3, 4
	v_ffbh_u32_e32 v15, v14
	v_cmp_eq_u32_e32 vcc_lo, 0, v17
	v_min_u32_e32 v15, 32, v15
	v_subrev_nc_u32_e32 v16, 28, v15
	v_sub_nc_u32_e32 v15, 29, v15
	v_lshlrev_b32_e32 v10, v16, v10
	v_lshlrev_b32_sdwa v16, v99, v11 dst_sel:DWORD dst_unused:UNUSED_PAD src0_sel:DWORD src1_sel:BYTE_1
	v_cndmask_b32_e32 v15, v17, v15, vcc_lo
	v_and_b32_e32 v10, 7, v10
	v_lshl_add_u32 v15, v15, 23, 0x3b800000
	v_cndmask_b32_e32 v10, v14, v10, vcc_lo
	v_and_b32_e32 v14, 0x80000000, v16
	v_lshlrev_b32_e32 v10, 20, v10
	v_or3_b32 v10, v14, v15, v10
.LBB4_214:                              ;   in Loop: Header=BB4_130 Depth=2
	s_or_b32 exec_lo, exec_lo, s41
	v_mul_f32_e32 v10, s40, v10
	v_mov_b32_e32 v59, 0x8000
	s_mov_b32 s41, exec_lo
	v_and_b32_e32 v14, 0x7f800000, v10
	v_cmpx_ne_u32_e32 0x7f800000, v14
	s_cbranch_execz .LBB4_222
; %bb.215:                              ;   in Loop: Header=BB4_130 Depth=2
	v_mov_b32_e32 v59, 0
	s_mov_b32 s42, exec_lo
	v_cmpx_ne_u32_e32 0, v10
	s_cbranch_execz .LBB4_221
; %bb.216:                              ;   in Loop: Header=BB4_130 Depth=2
	v_bfe_u32 v14, v10, 23, 8
	v_and_b32_e32 v15, 0x7fffff, v10
	v_sub_nc_u32_e32 v16, 0x78, v14
	v_cmp_gt_u32_e32 vcc_lo, 0x79, v14
	v_or_b32_e32 v17, 0x800000, v15
	v_cndmask_b32_e32 v16, 0, v16, vcc_lo
	v_cmp_eq_u32_e32 vcc_lo, 0, v14
	v_add_nc_u32_e32 v14, 0xffffff89, v14
	v_cndmask_b32_e64 v16, v16, 0x77, vcc_lo
	v_cndmask_b32_e32 v15, v17, v15, vcc_lo
	v_cndmask_b32_e64 v14, v14, 0xffffff8a, vcc_lo
	v_lshl_add_u32 v17, 0x100000, v16, -1
	v_lshrrev_b32_e32 v112, v16, v15
	v_lshlrev_b32_e64 v114, v16, 0x80000
	v_add_nc_u32_e32 v16, v16, v14
	v_and_b32_e32 v15, v17, v15
	v_bfe_u32 v113, v112, 20, 1
	v_cmp_eq_u32_e64 s13, v15, v114
	v_add_nc_u32_e32 v17, -1, v113
	v_cndmask_b32_e64 v15, 0, v17, s13
	v_lshrrev_b32_e32 v17, 23, v112
	s_mov_b32 s13, exec_lo
	v_add_nc_u32_e32 v15, v15, v112
	v_xor_b32_e32 v17, 1, v17
	v_and_b32_e32 v14, 0xfffff, v15
	v_add_nc_u32_e32 v15, v14, v112
                                        ; implicit-def: $vgpr14
	v_cmpx_ne_u32_e64 v16, v17
	s_xor_b32 s13, exec_lo, s13
; %bb.217:                              ;   in Loop: Header=BB4_130 Depth=2
	v_cmp_lt_u32_e32 vcc_lo, 0xffffff, v15
	v_sub_nc_u32_e32 v14, v16, v17
	v_cndmask_b32_e64 v16, 0, 1, vcc_lo
	v_add_co_ci_u32_e64 v14, null, 0, v14, vcc_lo
	v_lshrrev_b32_e32 v15, v16, v15
; %bb.218:                              ;   in Loop: Header=BB4_130 Depth=2
	s_andn2_saveexec_b32 s13, s13
; %bb.219:                              ;   in Loop: Header=BB4_130 Depth=2
	v_bfe_u32 v14, v15, 23, 1
; %bb.220:                              ;   in Loop: Header=BB4_130 Depth=2
	s_or_b32 exec_lo, exec_lo, s13
	v_lshrrev_b32_e32 v15, 20, v15
	v_min_i32_e32 v16, 15, v14
	v_cmp_gt_i32_e32 vcc_lo, 16, v14
	v_and_b32_sdwa v10, v10, v97 dst_sel:DWORD dst_unused:UNUSED_PAD src0_sel:BYTE_3 src1_sel:DWORD
	v_lshlrev_b32_e32 v16, 3, v16
	v_cndmask_b32_e32 v15, 7, v15, vcc_lo
	v_and_b32_e32 v16, 0xf8, v16
	v_and_b32_e32 v17, 7, v15
	v_or_b32_e32 v14, v14, v15
	v_or3_b32 v10, v10, v16, v17
	v_cmp_ne_u32_e32 vcc_lo, 0, v14
	v_lshlrev_b32_e32 v10, 8, v10
	v_cndmask_b32_e32 v59, 0, v10, vcc_lo
.LBB4_221:                              ;   in Loop: Header=BB4_130 Depth=2
	s_or_b32 exec_lo, exec_lo, s42
.LBB4_222:                              ;   in Loop: Header=BB4_130 Depth=2
	s_or_b32 exec_lo, exec_lo, s41
	v_and_b32_sdwa v14, v11, v100 dst_sel:DWORD dst_unused:UNUSED_PAD src0_sel:WORD_1 src1_sel:DWORD
	s_mov_b32 s13, 0
	s_mov_b32 s41, exec_lo
	v_cmpx_lt_i16_e32 0x7f, v14
	s_xor_b32 s41, exec_lo, s41
	s_cbranch_execz .LBB4_1236
; %bb.223:                              ;   in Loop: Header=BB4_130 Depth=2
	s_mov_b32 s13, -1
	s_mov_b32 s42, exec_lo
	v_cmpx_eq_u16_e32 0x80, v14
; %bb.224:                              ;   in Loop: Header=BB4_130 Depth=2
	s_xor_b32 s13, exec_lo, -1
; %bb.225:                              ;   in Loop: Header=BB4_130 Depth=2
	s_or_b32 exec_lo, exec_lo, s42
	s_and_b32 s13, s13, exec_lo
                                        ; implicit-def: $vgpr14
	s_or_saveexec_b32 s41, s41
	v_mov_b32_e32 v10, 0x7f800001
	s_xor_b32 exec_lo, exec_lo, s41
	s_cbranch_execnz .LBB4_1237
.LBB4_226:                              ;   in Loop: Header=BB4_130 Depth=2
	s_or_b32 exec_lo, exec_lo, s41
	s_and_saveexec_b32 s41, s13
	s_cbranch_execz .LBB4_228
.LBB4_227:                              ;   in Loop: Header=BB4_130 Depth=2
	v_bfe_u32 v10, v11, 16, 3
	v_bfe_u32 v16, v11, 19, 4
	v_lshlrev_b32_e32 v17, 8, v11
	v_ffbh_u32_e32 v14, v10
	v_cmp_eq_u32_e32 vcc_lo, 0, v16
	v_min_u32_e32 v14, 32, v14
	v_subrev_nc_u32_e32 v15, 28, v14
	v_sub_nc_u32_e32 v14, 29, v14
	v_lshlrev_b32_sdwa v15, v15, v11 dst_sel:DWORD dst_unused:UNUSED_PAD src0_sel:DWORD src1_sel:WORD_1
	v_cndmask_b32_e32 v14, v16, v14, vcc_lo
	v_and_b32_e32 v15, 7, v15
	v_lshl_add_u32 v14, v14, 23, 0x3b800000
	v_cndmask_b32_e32 v10, v10, v15, vcc_lo
	v_and_b32_e32 v15, 0x80000000, v17
	v_lshlrev_b32_e32 v10, 20, v10
	v_or3_b32 v10, v15, v14, v10
.LBB4_228:                              ;   in Loop: Header=BB4_130 Depth=2
	s_or_b32 exec_lo, exec_lo, s41
	v_mul_f32_e32 v10, s40, v10
	v_mov_b32_e32 v63, 0x80
	s_mov_b32 s41, exec_lo
	v_and_b32_e32 v14, 0x7f800000, v10
	v_cmpx_ne_u32_e32 0x7f800000, v14
	s_cbranch_execz .LBB4_236
; %bb.229:                              ;   in Loop: Header=BB4_130 Depth=2
	v_mov_b32_e32 v63, 0
	s_mov_b32 s42, exec_lo
	v_cmpx_ne_u32_e32 0, v10
	s_cbranch_execz .LBB4_235
; %bb.230:                              ;   in Loop: Header=BB4_130 Depth=2
	v_bfe_u32 v14, v10, 23, 8
	v_and_b32_e32 v15, 0x7fffff, v10
	v_sub_nc_u32_e32 v16, 0x78, v14
	v_cmp_gt_u32_e32 vcc_lo, 0x79, v14
	v_or_b32_e32 v17, 0x800000, v15
	v_cndmask_b32_e32 v16, 0, v16, vcc_lo
	v_cmp_eq_u32_e32 vcc_lo, 0, v14
	v_add_nc_u32_e32 v14, 0xffffff89, v14
	v_cndmask_b32_e64 v16, v16, 0x77, vcc_lo
	v_cndmask_b32_e32 v15, v17, v15, vcc_lo
	v_cndmask_b32_e64 v14, v14, 0xffffff8a, vcc_lo
	v_lshl_add_u32 v17, 0x100000, v16, -1
	v_lshrrev_b32_e32 v112, v16, v15
	v_lshlrev_b32_e64 v114, v16, 0x80000
	v_add_nc_u32_e32 v16, v16, v14
	v_and_b32_e32 v15, v17, v15
	v_bfe_u32 v113, v112, 20, 1
	v_cmp_eq_u32_e64 s13, v15, v114
	v_add_nc_u32_e32 v17, -1, v113
	v_cndmask_b32_e64 v15, 0, v17, s13
	v_lshrrev_b32_e32 v17, 23, v112
	s_mov_b32 s13, exec_lo
	v_add_nc_u32_e32 v15, v15, v112
	v_xor_b32_e32 v17, 1, v17
	v_and_b32_e32 v14, 0xfffff, v15
	v_add_nc_u32_e32 v15, v14, v112
                                        ; implicit-def: $vgpr14
	v_cmpx_ne_u32_e64 v16, v17
	s_xor_b32 s13, exec_lo, s13
; %bb.231:                              ;   in Loop: Header=BB4_130 Depth=2
	v_cmp_lt_u32_e32 vcc_lo, 0xffffff, v15
	v_sub_nc_u32_e32 v14, v16, v17
	v_cndmask_b32_e64 v16, 0, 1, vcc_lo
	v_add_co_ci_u32_e64 v14, null, 0, v14, vcc_lo
	v_lshrrev_b32_e32 v15, v16, v15
; %bb.232:                              ;   in Loop: Header=BB4_130 Depth=2
	s_andn2_saveexec_b32 s13, s13
; %bb.233:                              ;   in Loop: Header=BB4_130 Depth=2
	v_bfe_u32 v14, v15, 23, 1
; %bb.234:                              ;   in Loop: Header=BB4_130 Depth=2
	s_or_b32 exec_lo, exec_lo, s13
	v_lshrrev_b32_e32 v15, 20, v15
	v_min_i32_e32 v16, 15, v14
	v_cmp_gt_i32_e32 vcc_lo, 16, v14
	v_and_b32_sdwa v10, v10, v97 dst_sel:DWORD dst_unused:UNUSED_PAD src0_sel:BYTE_3 src1_sel:DWORD
	v_lshlrev_b32_e32 v16, 3, v16
	v_cndmask_b32_e32 v15, 7, v15, vcc_lo
	v_and_b32_e32 v16, 0xf8, v16
	v_and_b32_e32 v17, 7, v15
	v_or_b32_e32 v14, v14, v15
	v_or3_b32 v10, v16, v10, v17
	v_cmp_ne_u32_e32 vcc_lo, 0, v14
	v_cndmask_b32_e32 v63, 0, v10, vcc_lo
.LBB4_235:                              ;   in Loop: Header=BB4_130 Depth=2
	s_or_b32 exec_lo, exec_lo, s42
.LBB4_236:                              ;   in Loop: Header=BB4_130 Depth=2
	s_or_b32 exec_lo, exec_lo, s41
	v_cmp_gt_i16_sdwa s41, v11, v96 src0_sel:BYTE_3 src1_sel:DWORD
	s_mov_b32 s13, 0
	s_and_saveexec_b32 s42, s41
	s_xor_b32 s41, exec_lo, s42
	s_cbranch_execz .LBB4_1238
; %bb.237:                              ;   in Loop: Header=BB4_130 Depth=2
	v_cmp_eq_u16_sdwa s43, v11, v97 src0_sel:BYTE_3 src1_sel:DWORD
	s_mov_b32 s13, -1
	s_and_saveexec_b32 s42, s43
; %bb.238:                              ;   in Loop: Header=BB4_130 Depth=2
	s_xor_b32 s13, exec_lo, -1
; %bb.239:                              ;   in Loop: Header=BB4_130 Depth=2
	s_or_b32 exec_lo, exec_lo, s42
	s_and_b32 s13, s13, exec_lo
	s_or_saveexec_b32 s41, s41
	v_mov_b32_e32 v10, 0x7f800001
	s_xor_b32 exec_lo, exec_lo, s41
	s_cbranch_execnz .LBB4_1239
.LBB4_240:                              ;   in Loop: Header=BB4_130 Depth=2
	s_or_b32 exec_lo, exec_lo, s41
	s_and_saveexec_b32 s41, s13
	s_cbranch_execz .LBB4_242
.LBB4_241:                              ;   in Loop: Header=BB4_130 Depth=2
	v_bfe_u32 v10, v11, 24, 3
	v_bfe_u32 v16, v11, 27, 4
	v_ffbh_u32_e32 v14, v10
	v_cmp_eq_u32_e32 vcc_lo, 0, v16
	v_min_u32_e32 v14, 32, v14
	v_subrev_nc_u32_e32 v15, 28, v14
	v_sub_nc_u32_e32 v14, 29, v14
	v_lshlrev_b32_sdwa v15, v15, v11 dst_sel:DWORD dst_unused:UNUSED_PAD src0_sel:DWORD src1_sel:BYTE_3
	v_cndmask_b32_e32 v14, v16, v14, vcc_lo
	v_and_b32_e32 v11, 0x80000000, v11
	v_and_b32_e32 v15, 7, v15
	v_lshl_add_u32 v14, v14, 23, 0x3b800000
	v_cndmask_b32_e32 v10, v10, v15, vcc_lo
	v_lshlrev_b32_e32 v10, 20, v10
	v_or3_b32 v10, v11, v14, v10
.LBB4_242:                              ;   in Loop: Header=BB4_130 Depth=2
	s_or_b32 exec_lo, exec_lo, s41
	v_mul_f32_e32 v10, s40, v10
	v_mov_b32_e32 v77, 0x8000
	s_mov_b32 s41, exec_lo
	v_and_b32_e32 v11, 0x7f800000, v10
	v_cmpx_ne_u32_e32 0x7f800000, v11
	s_cbranch_execz .LBB4_250
; %bb.243:                              ;   in Loop: Header=BB4_130 Depth=2
	v_mov_b32_e32 v77, 0
	s_mov_b32 s42, exec_lo
	v_cmpx_ne_u32_e32 0, v10
	s_cbranch_execz .LBB4_249
; %bb.244:                              ;   in Loop: Header=BB4_130 Depth=2
	v_bfe_u32 v11, v10, 23, 8
	v_and_b32_e32 v14, 0x7fffff, v10
	v_sub_nc_u32_e32 v15, 0x78, v11
	v_cmp_gt_u32_e32 vcc_lo, 0x79, v11
	v_or_b32_e32 v16, 0x800000, v14
	v_cndmask_b32_e32 v15, 0, v15, vcc_lo
	v_cmp_eq_u32_e32 vcc_lo, 0, v11
	v_add_nc_u32_e32 v11, 0xffffff89, v11
	v_cndmask_b32_e64 v15, v15, 0x77, vcc_lo
	v_cndmask_b32_e32 v14, v16, v14, vcc_lo
	v_cndmask_b32_e64 v11, v11, 0xffffff8a, vcc_lo
	v_lshl_add_u32 v16, 0x100000, v15, -1
	v_lshrrev_b32_e32 v17, v15, v14
	v_lshlrev_b32_e64 v113, v15, 0x80000
	v_add_nc_u32_e32 v15, v15, v11
	v_and_b32_e32 v14, v16, v14
	v_bfe_u32 v112, v17, 20, 1
	v_cmp_eq_u32_e64 s13, v14, v113
	v_add_nc_u32_e32 v16, -1, v112
	v_cndmask_b32_e64 v14, 0, v16, s13
	v_lshrrev_b32_e32 v16, 23, v17
	s_mov_b32 s13, exec_lo
	v_add_nc_u32_e32 v14, v14, v17
	v_xor_b32_e32 v16, 1, v16
	v_and_b32_e32 v11, 0xfffff, v14
	v_add_nc_u32_e32 v14, v11, v17
                                        ; implicit-def: $vgpr11
	v_cmpx_ne_u32_e64 v15, v16
	s_xor_b32 s13, exec_lo, s13
; %bb.245:                              ;   in Loop: Header=BB4_130 Depth=2
	v_cmp_lt_u32_e32 vcc_lo, 0xffffff, v14
	v_sub_nc_u32_e32 v11, v15, v16
	v_cndmask_b32_e64 v15, 0, 1, vcc_lo
	v_add_co_ci_u32_e64 v11, null, 0, v11, vcc_lo
	v_lshrrev_b32_e32 v14, v15, v14
; %bb.246:                              ;   in Loop: Header=BB4_130 Depth=2
	s_andn2_saveexec_b32 s13, s13
; %bb.247:                              ;   in Loop: Header=BB4_130 Depth=2
	v_bfe_u32 v11, v14, 23, 1
; %bb.248:                              ;   in Loop: Header=BB4_130 Depth=2
	s_or_b32 exec_lo, exec_lo, s13
	v_lshrrev_b32_e32 v14, 20, v14
	v_min_i32_e32 v15, 15, v11
	v_cmp_gt_i32_e32 vcc_lo, 16, v11
	v_and_b32_sdwa v10, v10, v97 dst_sel:DWORD dst_unused:UNUSED_PAD src0_sel:BYTE_3 src1_sel:DWORD
	v_lshlrev_b32_e32 v15, 3, v15
	v_cndmask_b32_e32 v14, 7, v14, vcc_lo
	v_and_b32_e32 v15, 0xf8, v15
	v_and_b32_e32 v16, 7, v14
	v_or_b32_e32 v11, v11, v14
	v_or3_b32 v10, v10, v15, v16
	v_cmp_ne_u32_e32 vcc_lo, 0, v11
	v_lshlrev_b32_e32 v10, 8, v10
	v_cndmask_b32_e32 v77, 0, v10, vcc_lo
.LBB4_249:                              ;   in Loop: Header=BB4_130 Depth=2
	s_or_b32 exec_lo, exec_lo, s42
.LBB4_250:                              ;   in Loop: Header=BB4_130 Depth=2
	s_or_b32 exec_lo, exec_lo, s41
	v_cmp_gt_i16_sdwa s41, v12, v96 src0_sel:BYTE_0 src1_sel:DWORD
	s_mov_b32 s13, 0
	s_and_saveexec_b32 s42, s41
	s_xor_b32 s41, exec_lo, s42
	s_cbranch_execz .LBB4_1240
; %bb.251:                              ;   in Loop: Header=BB4_130 Depth=2
	v_cmp_eq_u16_sdwa s43, v12, v97 src0_sel:BYTE_0 src1_sel:DWORD
	s_mov_b32 s13, -1
	s_and_saveexec_b32 s42, s43
; %bb.252:                              ;   in Loop: Header=BB4_130 Depth=2
	s_xor_b32 s13, exec_lo, -1
; %bb.253:                              ;   in Loop: Header=BB4_130 Depth=2
	s_or_b32 exec_lo, exec_lo, s42
	s_and_b32 s13, s13, exec_lo
	s_or_saveexec_b32 s41, s41
	v_mov_b32_e32 v10, 0x7f800001
	s_xor_b32 exec_lo, exec_lo, s41
	s_cbranch_execnz .LBB4_1241
.LBB4_254:                              ;   in Loop: Header=BB4_130 Depth=2
	s_or_b32 exec_lo, exec_lo, s41
	s_and_saveexec_b32 s41, s13
	s_cbranch_execz .LBB4_256
.LBB4_255:                              ;   in Loop: Header=BB4_130 Depth=2
	v_and_b32_e32 v10, 7, v12
	v_bfe_u32 v15, v12, 3, 4
	v_lshlrev_b32_e32 v16, 24, v12
	v_ffbh_u32_e32 v11, v10
	v_cmp_eq_u32_e32 vcc_lo, 0, v15
	v_min_u32_e32 v11, 32, v11
	v_subrev_nc_u32_e32 v14, 28, v11
	v_sub_nc_u32_e32 v11, 29, v11
	v_lshlrev_b32_e32 v14, v14, v12
	v_cndmask_b32_e32 v11, v15, v11, vcc_lo
	v_and_b32_e32 v14, 7, v14
	v_lshl_add_u32 v11, v11, 23, 0x3b800000
	v_cndmask_b32_e32 v10, v10, v14, vcc_lo
	v_and_b32_e32 v14, 0x80000000, v16
	v_lshlrev_b32_e32 v10, 20, v10
	v_or3_b32 v10, v14, v11, v10
.LBB4_256:                              ;   in Loop: Header=BB4_130 Depth=2
	s_or_b32 exec_lo, exec_lo, s41
	v_mul_f32_e32 v10, s40, v10
	v_mov_b32_e32 v74, 0x80
	s_mov_b32 s41, exec_lo
	v_and_b32_e32 v11, 0x7f800000, v10
	v_cmpx_ne_u32_e32 0x7f800000, v11
	s_cbranch_execz .LBB4_264
; %bb.257:                              ;   in Loop: Header=BB4_130 Depth=2
	v_mov_b32_e32 v74, 0
	s_mov_b32 s42, exec_lo
	v_cmpx_ne_u32_e32 0, v10
	s_cbranch_execz .LBB4_263
; %bb.258:                              ;   in Loop: Header=BB4_130 Depth=2
	v_bfe_u32 v11, v10, 23, 8
	v_and_b32_e32 v14, 0x7fffff, v10
	v_sub_nc_u32_e32 v15, 0x78, v11
	v_cmp_gt_u32_e32 vcc_lo, 0x79, v11
	v_or_b32_e32 v16, 0x800000, v14
	v_cndmask_b32_e32 v15, 0, v15, vcc_lo
	v_cmp_eq_u32_e32 vcc_lo, 0, v11
	v_add_nc_u32_e32 v11, 0xffffff89, v11
	v_cndmask_b32_e64 v15, v15, 0x77, vcc_lo
	v_cndmask_b32_e32 v14, v16, v14, vcc_lo
	v_cndmask_b32_e64 v11, v11, 0xffffff8a, vcc_lo
	v_lshl_add_u32 v16, 0x100000, v15, -1
	v_lshrrev_b32_e32 v17, v15, v14
	v_lshlrev_b32_e64 v113, v15, 0x80000
	v_add_nc_u32_e32 v15, v15, v11
	v_and_b32_e32 v14, v16, v14
	v_bfe_u32 v112, v17, 20, 1
	v_cmp_eq_u32_e64 s13, v14, v113
	v_add_nc_u32_e32 v16, -1, v112
	v_cndmask_b32_e64 v14, 0, v16, s13
	v_lshrrev_b32_e32 v16, 23, v17
	s_mov_b32 s13, exec_lo
	v_add_nc_u32_e32 v14, v14, v17
	v_xor_b32_e32 v16, 1, v16
	v_and_b32_e32 v11, 0xfffff, v14
	v_add_nc_u32_e32 v14, v11, v17
                                        ; implicit-def: $vgpr11
	v_cmpx_ne_u32_e64 v15, v16
	s_xor_b32 s13, exec_lo, s13
; %bb.259:                              ;   in Loop: Header=BB4_130 Depth=2
	v_cmp_lt_u32_e32 vcc_lo, 0xffffff, v14
	v_sub_nc_u32_e32 v11, v15, v16
	v_cndmask_b32_e64 v15, 0, 1, vcc_lo
	v_add_co_ci_u32_e64 v11, null, 0, v11, vcc_lo
	v_lshrrev_b32_e32 v14, v15, v14
; %bb.260:                              ;   in Loop: Header=BB4_130 Depth=2
	s_andn2_saveexec_b32 s13, s13
; %bb.261:                              ;   in Loop: Header=BB4_130 Depth=2
	v_bfe_u32 v11, v14, 23, 1
; %bb.262:                              ;   in Loop: Header=BB4_130 Depth=2
	s_or_b32 exec_lo, exec_lo, s13
	v_lshrrev_b32_e32 v14, 20, v14
	v_min_i32_e32 v15, 15, v11
	v_cmp_gt_i32_e32 vcc_lo, 16, v11
	v_and_b32_sdwa v10, v10, v97 dst_sel:DWORD dst_unused:UNUSED_PAD src0_sel:BYTE_3 src1_sel:DWORD
	v_lshlrev_b32_e32 v15, 3, v15
	v_cndmask_b32_e32 v14, 7, v14, vcc_lo
	v_and_b32_e32 v15, 0xf8, v15
	v_and_b32_e32 v16, 7, v14
	v_or_b32_e32 v11, v11, v14
	v_or3_b32 v10, v15, v10, v16
	v_cmp_ne_u32_e32 vcc_lo, 0, v11
	v_cndmask_b32_e32 v74, 0, v10, vcc_lo
.LBB4_263:                              ;   in Loop: Header=BB4_130 Depth=2
	s_or_b32 exec_lo, exec_lo, s42
.LBB4_264:                              ;   in Loop: Header=BB4_130 Depth=2
	s_or_b32 exec_lo, exec_lo, s41
	v_cmp_gt_i16_sdwa s41, v12, v96 src0_sel:BYTE_1 src1_sel:DWORD
	s_mov_b32 s13, 0
	s_and_saveexec_b32 s42, s41
	s_xor_b32 s41, exec_lo, s42
	s_cbranch_execz .LBB4_1242
; %bb.265:                              ;   in Loop: Header=BB4_130 Depth=2
	v_cmp_eq_u16_sdwa s43, v12, v97 src0_sel:BYTE_1 src1_sel:DWORD
	s_mov_b32 s13, -1
	s_and_saveexec_b32 s42, s43
; %bb.266:                              ;   in Loop: Header=BB4_130 Depth=2
	s_xor_b32 s13, exec_lo, -1
; %bb.267:                              ;   in Loop: Header=BB4_130 Depth=2
	s_or_b32 exec_lo, exec_lo, s42
	s_and_b32 s13, s13, exec_lo
	s_or_saveexec_b32 s41, s41
	v_mov_b32_e32 v10, 0x7f800001
	s_xor_b32 exec_lo, exec_lo, s41
	s_cbranch_execnz .LBB4_1243
.LBB4_268:                              ;   in Loop: Header=BB4_130 Depth=2
	s_or_b32 exec_lo, exec_lo, s41
	s_and_saveexec_b32 s41, s13
	s_cbranch_execz .LBB4_270
.LBB4_269:                              ;   in Loop: Header=BB4_130 Depth=2
	v_and_b32_sdwa v10, v98, v12 dst_sel:DWORD dst_unused:UNUSED_PAD src0_sel:DWORD src1_sel:BYTE_1
	v_and_b32_e32 v11, 7, v10
	v_bfe_u32 v16, v10, 3, 4
	v_ffbh_u32_e32 v14, v11
	v_cmp_eq_u32_e32 vcc_lo, 0, v16
	v_min_u32_e32 v14, 32, v14
	v_subrev_nc_u32_e32 v15, 28, v14
	v_sub_nc_u32_e32 v14, 29, v14
	v_lshlrev_b32_e32 v10, v15, v10
	v_lshlrev_b32_sdwa v15, v99, v12 dst_sel:DWORD dst_unused:UNUSED_PAD src0_sel:DWORD src1_sel:BYTE_1
	v_cndmask_b32_e32 v14, v16, v14, vcc_lo
	v_and_b32_e32 v10, 7, v10
	v_lshl_add_u32 v14, v14, 23, 0x3b800000
	v_cndmask_b32_e32 v10, v11, v10, vcc_lo
	v_and_b32_e32 v11, 0x80000000, v15
	v_lshlrev_b32_e32 v10, 20, v10
	v_or3_b32 v10, v11, v14, v10
.LBB4_270:                              ;   in Loop: Header=BB4_130 Depth=2
	s_or_b32 exec_lo, exec_lo, s41
	v_mul_f32_e32 v10, s40, v10
	v_mov_b32_e32 v76, 0x8000
	s_mov_b32 s41, exec_lo
	v_and_b32_e32 v11, 0x7f800000, v10
	v_cmpx_ne_u32_e32 0x7f800000, v11
	s_cbranch_execz .LBB4_278
; %bb.271:                              ;   in Loop: Header=BB4_130 Depth=2
	v_mov_b32_e32 v76, 0
	s_mov_b32 s42, exec_lo
	v_cmpx_ne_u32_e32 0, v10
	s_cbranch_execz .LBB4_277
; %bb.272:                              ;   in Loop: Header=BB4_130 Depth=2
	v_bfe_u32 v11, v10, 23, 8
	v_and_b32_e32 v14, 0x7fffff, v10
	v_sub_nc_u32_e32 v15, 0x78, v11
	v_cmp_gt_u32_e32 vcc_lo, 0x79, v11
	v_or_b32_e32 v16, 0x800000, v14
	v_cndmask_b32_e32 v15, 0, v15, vcc_lo
	v_cmp_eq_u32_e32 vcc_lo, 0, v11
	v_add_nc_u32_e32 v11, 0xffffff89, v11
	v_cndmask_b32_e64 v15, v15, 0x77, vcc_lo
	v_cndmask_b32_e32 v14, v16, v14, vcc_lo
	v_cndmask_b32_e64 v11, v11, 0xffffff8a, vcc_lo
	v_lshl_add_u32 v16, 0x100000, v15, -1
	v_lshrrev_b32_e32 v17, v15, v14
	v_lshlrev_b32_e64 v113, v15, 0x80000
	v_add_nc_u32_e32 v15, v15, v11
	v_and_b32_e32 v14, v16, v14
	v_bfe_u32 v112, v17, 20, 1
	v_cmp_eq_u32_e64 s13, v14, v113
	v_add_nc_u32_e32 v16, -1, v112
	v_cndmask_b32_e64 v14, 0, v16, s13
	v_lshrrev_b32_e32 v16, 23, v17
	s_mov_b32 s13, exec_lo
	v_add_nc_u32_e32 v14, v14, v17
	v_xor_b32_e32 v16, 1, v16
	v_and_b32_e32 v11, 0xfffff, v14
	v_add_nc_u32_e32 v14, v11, v17
                                        ; implicit-def: $vgpr11
	v_cmpx_ne_u32_e64 v15, v16
	s_xor_b32 s13, exec_lo, s13
; %bb.273:                              ;   in Loop: Header=BB4_130 Depth=2
	v_cmp_lt_u32_e32 vcc_lo, 0xffffff, v14
	v_sub_nc_u32_e32 v11, v15, v16
	v_cndmask_b32_e64 v15, 0, 1, vcc_lo
	v_add_co_ci_u32_e64 v11, null, 0, v11, vcc_lo
	v_lshrrev_b32_e32 v14, v15, v14
; %bb.274:                              ;   in Loop: Header=BB4_130 Depth=2
	s_andn2_saveexec_b32 s13, s13
; %bb.275:                              ;   in Loop: Header=BB4_130 Depth=2
	v_bfe_u32 v11, v14, 23, 1
; %bb.276:                              ;   in Loop: Header=BB4_130 Depth=2
	s_or_b32 exec_lo, exec_lo, s13
	v_lshrrev_b32_e32 v14, 20, v14
	v_min_i32_e32 v15, 15, v11
	v_cmp_gt_i32_e32 vcc_lo, 16, v11
	v_and_b32_sdwa v10, v10, v97 dst_sel:DWORD dst_unused:UNUSED_PAD src0_sel:BYTE_3 src1_sel:DWORD
	v_lshlrev_b32_e32 v15, 3, v15
	v_cndmask_b32_e32 v14, 7, v14, vcc_lo
	v_and_b32_e32 v15, 0xf8, v15
	v_and_b32_e32 v16, 7, v14
	v_or_b32_e32 v11, v11, v14
	v_or3_b32 v10, v10, v15, v16
	v_cmp_ne_u32_e32 vcc_lo, 0, v11
	v_lshlrev_b32_e32 v10, 8, v10
	v_cndmask_b32_e32 v76, 0, v10, vcc_lo
.LBB4_277:                              ;   in Loop: Header=BB4_130 Depth=2
	s_or_b32 exec_lo, exec_lo, s42
.LBB4_278:                              ;   in Loop: Header=BB4_130 Depth=2
	s_or_b32 exec_lo, exec_lo, s41
	v_and_b32_sdwa v11, v12, v100 dst_sel:DWORD dst_unused:UNUSED_PAD src0_sel:WORD_1 src1_sel:DWORD
	s_mov_b32 s13, 0
	s_mov_b32 s41, exec_lo
	v_cmpx_lt_i16_e32 0x7f, v11
	s_xor_b32 s41, exec_lo, s41
	s_cbranch_execz .LBB4_1244
; %bb.279:                              ;   in Loop: Header=BB4_130 Depth=2
	s_mov_b32 s13, -1
	s_mov_b32 s42, exec_lo
	v_cmpx_eq_u16_e32 0x80, v11
; %bb.280:                              ;   in Loop: Header=BB4_130 Depth=2
	s_xor_b32 s13, exec_lo, -1
; %bb.281:                              ;   in Loop: Header=BB4_130 Depth=2
	s_or_b32 exec_lo, exec_lo, s42
	s_and_b32 s13, s13, exec_lo
                                        ; implicit-def: $vgpr11
	s_or_saveexec_b32 s41, s41
	v_mov_b32_e32 v10, 0x7f800001
	s_xor_b32 exec_lo, exec_lo, s41
	s_cbranch_execnz .LBB4_1245
.LBB4_282:                              ;   in Loop: Header=BB4_130 Depth=2
	s_or_b32 exec_lo, exec_lo, s41
	s_and_saveexec_b32 s41, s13
	s_cbranch_execz .LBB4_284
.LBB4_283:                              ;   in Loop: Header=BB4_130 Depth=2
	v_bfe_u32 v10, v12, 16, 3
	v_bfe_u32 v15, v12, 19, 4
	v_lshlrev_b32_e32 v16, 8, v12
	v_ffbh_u32_e32 v11, v10
	v_cmp_eq_u32_e32 vcc_lo, 0, v15
	v_min_u32_e32 v11, 32, v11
	v_subrev_nc_u32_e32 v14, 28, v11
	v_sub_nc_u32_e32 v11, 29, v11
	v_lshlrev_b32_sdwa v14, v14, v12 dst_sel:DWORD dst_unused:UNUSED_PAD src0_sel:DWORD src1_sel:WORD_1
	v_cndmask_b32_e32 v11, v15, v11, vcc_lo
	v_and_b32_e32 v14, 7, v14
	v_lshl_add_u32 v11, v11, 23, 0x3b800000
	v_cndmask_b32_e32 v10, v10, v14, vcc_lo
	v_and_b32_e32 v14, 0x80000000, v16
	v_lshlrev_b32_e32 v10, 20, v10
	v_or3_b32 v10, v14, v11, v10
.LBB4_284:                              ;   in Loop: Header=BB4_130 Depth=2
	s_or_b32 exec_lo, exec_lo, s41
	v_mul_f32_e32 v10, s40, v10
	v_mov_b32_e32 v72, 0x80
	s_mov_b32 s41, exec_lo
	v_and_b32_e32 v11, 0x7f800000, v10
	v_cmpx_ne_u32_e32 0x7f800000, v11
	s_cbranch_execz .LBB4_292
; %bb.285:                              ;   in Loop: Header=BB4_130 Depth=2
	v_mov_b32_e32 v72, 0
	s_mov_b32 s42, exec_lo
	v_cmpx_ne_u32_e32 0, v10
	s_cbranch_execz .LBB4_291
; %bb.286:                              ;   in Loop: Header=BB4_130 Depth=2
	v_bfe_u32 v11, v10, 23, 8
	v_and_b32_e32 v14, 0x7fffff, v10
	v_sub_nc_u32_e32 v15, 0x78, v11
	v_cmp_gt_u32_e32 vcc_lo, 0x79, v11
	v_or_b32_e32 v16, 0x800000, v14
	v_cndmask_b32_e32 v15, 0, v15, vcc_lo
	v_cmp_eq_u32_e32 vcc_lo, 0, v11
	v_add_nc_u32_e32 v11, 0xffffff89, v11
	v_cndmask_b32_e64 v15, v15, 0x77, vcc_lo
	v_cndmask_b32_e32 v14, v16, v14, vcc_lo
	v_cndmask_b32_e64 v11, v11, 0xffffff8a, vcc_lo
	v_lshl_add_u32 v16, 0x100000, v15, -1
	v_lshrrev_b32_e32 v17, v15, v14
	v_lshlrev_b32_e64 v113, v15, 0x80000
	v_add_nc_u32_e32 v15, v15, v11
	v_and_b32_e32 v14, v16, v14
	v_bfe_u32 v112, v17, 20, 1
	v_cmp_eq_u32_e64 s13, v14, v113
	v_add_nc_u32_e32 v16, -1, v112
	v_cndmask_b32_e64 v14, 0, v16, s13
	v_lshrrev_b32_e32 v16, 23, v17
	s_mov_b32 s13, exec_lo
	v_add_nc_u32_e32 v14, v14, v17
	v_xor_b32_e32 v16, 1, v16
	v_and_b32_e32 v11, 0xfffff, v14
	v_add_nc_u32_e32 v14, v11, v17
                                        ; implicit-def: $vgpr11
	v_cmpx_ne_u32_e64 v15, v16
	s_xor_b32 s13, exec_lo, s13
; %bb.287:                              ;   in Loop: Header=BB4_130 Depth=2
	v_cmp_lt_u32_e32 vcc_lo, 0xffffff, v14
	v_sub_nc_u32_e32 v11, v15, v16
	v_cndmask_b32_e64 v15, 0, 1, vcc_lo
	v_add_co_ci_u32_e64 v11, null, 0, v11, vcc_lo
	v_lshrrev_b32_e32 v14, v15, v14
; %bb.288:                              ;   in Loop: Header=BB4_130 Depth=2
	s_andn2_saveexec_b32 s13, s13
; %bb.289:                              ;   in Loop: Header=BB4_130 Depth=2
	v_bfe_u32 v11, v14, 23, 1
; %bb.290:                              ;   in Loop: Header=BB4_130 Depth=2
	s_or_b32 exec_lo, exec_lo, s13
	v_lshrrev_b32_e32 v14, 20, v14
	v_min_i32_e32 v15, 15, v11
	v_cmp_gt_i32_e32 vcc_lo, 16, v11
	v_and_b32_sdwa v10, v10, v97 dst_sel:DWORD dst_unused:UNUSED_PAD src0_sel:BYTE_3 src1_sel:DWORD
	v_lshlrev_b32_e32 v15, 3, v15
	v_cndmask_b32_e32 v14, 7, v14, vcc_lo
	v_and_b32_e32 v15, 0xf8, v15
	v_and_b32_e32 v16, 7, v14
	v_or_b32_e32 v11, v11, v14
	v_or3_b32 v10, v15, v10, v16
	v_cmp_ne_u32_e32 vcc_lo, 0, v11
	v_cndmask_b32_e32 v72, 0, v10, vcc_lo
.LBB4_291:                              ;   in Loop: Header=BB4_130 Depth=2
	s_or_b32 exec_lo, exec_lo, s42
.LBB4_292:                              ;   in Loop: Header=BB4_130 Depth=2
	s_or_b32 exec_lo, exec_lo, s41
	v_cmp_gt_i16_sdwa s41, v12, v96 src0_sel:BYTE_3 src1_sel:DWORD
	s_mov_b32 s13, 0
	s_and_saveexec_b32 s42, s41
	s_xor_b32 s41, exec_lo, s42
	s_cbranch_execz .LBB4_1246
; %bb.293:                              ;   in Loop: Header=BB4_130 Depth=2
	v_cmp_eq_u16_sdwa s43, v12, v97 src0_sel:BYTE_3 src1_sel:DWORD
	s_mov_b32 s13, -1
	s_and_saveexec_b32 s42, s43
; %bb.294:                              ;   in Loop: Header=BB4_130 Depth=2
	s_xor_b32 s13, exec_lo, -1
; %bb.295:                              ;   in Loop: Header=BB4_130 Depth=2
	s_or_b32 exec_lo, exec_lo, s42
	s_and_b32 s13, s13, exec_lo
	s_or_saveexec_b32 s41, s41
	v_mov_b32_e32 v10, 0x7f800001
	s_xor_b32 exec_lo, exec_lo, s41
	s_cbranch_execnz .LBB4_1247
.LBB4_296:                              ;   in Loop: Header=BB4_130 Depth=2
	s_or_b32 exec_lo, exec_lo, s41
	s_and_saveexec_b32 s41, s13
	s_cbranch_execz .LBB4_298
.LBB4_297:                              ;   in Loop: Header=BB4_130 Depth=2
	v_bfe_u32 v10, v12, 24, 3
	v_bfe_u32 v15, v12, 27, 4
	v_ffbh_u32_e32 v11, v10
	v_cmp_eq_u32_e32 vcc_lo, 0, v15
	v_min_u32_e32 v11, 32, v11
	v_subrev_nc_u32_e32 v14, 28, v11
	v_sub_nc_u32_e32 v11, 29, v11
	v_lshlrev_b32_sdwa v14, v14, v12 dst_sel:DWORD dst_unused:UNUSED_PAD src0_sel:DWORD src1_sel:BYTE_3
	v_cndmask_b32_e32 v11, v15, v11, vcc_lo
	v_and_b32_e32 v12, 0x80000000, v12
	v_and_b32_e32 v14, 7, v14
	v_lshl_add_u32 v11, v11, 23, 0x3b800000
	v_cndmask_b32_e32 v10, v10, v14, vcc_lo
	v_lshlrev_b32_e32 v10, 20, v10
	v_or3_b32 v10, v12, v11, v10
.LBB4_298:                              ;   in Loop: Header=BB4_130 Depth=2
	s_or_b32 exec_lo, exec_lo, s41
	v_mul_f32_e32 v10, s40, v10
	v_mov_b32_e32 v75, 0x8000
	s_mov_b32 s41, exec_lo
	v_and_b32_e32 v11, 0x7f800000, v10
	v_cmpx_ne_u32_e32 0x7f800000, v11
	s_cbranch_execz .LBB4_306
; %bb.299:                              ;   in Loop: Header=BB4_130 Depth=2
	v_mov_b32_e32 v75, 0
	s_mov_b32 s42, exec_lo
	v_cmpx_ne_u32_e32 0, v10
	s_cbranch_execz .LBB4_305
; %bb.300:                              ;   in Loop: Header=BB4_130 Depth=2
	v_bfe_u32 v11, v10, 23, 8
	v_and_b32_e32 v12, 0x7fffff, v10
	v_sub_nc_u32_e32 v14, 0x78, v11
	v_cmp_gt_u32_e32 vcc_lo, 0x79, v11
	v_or_b32_e32 v15, 0x800000, v12
	v_cndmask_b32_e32 v14, 0, v14, vcc_lo
	v_cmp_eq_u32_e32 vcc_lo, 0, v11
	v_add_nc_u32_e32 v11, 0xffffff89, v11
	v_cndmask_b32_e64 v14, v14, 0x77, vcc_lo
	v_cndmask_b32_e32 v12, v15, v12, vcc_lo
	v_cndmask_b32_e64 v11, v11, 0xffffff8a, vcc_lo
	v_lshl_add_u32 v15, 0x100000, v14, -1
	v_lshrrev_b32_e32 v16, v14, v12
	v_lshlrev_b32_e64 v112, v14, 0x80000
	v_add_nc_u32_e32 v14, v14, v11
	v_and_b32_e32 v12, v15, v12
	v_bfe_u32 v17, v16, 20, 1
	v_cmp_eq_u32_e64 s13, v12, v112
	v_add_nc_u32_e32 v15, -1, v17
	v_cndmask_b32_e64 v12, 0, v15, s13
	v_lshrrev_b32_e32 v15, 23, v16
	s_mov_b32 s13, exec_lo
	v_add_nc_u32_e32 v12, v12, v16
	v_xor_b32_e32 v15, 1, v15
	v_and_b32_e32 v11, 0xfffff, v12
	v_add_nc_u32_e32 v12, v11, v16
                                        ; implicit-def: $vgpr11
	v_cmpx_ne_u32_e64 v14, v15
	s_xor_b32 s13, exec_lo, s13
; %bb.301:                              ;   in Loop: Header=BB4_130 Depth=2
	v_cmp_lt_u32_e32 vcc_lo, 0xffffff, v12
	v_sub_nc_u32_e32 v11, v14, v15
	v_cndmask_b32_e64 v14, 0, 1, vcc_lo
	v_add_co_ci_u32_e64 v11, null, 0, v11, vcc_lo
	v_lshrrev_b32_e32 v12, v14, v12
; %bb.302:                              ;   in Loop: Header=BB4_130 Depth=2
	s_andn2_saveexec_b32 s13, s13
; %bb.303:                              ;   in Loop: Header=BB4_130 Depth=2
	v_bfe_u32 v11, v12, 23, 1
; %bb.304:                              ;   in Loop: Header=BB4_130 Depth=2
	s_or_b32 exec_lo, exec_lo, s13
	v_lshrrev_b32_e32 v12, 20, v12
	v_min_i32_e32 v14, 15, v11
	v_cmp_gt_i32_e32 vcc_lo, 16, v11
	v_and_b32_sdwa v10, v10, v97 dst_sel:DWORD dst_unused:UNUSED_PAD src0_sel:BYTE_3 src1_sel:DWORD
	v_lshlrev_b32_e32 v14, 3, v14
	v_cndmask_b32_e32 v12, 7, v12, vcc_lo
	v_and_b32_e32 v14, 0xf8, v14
	v_and_b32_e32 v15, 7, v12
	v_or_b32_e32 v11, v11, v12
	v_or3_b32 v10, v10, v14, v15
	v_cmp_ne_u32_e32 vcc_lo, 0, v11
	v_lshlrev_b32_e32 v10, 8, v10
	v_cndmask_b32_e32 v75, 0, v10, vcc_lo
.LBB4_305:                              ;   in Loop: Header=BB4_130 Depth=2
	s_or_b32 exec_lo, exec_lo, s42
.LBB4_306:                              ;   in Loop: Header=BB4_130 Depth=2
	s_or_b32 exec_lo, exec_lo, s41
	v_cmp_gt_i16_sdwa s41, v13, v96 src0_sel:BYTE_0 src1_sel:DWORD
	s_mov_b32 s13, 0
	s_and_saveexec_b32 s42, s41
	s_xor_b32 s41, exec_lo, s42
	s_cbranch_execz .LBB4_1248
; %bb.307:                              ;   in Loop: Header=BB4_130 Depth=2
	v_cmp_eq_u16_sdwa s43, v13, v97 src0_sel:BYTE_0 src1_sel:DWORD
	s_mov_b32 s13, -1
	s_and_saveexec_b32 s42, s43
; %bb.308:                              ;   in Loop: Header=BB4_130 Depth=2
	s_xor_b32 s13, exec_lo, -1
; %bb.309:                              ;   in Loop: Header=BB4_130 Depth=2
	s_or_b32 exec_lo, exec_lo, s42
	s_and_b32 s13, s13, exec_lo
	s_or_saveexec_b32 s41, s41
	v_mov_b32_e32 v10, 0x7f800001
	s_xor_b32 exec_lo, exec_lo, s41
	s_cbranch_execnz .LBB4_1249
.LBB4_310:                              ;   in Loop: Header=BB4_130 Depth=2
	s_or_b32 exec_lo, exec_lo, s41
	s_and_saveexec_b32 s41, s13
	s_cbranch_execz .LBB4_312
.LBB4_311:                              ;   in Loop: Header=BB4_130 Depth=2
	v_and_b32_e32 v10, 7, v13
	v_bfe_u32 v14, v13, 3, 4
	v_lshlrev_b32_e32 v15, 24, v13
	v_ffbh_u32_e32 v11, v10
	v_cmp_eq_u32_e32 vcc_lo, 0, v14
	v_min_u32_e32 v11, 32, v11
	v_subrev_nc_u32_e32 v12, 28, v11
	v_sub_nc_u32_e32 v11, 29, v11
	v_lshlrev_b32_e32 v12, v12, v13
	v_cndmask_b32_e32 v11, v14, v11, vcc_lo
	v_and_b32_e32 v12, 7, v12
	v_lshl_add_u32 v11, v11, 23, 0x3b800000
	v_cndmask_b32_e32 v10, v10, v12, vcc_lo
	v_and_b32_e32 v12, 0x80000000, v15
	v_lshlrev_b32_e32 v10, 20, v10
	v_or3_b32 v10, v12, v11, v10
.LBB4_312:                              ;   in Loop: Header=BB4_130 Depth=2
	s_or_b32 exec_lo, exec_lo, s41
	v_mul_f32_e32 v10, s40, v10
	v_mov_b32_e32 v61, 0x80
	s_mov_b32 s41, exec_lo
	v_and_b32_e32 v11, 0x7f800000, v10
	v_cmpx_ne_u32_e32 0x7f800000, v11
	s_cbranch_execz .LBB4_320
; %bb.313:                              ;   in Loop: Header=BB4_130 Depth=2
	v_mov_b32_e32 v61, 0
	s_mov_b32 s42, exec_lo
	v_cmpx_ne_u32_e32 0, v10
	s_cbranch_execz .LBB4_319
; %bb.314:                              ;   in Loop: Header=BB4_130 Depth=2
	v_bfe_u32 v11, v10, 23, 8
	v_and_b32_e32 v12, 0x7fffff, v10
	v_sub_nc_u32_e32 v14, 0x78, v11
	v_cmp_gt_u32_e32 vcc_lo, 0x79, v11
	v_or_b32_e32 v15, 0x800000, v12
	v_cndmask_b32_e32 v14, 0, v14, vcc_lo
	v_cmp_eq_u32_e32 vcc_lo, 0, v11
	v_add_nc_u32_e32 v11, 0xffffff89, v11
	v_cndmask_b32_e64 v14, v14, 0x77, vcc_lo
	v_cndmask_b32_e32 v12, v15, v12, vcc_lo
	v_cndmask_b32_e64 v11, v11, 0xffffff8a, vcc_lo
	v_lshl_add_u32 v15, 0x100000, v14, -1
	v_lshrrev_b32_e32 v16, v14, v12
	v_lshlrev_b32_e64 v112, v14, 0x80000
	v_add_nc_u32_e32 v14, v14, v11
	v_and_b32_e32 v12, v15, v12
	v_bfe_u32 v17, v16, 20, 1
	v_cmp_eq_u32_e64 s13, v12, v112
	v_add_nc_u32_e32 v15, -1, v17
	v_cndmask_b32_e64 v12, 0, v15, s13
	v_lshrrev_b32_e32 v15, 23, v16
	s_mov_b32 s13, exec_lo
	v_add_nc_u32_e32 v12, v12, v16
	v_xor_b32_e32 v15, 1, v15
	v_and_b32_e32 v11, 0xfffff, v12
	v_add_nc_u32_e32 v12, v11, v16
                                        ; implicit-def: $vgpr11
	v_cmpx_ne_u32_e64 v14, v15
	s_xor_b32 s13, exec_lo, s13
; %bb.315:                              ;   in Loop: Header=BB4_130 Depth=2
	v_cmp_lt_u32_e32 vcc_lo, 0xffffff, v12
	v_sub_nc_u32_e32 v11, v14, v15
	v_cndmask_b32_e64 v14, 0, 1, vcc_lo
	v_add_co_ci_u32_e64 v11, null, 0, v11, vcc_lo
	v_lshrrev_b32_e32 v12, v14, v12
; %bb.316:                              ;   in Loop: Header=BB4_130 Depth=2
	s_andn2_saveexec_b32 s13, s13
; %bb.317:                              ;   in Loop: Header=BB4_130 Depth=2
	v_bfe_u32 v11, v12, 23, 1
; %bb.318:                              ;   in Loop: Header=BB4_130 Depth=2
	s_or_b32 exec_lo, exec_lo, s13
	v_lshrrev_b32_e32 v12, 20, v12
	v_min_i32_e32 v14, 15, v11
	v_cmp_gt_i32_e32 vcc_lo, 16, v11
	v_and_b32_sdwa v10, v10, v97 dst_sel:DWORD dst_unused:UNUSED_PAD src0_sel:BYTE_3 src1_sel:DWORD
	v_lshlrev_b32_e32 v14, 3, v14
	v_cndmask_b32_e32 v12, 7, v12, vcc_lo
	v_and_b32_e32 v14, 0xf8, v14
	v_and_b32_e32 v15, 7, v12
	v_or_b32_e32 v11, v11, v12
	v_or3_b32 v10, v14, v10, v15
	v_cmp_ne_u32_e32 vcc_lo, 0, v11
	v_cndmask_b32_e32 v61, 0, v10, vcc_lo
.LBB4_319:                              ;   in Loop: Header=BB4_130 Depth=2
	s_or_b32 exec_lo, exec_lo, s42
.LBB4_320:                              ;   in Loop: Header=BB4_130 Depth=2
	s_or_b32 exec_lo, exec_lo, s41
	v_cmp_gt_i16_sdwa s41, v13, v96 src0_sel:BYTE_1 src1_sel:DWORD
	s_mov_b32 s13, 0
	s_and_saveexec_b32 s42, s41
	s_xor_b32 s41, exec_lo, s42
	s_cbranch_execz .LBB4_1250
; %bb.321:                              ;   in Loop: Header=BB4_130 Depth=2
	v_cmp_eq_u16_sdwa s43, v13, v97 src0_sel:BYTE_1 src1_sel:DWORD
	s_mov_b32 s13, -1
	s_and_saveexec_b32 s42, s43
; %bb.322:                              ;   in Loop: Header=BB4_130 Depth=2
	s_xor_b32 s13, exec_lo, -1
; %bb.323:                              ;   in Loop: Header=BB4_130 Depth=2
	s_or_b32 exec_lo, exec_lo, s42
	s_and_b32 s13, s13, exec_lo
	s_or_saveexec_b32 s41, s41
	v_mov_b32_e32 v10, 0x7f800001
	s_xor_b32 exec_lo, exec_lo, s41
	s_cbranch_execnz .LBB4_1251
.LBB4_324:                              ;   in Loop: Header=BB4_130 Depth=2
	s_or_b32 exec_lo, exec_lo, s41
	s_and_saveexec_b32 s41, s13
	s_cbranch_execz .LBB4_326
.LBB4_325:                              ;   in Loop: Header=BB4_130 Depth=2
	v_and_b32_sdwa v10, v98, v13 dst_sel:DWORD dst_unused:UNUSED_PAD src0_sel:DWORD src1_sel:BYTE_1
	v_and_b32_e32 v11, 7, v10
	v_bfe_u32 v15, v10, 3, 4
	v_ffbh_u32_e32 v12, v11
	v_cmp_eq_u32_e32 vcc_lo, 0, v15
	v_min_u32_e32 v12, 32, v12
	v_subrev_nc_u32_e32 v14, 28, v12
	v_sub_nc_u32_e32 v12, 29, v12
	v_lshlrev_b32_e32 v10, v14, v10
	v_lshlrev_b32_sdwa v14, v99, v13 dst_sel:DWORD dst_unused:UNUSED_PAD src0_sel:DWORD src1_sel:BYTE_1
	v_cndmask_b32_e32 v12, v15, v12, vcc_lo
	v_and_b32_e32 v10, 7, v10
	v_lshl_add_u32 v12, v12, 23, 0x3b800000
	v_cndmask_b32_e32 v10, v11, v10, vcc_lo
	v_and_b32_e32 v11, 0x80000000, v14
	v_lshlrev_b32_e32 v10, 20, v10
	v_or3_b32 v10, v11, v12, v10
.LBB4_326:                              ;   in Loop: Header=BB4_130 Depth=2
	s_or_b32 exec_lo, exec_lo, s41
	v_mul_f32_e32 v10, s40, v10
	v_mov_b32_e32 v73, 0x8000
	s_mov_b32 s41, exec_lo
	v_and_b32_e32 v11, 0x7f800000, v10
	v_cmpx_ne_u32_e32 0x7f800000, v11
	s_cbranch_execz .LBB4_334
; %bb.327:                              ;   in Loop: Header=BB4_130 Depth=2
	v_mov_b32_e32 v73, 0
	s_mov_b32 s42, exec_lo
	v_cmpx_ne_u32_e32 0, v10
	s_cbranch_execz .LBB4_333
; %bb.328:                              ;   in Loop: Header=BB4_130 Depth=2
	v_bfe_u32 v11, v10, 23, 8
	v_and_b32_e32 v12, 0x7fffff, v10
	v_sub_nc_u32_e32 v14, 0x78, v11
	v_cmp_gt_u32_e32 vcc_lo, 0x79, v11
	v_or_b32_e32 v15, 0x800000, v12
	v_cndmask_b32_e32 v14, 0, v14, vcc_lo
	v_cmp_eq_u32_e32 vcc_lo, 0, v11
	v_add_nc_u32_e32 v11, 0xffffff89, v11
	v_cndmask_b32_e64 v14, v14, 0x77, vcc_lo
	v_cndmask_b32_e32 v12, v15, v12, vcc_lo
	v_cndmask_b32_e64 v11, v11, 0xffffff8a, vcc_lo
	v_lshl_add_u32 v15, 0x100000, v14, -1
	v_lshrrev_b32_e32 v16, v14, v12
	v_lshlrev_b32_e64 v112, v14, 0x80000
	v_add_nc_u32_e32 v14, v14, v11
	v_and_b32_e32 v12, v15, v12
	v_bfe_u32 v17, v16, 20, 1
	v_cmp_eq_u32_e64 s13, v12, v112
	v_add_nc_u32_e32 v15, -1, v17
	v_cndmask_b32_e64 v12, 0, v15, s13
	v_lshrrev_b32_e32 v15, 23, v16
	s_mov_b32 s13, exec_lo
	v_add_nc_u32_e32 v12, v12, v16
	v_xor_b32_e32 v15, 1, v15
	v_and_b32_e32 v11, 0xfffff, v12
	v_add_nc_u32_e32 v12, v11, v16
                                        ; implicit-def: $vgpr11
	v_cmpx_ne_u32_e64 v14, v15
	s_xor_b32 s13, exec_lo, s13
; %bb.329:                              ;   in Loop: Header=BB4_130 Depth=2
	v_cmp_lt_u32_e32 vcc_lo, 0xffffff, v12
	v_sub_nc_u32_e32 v11, v14, v15
	v_cndmask_b32_e64 v14, 0, 1, vcc_lo
	v_add_co_ci_u32_e64 v11, null, 0, v11, vcc_lo
	v_lshrrev_b32_e32 v12, v14, v12
; %bb.330:                              ;   in Loop: Header=BB4_130 Depth=2
	s_andn2_saveexec_b32 s13, s13
; %bb.331:                              ;   in Loop: Header=BB4_130 Depth=2
	v_bfe_u32 v11, v12, 23, 1
; %bb.332:                              ;   in Loop: Header=BB4_130 Depth=2
	s_or_b32 exec_lo, exec_lo, s13
	v_lshrrev_b32_e32 v12, 20, v12
	v_min_i32_e32 v14, 15, v11
	v_cmp_gt_i32_e32 vcc_lo, 16, v11
	v_and_b32_sdwa v10, v10, v97 dst_sel:DWORD dst_unused:UNUSED_PAD src0_sel:BYTE_3 src1_sel:DWORD
	v_lshlrev_b32_e32 v14, 3, v14
	v_cndmask_b32_e32 v12, 7, v12, vcc_lo
	v_and_b32_e32 v14, 0xf8, v14
	v_and_b32_e32 v15, 7, v12
	v_or_b32_e32 v11, v11, v12
	v_or3_b32 v10, v10, v14, v15
	v_cmp_ne_u32_e32 vcc_lo, 0, v11
	v_lshlrev_b32_e32 v10, 8, v10
	v_cndmask_b32_e32 v73, 0, v10, vcc_lo
.LBB4_333:                              ;   in Loop: Header=BB4_130 Depth=2
	s_or_b32 exec_lo, exec_lo, s42
.LBB4_334:                              ;   in Loop: Header=BB4_130 Depth=2
	s_or_b32 exec_lo, exec_lo, s41
	v_and_b32_sdwa v11, v13, v100 dst_sel:DWORD dst_unused:UNUSED_PAD src0_sel:WORD_1 src1_sel:DWORD
	s_mov_b32 s13, 0
	s_mov_b32 s41, exec_lo
	v_cmpx_lt_i16_e32 0x7f, v11
	s_xor_b32 s41, exec_lo, s41
	s_cbranch_execz .LBB4_1252
; %bb.335:                              ;   in Loop: Header=BB4_130 Depth=2
	s_mov_b32 s13, -1
	s_mov_b32 s42, exec_lo
	v_cmpx_eq_u16_e32 0x80, v11
; %bb.336:                              ;   in Loop: Header=BB4_130 Depth=2
	s_xor_b32 s13, exec_lo, -1
; %bb.337:                              ;   in Loop: Header=BB4_130 Depth=2
	s_or_b32 exec_lo, exec_lo, s42
	s_and_b32 s13, s13, exec_lo
                                        ; implicit-def: $vgpr11
	s_or_saveexec_b32 s41, s41
	v_mov_b32_e32 v10, 0x7f800001
	s_xor_b32 exec_lo, exec_lo, s41
	s_cbranch_execnz .LBB4_1253
.LBB4_338:                              ;   in Loop: Header=BB4_130 Depth=2
	s_or_b32 exec_lo, exec_lo, s41
	s_and_saveexec_b32 s41, s13
	s_cbranch_execz .LBB4_340
.LBB4_339:                              ;   in Loop: Header=BB4_130 Depth=2
	v_bfe_u32 v10, v13, 16, 3
	v_bfe_u32 v14, v13, 19, 4
	v_lshlrev_b32_e32 v15, 8, v13
	v_ffbh_u32_e32 v11, v10
	v_cmp_eq_u32_e32 vcc_lo, 0, v14
	v_min_u32_e32 v11, 32, v11
	v_subrev_nc_u32_e32 v12, 28, v11
	v_sub_nc_u32_e32 v11, 29, v11
	v_lshlrev_b32_sdwa v12, v12, v13 dst_sel:DWORD dst_unused:UNUSED_PAD src0_sel:DWORD src1_sel:WORD_1
	v_cndmask_b32_e32 v11, v14, v11, vcc_lo
	v_and_b32_e32 v12, 7, v12
	v_lshl_add_u32 v11, v11, 23, 0x3b800000
	v_cndmask_b32_e32 v10, v10, v12, vcc_lo
	v_and_b32_e32 v12, 0x80000000, v15
	v_lshlrev_b32_e32 v10, 20, v10
	v_or3_b32 v10, v12, v11, v10
.LBB4_340:                              ;   in Loop: Header=BB4_130 Depth=2
	s_or_b32 exec_lo, exec_lo, s41
	v_mul_f32_e32 v10, s40, v10
	v_mov_b32_e32 v58, 0x80
	s_mov_b32 s41, exec_lo
	v_and_b32_e32 v11, 0x7f800000, v10
	v_cmpx_ne_u32_e32 0x7f800000, v11
	s_cbranch_execz .LBB4_348
; %bb.341:                              ;   in Loop: Header=BB4_130 Depth=2
	v_mov_b32_e32 v58, 0
	s_mov_b32 s42, exec_lo
	v_cmpx_ne_u32_e32 0, v10
	s_cbranch_execz .LBB4_347
; %bb.342:                              ;   in Loop: Header=BB4_130 Depth=2
	v_bfe_u32 v11, v10, 23, 8
	v_and_b32_e32 v12, 0x7fffff, v10
	v_sub_nc_u32_e32 v14, 0x78, v11
	v_cmp_gt_u32_e32 vcc_lo, 0x79, v11
	v_or_b32_e32 v15, 0x800000, v12
	v_cndmask_b32_e32 v14, 0, v14, vcc_lo
	v_cmp_eq_u32_e32 vcc_lo, 0, v11
	v_add_nc_u32_e32 v11, 0xffffff89, v11
	v_cndmask_b32_e64 v14, v14, 0x77, vcc_lo
	v_cndmask_b32_e32 v12, v15, v12, vcc_lo
	v_cndmask_b32_e64 v11, v11, 0xffffff8a, vcc_lo
	v_lshl_add_u32 v15, 0x100000, v14, -1
	v_lshrrev_b32_e32 v16, v14, v12
	v_lshlrev_b32_e64 v112, v14, 0x80000
	v_add_nc_u32_e32 v14, v14, v11
	v_and_b32_e32 v12, v15, v12
	v_bfe_u32 v17, v16, 20, 1
	v_cmp_eq_u32_e64 s13, v12, v112
	v_add_nc_u32_e32 v15, -1, v17
	v_cndmask_b32_e64 v12, 0, v15, s13
	v_lshrrev_b32_e32 v15, 23, v16
	s_mov_b32 s13, exec_lo
	v_add_nc_u32_e32 v12, v12, v16
	v_xor_b32_e32 v15, 1, v15
	v_and_b32_e32 v11, 0xfffff, v12
	v_add_nc_u32_e32 v12, v11, v16
                                        ; implicit-def: $vgpr11
	v_cmpx_ne_u32_e64 v14, v15
	s_xor_b32 s13, exec_lo, s13
; %bb.343:                              ;   in Loop: Header=BB4_130 Depth=2
	v_cmp_lt_u32_e32 vcc_lo, 0xffffff, v12
	v_sub_nc_u32_e32 v11, v14, v15
	v_cndmask_b32_e64 v14, 0, 1, vcc_lo
	v_add_co_ci_u32_e64 v11, null, 0, v11, vcc_lo
	v_lshrrev_b32_e32 v12, v14, v12
; %bb.344:                              ;   in Loop: Header=BB4_130 Depth=2
	s_andn2_saveexec_b32 s13, s13
; %bb.345:                              ;   in Loop: Header=BB4_130 Depth=2
	v_bfe_u32 v11, v12, 23, 1
; %bb.346:                              ;   in Loop: Header=BB4_130 Depth=2
	s_or_b32 exec_lo, exec_lo, s13
	v_lshrrev_b32_e32 v12, 20, v12
	v_min_i32_e32 v14, 15, v11
	v_cmp_gt_i32_e32 vcc_lo, 16, v11
	v_and_b32_sdwa v10, v10, v97 dst_sel:DWORD dst_unused:UNUSED_PAD src0_sel:BYTE_3 src1_sel:DWORD
	v_lshlrev_b32_e32 v14, 3, v14
	v_cndmask_b32_e32 v12, 7, v12, vcc_lo
	v_and_b32_e32 v14, 0xf8, v14
	v_and_b32_e32 v15, 7, v12
	v_or_b32_e32 v11, v11, v12
	v_or3_b32 v10, v14, v10, v15
	v_cmp_ne_u32_e32 vcc_lo, 0, v11
	v_cndmask_b32_e32 v58, 0, v10, vcc_lo
.LBB4_347:                              ;   in Loop: Header=BB4_130 Depth=2
	s_or_b32 exec_lo, exec_lo, s42
.LBB4_348:                              ;   in Loop: Header=BB4_130 Depth=2
	s_or_b32 exec_lo, exec_lo, s41
	v_cmp_gt_i16_sdwa s41, v13, v96 src0_sel:BYTE_3 src1_sel:DWORD
	s_mov_b32 s13, 0
	s_and_saveexec_b32 s42, s41
	s_xor_b32 s41, exec_lo, s42
	s_cbranch_execz .LBB4_1254
; %bb.349:                              ;   in Loop: Header=BB4_130 Depth=2
	v_cmp_eq_u16_sdwa s43, v13, v97 src0_sel:BYTE_3 src1_sel:DWORD
	s_mov_b32 s13, -1
	s_and_saveexec_b32 s42, s43
; %bb.350:                              ;   in Loop: Header=BB4_130 Depth=2
	s_xor_b32 s13, exec_lo, -1
; %bb.351:                              ;   in Loop: Header=BB4_130 Depth=2
	s_or_b32 exec_lo, exec_lo, s42
	s_and_b32 s13, s13, exec_lo
	s_or_saveexec_b32 s41, s41
	v_mov_b32_e32 v10, 0x7f800001
	s_xor_b32 exec_lo, exec_lo, s41
	s_cbranch_execnz .LBB4_1255
.LBB4_352:                              ;   in Loop: Header=BB4_130 Depth=2
	s_or_b32 exec_lo, exec_lo, s41
	s_and_saveexec_b32 s41, s13
	s_cbranch_execz .LBB4_354
.LBB4_353:                              ;   in Loop: Header=BB4_130 Depth=2
	v_bfe_u32 v10, v13, 24, 3
	v_bfe_u32 v14, v13, 27, 4
	v_ffbh_u32_e32 v11, v10
	v_cmp_eq_u32_e32 vcc_lo, 0, v14
	v_min_u32_e32 v11, 32, v11
	v_subrev_nc_u32_e32 v12, 28, v11
	v_sub_nc_u32_e32 v11, 29, v11
	v_lshlrev_b32_sdwa v12, v12, v13 dst_sel:DWORD dst_unused:UNUSED_PAD src0_sel:DWORD src1_sel:BYTE_3
	v_cndmask_b32_e32 v11, v14, v11, vcc_lo
	v_and_b32_e32 v12, 7, v12
	v_lshl_add_u32 v11, v11, 23, 0x3b800000
	v_cndmask_b32_e32 v10, v10, v12, vcc_lo
	v_and_b32_e32 v12, 0x80000000, v13
	v_lshlrev_b32_e32 v10, 20, v10
	v_or3_b32 v10, v12, v11, v10
.LBB4_354:                              ;   in Loop: Header=BB4_130 Depth=2
	s_or_b32 exec_lo, exec_lo, s41
	v_mul_f32_e32 v10, s40, v10
	v_mov_b32_e32 v62, 0x8000
	s_mov_b32 s41, exec_lo
	v_and_b32_e32 v11, 0x7f800000, v10
	v_cmpx_ne_u32_e32 0x7f800000, v11
	s_cbranch_execz .LBB4_362
; %bb.355:                              ;   in Loop: Header=BB4_130 Depth=2
	v_mov_b32_e32 v62, 0
	s_mov_b32 s42, exec_lo
	v_cmpx_ne_u32_e32 0, v10
	s_cbranch_execz .LBB4_361
; %bb.356:                              ;   in Loop: Header=BB4_130 Depth=2
	v_bfe_u32 v11, v10, 23, 8
	v_and_b32_e32 v12, 0x7fffff, v10
	v_sub_nc_u32_e32 v13, 0x78, v11
	v_cmp_gt_u32_e32 vcc_lo, 0x79, v11
	v_or_b32_e32 v14, 0x800000, v12
	v_cndmask_b32_e32 v13, 0, v13, vcc_lo
	v_cmp_eq_u32_e32 vcc_lo, 0, v11
	v_add_nc_u32_e32 v11, 0xffffff89, v11
	v_cndmask_b32_e64 v13, v13, 0x77, vcc_lo
	v_cndmask_b32_e32 v12, v14, v12, vcc_lo
	v_cndmask_b32_e64 v11, v11, 0xffffff8a, vcc_lo
	v_lshl_add_u32 v14, 0x100000, v13, -1
	v_lshrrev_b32_e32 v15, v13, v12
	v_lshlrev_b32_e64 v17, v13, 0x80000
	v_add_nc_u32_e32 v13, v13, v11
	v_and_b32_e32 v12, v14, v12
	v_bfe_u32 v16, v15, 20, 1
	v_cmp_eq_u32_e64 s13, v12, v17
	v_add_nc_u32_e32 v14, -1, v16
	v_cndmask_b32_e64 v12, 0, v14, s13
	v_lshrrev_b32_e32 v14, 23, v15
	s_mov_b32 s13, exec_lo
	v_add_nc_u32_e32 v12, v12, v15
	v_xor_b32_e32 v14, 1, v14
	v_and_b32_e32 v11, 0xfffff, v12
	v_add_nc_u32_e32 v12, v11, v15
                                        ; implicit-def: $vgpr11
	v_cmpx_ne_u32_e64 v13, v14
	s_xor_b32 s13, exec_lo, s13
; %bb.357:                              ;   in Loop: Header=BB4_130 Depth=2
	v_cmp_lt_u32_e32 vcc_lo, 0xffffff, v12
	v_sub_nc_u32_e32 v11, v13, v14
	v_cndmask_b32_e64 v13, 0, 1, vcc_lo
	v_add_co_ci_u32_e64 v11, null, 0, v11, vcc_lo
	v_lshrrev_b32_e32 v12, v13, v12
; %bb.358:                              ;   in Loop: Header=BB4_130 Depth=2
	s_andn2_saveexec_b32 s13, s13
; %bb.359:                              ;   in Loop: Header=BB4_130 Depth=2
	v_bfe_u32 v11, v12, 23, 1
; %bb.360:                              ;   in Loop: Header=BB4_130 Depth=2
	s_or_b32 exec_lo, exec_lo, s13
	v_lshrrev_b32_e32 v12, 20, v12
	v_min_i32_e32 v13, 15, v11
	v_cmp_gt_i32_e32 vcc_lo, 16, v11
	v_and_b32_sdwa v10, v10, v97 dst_sel:DWORD dst_unused:UNUSED_PAD src0_sel:BYTE_3 src1_sel:DWORD
	v_lshlrev_b32_e32 v13, 3, v13
	v_cndmask_b32_e32 v12, 7, v12, vcc_lo
	v_and_b32_e32 v13, 0xf8, v13
	v_and_b32_e32 v14, 7, v12
	v_or_b32_e32 v11, v11, v12
	v_or3_b32 v10, v10, v13, v14
	v_cmp_ne_u32_e32 vcc_lo, 0, v11
	v_lshlrev_b32_e32 v10, 8, v10
	v_cndmask_b32_e32 v62, 0, v10, vcc_lo
.LBB4_361:                              ;   in Loop: Header=BB4_130 Depth=2
	s_or_b32 exec_lo, exec_lo, s42
.LBB4_362:                              ;   in Loop: Header=BB4_130 Depth=2
	s_or_b32 exec_lo, exec_lo, s41
	global_load_dwordx4 v[10:13], v[54:55], off offset:512 slc
	s_mov_b32 s13, 0
	s_waitcnt vmcnt(0)
	v_cmp_gt_i16_sdwa s41, v10, v96 src0_sel:BYTE_0 src1_sel:DWORD
	s_and_saveexec_b32 s42, s41
	s_xor_b32 s41, exec_lo, s42
	s_cbranch_execz .LBB4_1256
; %bb.363:                              ;   in Loop: Header=BB4_130 Depth=2
	v_cmp_eq_u16_sdwa s43, v10, v97 src0_sel:BYTE_0 src1_sel:DWORD
	s_mov_b32 s13, -1
	s_and_saveexec_b32 s42, s43
; %bb.364:                              ;   in Loop: Header=BB4_130 Depth=2
	s_xor_b32 s13, exec_lo, -1
; %bb.365:                              ;   in Loop: Header=BB4_130 Depth=2
	s_or_b32 exec_lo, exec_lo, s42
	s_and_b32 s13, s13, exec_lo
	s_or_saveexec_b32 s41, s41
	v_mov_b32_e32 v14, 0x7f800001
	s_xor_b32 exec_lo, exec_lo, s41
	s_cbranch_execnz .LBB4_1257
.LBB4_366:                              ;   in Loop: Header=BB4_130 Depth=2
	s_or_b32 exec_lo, exec_lo, s41
	s_and_saveexec_b32 s41, s13
	s_cbranch_execz .LBB4_368
.LBB4_367:                              ;   in Loop: Header=BB4_130 Depth=2
	v_and_b32_e32 v14, 7, v10
	v_bfe_u32 v17, v10, 3, 4
	v_lshlrev_b32_e32 v112, 24, v10
	v_ffbh_u32_e32 v15, v14
	v_cmp_eq_u32_e32 vcc_lo, 0, v17
	v_min_u32_e32 v15, 32, v15
	v_subrev_nc_u32_e32 v16, 28, v15
	v_sub_nc_u32_e32 v15, 29, v15
	v_lshlrev_b32_e32 v16, v16, v10
	v_cndmask_b32_e32 v15, v17, v15, vcc_lo
	v_and_b32_e32 v16, 7, v16
	v_lshl_add_u32 v15, v15, 23, 0x3b800000
	v_cndmask_b32_e32 v14, v14, v16, vcc_lo
	v_and_b32_e32 v16, 0x80000000, v112
	v_lshlrev_b32_e32 v14, 20, v14
	v_or3_b32 v14, v16, v15, v14
.LBB4_368:                              ;   in Loop: Header=BB4_130 Depth=2
	s_or_b32 exec_lo, exec_lo, s41
	v_mul_f32_e32 v14, s40, v14
	v_mov_b32_e32 v56, 0x80
	s_mov_b32 s41, exec_lo
	v_and_b32_e32 v15, 0x7f800000, v14
	v_cmpx_ne_u32_e32 0x7f800000, v15
	s_cbranch_execz .LBB4_376
; %bb.369:                              ;   in Loop: Header=BB4_130 Depth=2
	v_mov_b32_e32 v56, 0
	s_mov_b32 s42, exec_lo
	v_cmpx_ne_u32_e32 0, v14
	s_cbranch_execz .LBB4_375
; %bb.370:                              ;   in Loop: Header=BB4_130 Depth=2
	v_bfe_u32 v15, v14, 23, 8
	v_and_b32_e32 v16, 0x7fffff, v14
	v_sub_nc_u32_e32 v17, 0x78, v15
	v_cmp_gt_u32_e32 vcc_lo, 0x79, v15
	v_or_b32_e32 v112, 0x800000, v16
	v_cndmask_b32_e32 v17, 0, v17, vcc_lo
	v_cmp_eq_u32_e32 vcc_lo, 0, v15
	v_add_nc_u32_e32 v15, 0xffffff89, v15
	v_cndmask_b32_e64 v17, v17, 0x77, vcc_lo
	v_cndmask_b32_e32 v16, v112, v16, vcc_lo
	v_cndmask_b32_e64 v15, v15, 0xffffff8a, vcc_lo
	v_lshl_add_u32 v112, 0x100000, v17, -1
	v_lshrrev_b32_e32 v113, v17, v16
	v_lshlrev_b32_e64 v116, v17, 0x80000
	v_add_nc_u32_e32 v17, v17, v15
	v_and_b32_e32 v16, v112, v16
	v_bfe_u32 v114, v113, 20, 1
	v_cmp_eq_u32_e64 s13, v16, v116
	v_add_nc_u32_e32 v112, -1, v114
	v_cndmask_b32_e64 v16, 0, v112, s13
	v_lshrrev_b32_e32 v112, 23, v113
	s_mov_b32 s13, exec_lo
	v_add_nc_u32_e32 v16, v16, v113
	v_xor_b32_e32 v112, 1, v112
	v_and_b32_e32 v15, 0xfffff, v16
	v_add_nc_u32_e32 v16, v15, v113
                                        ; implicit-def: $vgpr15
	v_cmpx_ne_u32_e64 v17, v112
	s_xor_b32 s13, exec_lo, s13
; %bb.371:                              ;   in Loop: Header=BB4_130 Depth=2
	v_cmp_lt_u32_e32 vcc_lo, 0xffffff, v16
	v_sub_nc_u32_e32 v15, v17, v112
	v_cndmask_b32_e64 v17, 0, 1, vcc_lo
	v_add_co_ci_u32_e64 v15, null, 0, v15, vcc_lo
	v_lshrrev_b32_e32 v16, v17, v16
; %bb.372:                              ;   in Loop: Header=BB4_130 Depth=2
	s_andn2_saveexec_b32 s13, s13
; %bb.373:                              ;   in Loop: Header=BB4_130 Depth=2
	v_bfe_u32 v15, v16, 23, 1
; %bb.374:                              ;   in Loop: Header=BB4_130 Depth=2
	s_or_b32 exec_lo, exec_lo, s13
	v_lshrrev_b32_e32 v16, 20, v16
	v_min_i32_e32 v17, 15, v15
	v_cmp_gt_i32_e32 vcc_lo, 16, v15
	v_and_b32_sdwa v14, v14, v97 dst_sel:DWORD dst_unused:UNUSED_PAD src0_sel:BYTE_3 src1_sel:DWORD
	v_lshlrev_b32_e32 v17, 3, v17
	v_cndmask_b32_e32 v16, 7, v16, vcc_lo
	v_and_b32_e32 v17, 0xf8, v17
	v_and_b32_e32 v112, 7, v16
	v_or_b32_e32 v15, v15, v16
	v_or3_b32 v14, v17, v14, v112
	v_cmp_ne_u32_e32 vcc_lo, 0, v15
	v_cndmask_b32_e32 v56, 0, v14, vcc_lo
.LBB4_375:                              ;   in Loop: Header=BB4_130 Depth=2
	s_or_b32 exec_lo, exec_lo, s42
.LBB4_376:                              ;   in Loop: Header=BB4_130 Depth=2
	s_or_b32 exec_lo, exec_lo, s41
	v_cmp_gt_i16_sdwa s41, v10, v96 src0_sel:BYTE_1 src1_sel:DWORD
	s_mov_b32 s13, 0
	s_and_saveexec_b32 s42, s41
	s_xor_b32 s41, exec_lo, s42
	s_cbranch_execz .LBB4_1258
; %bb.377:                              ;   in Loop: Header=BB4_130 Depth=2
	v_cmp_eq_u16_sdwa s43, v10, v97 src0_sel:BYTE_1 src1_sel:DWORD
	s_mov_b32 s13, -1
	s_and_saveexec_b32 s42, s43
; %bb.378:                              ;   in Loop: Header=BB4_130 Depth=2
	s_xor_b32 s13, exec_lo, -1
; %bb.379:                              ;   in Loop: Header=BB4_130 Depth=2
	s_or_b32 exec_lo, exec_lo, s42
	s_and_b32 s13, s13, exec_lo
	s_or_saveexec_b32 s41, s41
	v_mov_b32_e32 v14, 0x7f800001
	s_xor_b32 exec_lo, exec_lo, s41
	s_cbranch_execnz .LBB4_1259
.LBB4_380:                              ;   in Loop: Header=BB4_130 Depth=2
	s_or_b32 exec_lo, exec_lo, s41
	s_and_saveexec_b32 s41, s13
	s_cbranch_execz .LBB4_382
.LBB4_381:                              ;   in Loop: Header=BB4_130 Depth=2
	v_and_b32_sdwa v14, v98, v10 dst_sel:DWORD dst_unused:UNUSED_PAD src0_sel:DWORD src1_sel:BYTE_1
	v_and_b32_e32 v15, 7, v14
	v_bfe_u32 v112, v14, 3, 4
	v_ffbh_u32_e32 v16, v15
	v_cmp_eq_u32_e32 vcc_lo, 0, v112
	v_min_u32_e32 v16, 32, v16
	v_subrev_nc_u32_e32 v17, 28, v16
	v_sub_nc_u32_e32 v16, 29, v16
	v_lshlrev_b32_e32 v14, v17, v14
	v_lshlrev_b32_sdwa v17, v99, v10 dst_sel:DWORD dst_unused:UNUSED_PAD src0_sel:DWORD src1_sel:BYTE_1
	v_cndmask_b32_e32 v16, v112, v16, vcc_lo
	v_and_b32_e32 v14, 7, v14
	v_lshl_add_u32 v16, v16, 23, 0x3b800000
	v_cndmask_b32_e32 v14, v15, v14, vcc_lo
	v_and_b32_e32 v15, 0x80000000, v17
	v_lshlrev_b32_e32 v14, 20, v14
	v_or3_b32 v14, v15, v16, v14
.LBB4_382:                              ;   in Loop: Header=BB4_130 Depth=2
	s_or_b32 exec_lo, exec_lo, s41
	v_mul_f32_e32 v14, s40, v14
	v_mov_b32_e32 v60, 0x8000
	s_mov_b32 s41, exec_lo
	v_and_b32_e32 v15, 0x7f800000, v14
	v_cmpx_ne_u32_e32 0x7f800000, v15
	s_cbranch_execz .LBB4_390
; %bb.383:                              ;   in Loop: Header=BB4_130 Depth=2
	v_mov_b32_e32 v60, 0
	s_mov_b32 s42, exec_lo
	v_cmpx_ne_u32_e32 0, v14
	s_cbranch_execz .LBB4_389
; %bb.384:                              ;   in Loop: Header=BB4_130 Depth=2
	v_bfe_u32 v15, v14, 23, 8
	v_and_b32_e32 v16, 0x7fffff, v14
	v_sub_nc_u32_e32 v17, 0x78, v15
	v_cmp_gt_u32_e32 vcc_lo, 0x79, v15
	v_or_b32_e32 v112, 0x800000, v16
	v_cndmask_b32_e32 v17, 0, v17, vcc_lo
	v_cmp_eq_u32_e32 vcc_lo, 0, v15
	v_add_nc_u32_e32 v15, 0xffffff89, v15
	v_cndmask_b32_e64 v17, v17, 0x77, vcc_lo
	v_cndmask_b32_e32 v16, v112, v16, vcc_lo
	v_cndmask_b32_e64 v15, v15, 0xffffff8a, vcc_lo
	v_lshl_add_u32 v112, 0x100000, v17, -1
	v_lshrrev_b32_e32 v113, v17, v16
	v_lshlrev_b32_e64 v116, v17, 0x80000
	v_add_nc_u32_e32 v17, v17, v15
	v_and_b32_e32 v16, v112, v16
	v_bfe_u32 v114, v113, 20, 1
	v_cmp_eq_u32_e64 s13, v16, v116
	v_add_nc_u32_e32 v112, -1, v114
	v_cndmask_b32_e64 v16, 0, v112, s13
	v_lshrrev_b32_e32 v112, 23, v113
	s_mov_b32 s13, exec_lo
	v_add_nc_u32_e32 v16, v16, v113
	v_xor_b32_e32 v112, 1, v112
	v_and_b32_e32 v15, 0xfffff, v16
	v_add_nc_u32_e32 v16, v15, v113
                                        ; implicit-def: $vgpr15
	v_cmpx_ne_u32_e64 v17, v112
	s_xor_b32 s13, exec_lo, s13
; %bb.385:                              ;   in Loop: Header=BB4_130 Depth=2
	v_cmp_lt_u32_e32 vcc_lo, 0xffffff, v16
	v_sub_nc_u32_e32 v15, v17, v112
	v_cndmask_b32_e64 v17, 0, 1, vcc_lo
	v_add_co_ci_u32_e64 v15, null, 0, v15, vcc_lo
	v_lshrrev_b32_e32 v16, v17, v16
; %bb.386:                              ;   in Loop: Header=BB4_130 Depth=2
	s_andn2_saveexec_b32 s13, s13
; %bb.387:                              ;   in Loop: Header=BB4_130 Depth=2
	v_bfe_u32 v15, v16, 23, 1
; %bb.388:                              ;   in Loop: Header=BB4_130 Depth=2
	s_or_b32 exec_lo, exec_lo, s13
	v_lshrrev_b32_e32 v16, 20, v16
	v_min_i32_e32 v17, 15, v15
	v_cmp_gt_i32_e32 vcc_lo, 16, v15
	v_and_b32_sdwa v14, v14, v97 dst_sel:DWORD dst_unused:UNUSED_PAD src0_sel:BYTE_3 src1_sel:DWORD
	v_lshlrev_b32_e32 v17, 3, v17
	v_cndmask_b32_e32 v16, 7, v16, vcc_lo
	v_and_b32_e32 v17, 0xf8, v17
	v_and_b32_e32 v112, 7, v16
	v_or_b32_e32 v15, v15, v16
	v_or3_b32 v14, v14, v17, v112
	v_cmp_ne_u32_e32 vcc_lo, 0, v15
	v_lshlrev_b32_e32 v14, 8, v14
	v_cndmask_b32_e32 v60, 0, v14, vcc_lo
.LBB4_389:                              ;   in Loop: Header=BB4_130 Depth=2
	s_or_b32 exec_lo, exec_lo, s42
.LBB4_390:                              ;   in Loop: Header=BB4_130 Depth=2
	s_or_b32 exec_lo, exec_lo, s41
	v_and_b32_sdwa v15, v10, v100 dst_sel:DWORD dst_unused:UNUSED_PAD src0_sel:WORD_1 src1_sel:DWORD
	s_mov_b32 s13, 0
	s_mov_b32 s41, exec_lo
	v_cmpx_lt_i16_e32 0x7f, v15
	s_xor_b32 s41, exec_lo, s41
	s_cbranch_execz .LBB4_1260
; %bb.391:                              ;   in Loop: Header=BB4_130 Depth=2
	s_mov_b32 s13, -1
	s_mov_b32 s42, exec_lo
	v_cmpx_eq_u16_e32 0x80, v15
; %bb.392:                              ;   in Loop: Header=BB4_130 Depth=2
	s_xor_b32 s13, exec_lo, -1
; %bb.393:                              ;   in Loop: Header=BB4_130 Depth=2
	s_or_b32 exec_lo, exec_lo, s42
	s_and_b32 s13, s13, exec_lo
                                        ; implicit-def: $vgpr15
	s_or_saveexec_b32 s41, s41
	v_mov_b32_e32 v14, 0x7f800001
	s_xor_b32 exec_lo, exec_lo, s41
	s_cbranch_execnz .LBB4_1261
.LBB4_394:                              ;   in Loop: Header=BB4_130 Depth=2
	s_or_b32 exec_lo, exec_lo, s41
	s_and_saveexec_b32 s41, s13
	s_cbranch_execz .LBB4_396
.LBB4_395:                              ;   in Loop: Header=BB4_130 Depth=2
	v_bfe_u32 v14, v10, 16, 3
	v_bfe_u32 v17, v10, 19, 4
	v_lshlrev_b32_e32 v112, 8, v10
	v_ffbh_u32_e32 v15, v14
	v_cmp_eq_u32_e32 vcc_lo, 0, v17
	v_min_u32_e32 v15, 32, v15
	v_subrev_nc_u32_e32 v16, 28, v15
	v_sub_nc_u32_e32 v15, 29, v15
	v_lshlrev_b32_sdwa v16, v16, v10 dst_sel:DWORD dst_unused:UNUSED_PAD src0_sel:DWORD src1_sel:WORD_1
	v_cndmask_b32_e32 v15, v17, v15, vcc_lo
	v_and_b32_e32 v16, 7, v16
	v_lshl_add_u32 v15, v15, 23, 0x3b800000
	v_cndmask_b32_e32 v14, v14, v16, vcc_lo
	v_and_b32_e32 v16, 0x80000000, v112
	v_lshlrev_b32_e32 v14, 20, v14
	v_or3_b32 v14, v16, v15, v14
.LBB4_396:                              ;   in Loop: Header=BB4_130 Depth=2
	s_or_b32 exec_lo, exec_lo, s41
	v_mul_f32_e32 v14, s40, v14
	v_mov_b32_e32 v45, 0x80
	s_mov_b32 s41, exec_lo
	v_and_b32_e32 v15, 0x7f800000, v14
	v_cmpx_ne_u32_e32 0x7f800000, v15
	s_cbranch_execz .LBB4_404
; %bb.397:                              ;   in Loop: Header=BB4_130 Depth=2
	v_mov_b32_e32 v45, 0
	s_mov_b32 s42, exec_lo
	v_cmpx_ne_u32_e32 0, v14
	s_cbranch_execz .LBB4_403
; %bb.398:                              ;   in Loop: Header=BB4_130 Depth=2
	v_bfe_u32 v15, v14, 23, 8
	v_and_b32_e32 v16, 0x7fffff, v14
	v_sub_nc_u32_e32 v17, 0x78, v15
	v_cmp_gt_u32_e32 vcc_lo, 0x79, v15
	v_or_b32_e32 v112, 0x800000, v16
	v_cndmask_b32_e32 v17, 0, v17, vcc_lo
	v_cmp_eq_u32_e32 vcc_lo, 0, v15
	v_add_nc_u32_e32 v15, 0xffffff89, v15
	v_cndmask_b32_e64 v17, v17, 0x77, vcc_lo
	v_cndmask_b32_e32 v16, v112, v16, vcc_lo
	v_cndmask_b32_e64 v15, v15, 0xffffff8a, vcc_lo
	v_lshl_add_u32 v112, 0x100000, v17, -1
	v_lshrrev_b32_e32 v113, v17, v16
	v_lshlrev_b32_e64 v116, v17, 0x80000
	v_add_nc_u32_e32 v17, v17, v15
	v_and_b32_e32 v16, v112, v16
	v_bfe_u32 v114, v113, 20, 1
	v_cmp_eq_u32_e64 s13, v16, v116
	v_add_nc_u32_e32 v112, -1, v114
	v_cndmask_b32_e64 v16, 0, v112, s13
	v_lshrrev_b32_e32 v112, 23, v113
	s_mov_b32 s13, exec_lo
	v_add_nc_u32_e32 v16, v16, v113
	v_xor_b32_e32 v112, 1, v112
	v_and_b32_e32 v15, 0xfffff, v16
	v_add_nc_u32_e32 v16, v15, v113
                                        ; implicit-def: $vgpr15
	v_cmpx_ne_u32_e64 v17, v112
	s_xor_b32 s13, exec_lo, s13
; %bb.399:                              ;   in Loop: Header=BB4_130 Depth=2
	v_cmp_lt_u32_e32 vcc_lo, 0xffffff, v16
	v_sub_nc_u32_e32 v15, v17, v112
	v_cndmask_b32_e64 v17, 0, 1, vcc_lo
	v_add_co_ci_u32_e64 v15, null, 0, v15, vcc_lo
	v_lshrrev_b32_e32 v16, v17, v16
; %bb.400:                              ;   in Loop: Header=BB4_130 Depth=2
	s_andn2_saveexec_b32 s13, s13
; %bb.401:                              ;   in Loop: Header=BB4_130 Depth=2
	v_bfe_u32 v15, v16, 23, 1
; %bb.402:                              ;   in Loop: Header=BB4_130 Depth=2
	s_or_b32 exec_lo, exec_lo, s13
	v_lshrrev_b32_e32 v16, 20, v16
	v_min_i32_e32 v17, 15, v15
	v_cmp_gt_i32_e32 vcc_lo, 16, v15
	v_and_b32_sdwa v14, v14, v97 dst_sel:DWORD dst_unused:UNUSED_PAD src0_sel:BYTE_3 src1_sel:DWORD
	v_lshlrev_b32_e32 v17, 3, v17
	v_cndmask_b32_e32 v16, 7, v16, vcc_lo
	v_and_b32_e32 v17, 0xf8, v17
	v_and_b32_e32 v112, 7, v16
	v_or_b32_e32 v15, v15, v16
	v_or3_b32 v14, v17, v14, v112
	v_cmp_ne_u32_e32 vcc_lo, 0, v15
	v_cndmask_b32_e32 v45, 0, v14, vcc_lo
.LBB4_403:                              ;   in Loop: Header=BB4_130 Depth=2
	s_or_b32 exec_lo, exec_lo, s42
.LBB4_404:                              ;   in Loop: Header=BB4_130 Depth=2
	s_or_b32 exec_lo, exec_lo, s41
	v_cmp_gt_i16_sdwa s41, v10, v96 src0_sel:BYTE_3 src1_sel:DWORD
	s_mov_b32 s13, 0
	s_and_saveexec_b32 s42, s41
	s_xor_b32 s41, exec_lo, s42
	s_cbranch_execz .LBB4_1262
; %bb.405:                              ;   in Loop: Header=BB4_130 Depth=2
	v_cmp_eq_u16_sdwa s43, v10, v97 src0_sel:BYTE_3 src1_sel:DWORD
	s_mov_b32 s13, -1
	s_and_saveexec_b32 s42, s43
; %bb.406:                              ;   in Loop: Header=BB4_130 Depth=2
	s_xor_b32 s13, exec_lo, -1
; %bb.407:                              ;   in Loop: Header=BB4_130 Depth=2
	s_or_b32 exec_lo, exec_lo, s42
	s_and_b32 s13, s13, exec_lo
	s_or_saveexec_b32 s41, s41
	v_mov_b32_e32 v14, 0x7f800001
	s_xor_b32 exec_lo, exec_lo, s41
	s_cbranch_execnz .LBB4_1263
.LBB4_408:                              ;   in Loop: Header=BB4_130 Depth=2
	s_or_b32 exec_lo, exec_lo, s41
	s_and_saveexec_b32 s41, s13
	s_cbranch_execz .LBB4_410
.LBB4_409:                              ;   in Loop: Header=BB4_130 Depth=2
	v_bfe_u32 v14, v10, 24, 3
	v_bfe_u32 v17, v10, 27, 4
	v_ffbh_u32_e32 v15, v14
	v_cmp_eq_u32_e32 vcc_lo, 0, v17
	v_min_u32_e32 v15, 32, v15
	v_subrev_nc_u32_e32 v16, 28, v15
	v_sub_nc_u32_e32 v15, 29, v15
	v_lshlrev_b32_sdwa v16, v16, v10 dst_sel:DWORD dst_unused:UNUSED_PAD src0_sel:DWORD src1_sel:BYTE_3
	v_cndmask_b32_e32 v15, v17, v15, vcc_lo
	v_and_b32_e32 v10, 0x80000000, v10
	v_and_b32_e32 v16, 7, v16
	v_lshl_add_u32 v15, v15, 23, 0x3b800000
	v_cndmask_b32_e32 v14, v14, v16, vcc_lo
	v_lshlrev_b32_e32 v14, 20, v14
	v_or3_b32 v14, v10, v15, v14
.LBB4_410:                              ;   in Loop: Header=BB4_130 Depth=2
	s_or_b32 exec_lo, exec_lo, s41
	v_mul_f32_e32 v10, s40, v14
	v_mov_b32_e32 v57, 0x8000
	s_mov_b32 s41, exec_lo
	v_and_b32_e32 v14, 0x7f800000, v10
	v_cmpx_ne_u32_e32 0x7f800000, v14
	s_cbranch_execz .LBB4_418
; %bb.411:                              ;   in Loop: Header=BB4_130 Depth=2
	v_mov_b32_e32 v57, 0
	s_mov_b32 s42, exec_lo
	v_cmpx_ne_u32_e32 0, v10
	s_cbranch_execz .LBB4_417
; %bb.412:                              ;   in Loop: Header=BB4_130 Depth=2
	v_bfe_u32 v14, v10, 23, 8
	v_and_b32_e32 v15, 0x7fffff, v10
	v_sub_nc_u32_e32 v16, 0x78, v14
	v_cmp_gt_u32_e32 vcc_lo, 0x79, v14
	v_or_b32_e32 v17, 0x800000, v15
	v_cndmask_b32_e32 v16, 0, v16, vcc_lo
	v_cmp_eq_u32_e32 vcc_lo, 0, v14
	v_add_nc_u32_e32 v14, 0xffffff89, v14
	v_cndmask_b32_e64 v16, v16, 0x77, vcc_lo
	v_cndmask_b32_e32 v15, v17, v15, vcc_lo
	v_cndmask_b32_e64 v14, v14, 0xffffff8a, vcc_lo
	v_lshl_add_u32 v17, 0x100000, v16, -1
	v_lshrrev_b32_e32 v112, v16, v15
	v_lshlrev_b32_e64 v114, v16, 0x80000
	v_add_nc_u32_e32 v16, v16, v14
	v_and_b32_e32 v15, v17, v15
	v_bfe_u32 v113, v112, 20, 1
	v_cmp_eq_u32_e64 s13, v15, v114
	v_add_nc_u32_e32 v17, -1, v113
	v_cndmask_b32_e64 v15, 0, v17, s13
	v_lshrrev_b32_e32 v17, 23, v112
	s_mov_b32 s13, exec_lo
	v_add_nc_u32_e32 v15, v15, v112
	v_xor_b32_e32 v17, 1, v17
	v_and_b32_e32 v14, 0xfffff, v15
	v_add_nc_u32_e32 v15, v14, v112
                                        ; implicit-def: $vgpr14
	v_cmpx_ne_u32_e64 v16, v17
	s_xor_b32 s13, exec_lo, s13
; %bb.413:                              ;   in Loop: Header=BB4_130 Depth=2
	v_cmp_lt_u32_e32 vcc_lo, 0xffffff, v15
	v_sub_nc_u32_e32 v14, v16, v17
	v_cndmask_b32_e64 v16, 0, 1, vcc_lo
	v_add_co_ci_u32_e64 v14, null, 0, v14, vcc_lo
	v_lshrrev_b32_e32 v15, v16, v15
; %bb.414:                              ;   in Loop: Header=BB4_130 Depth=2
	s_andn2_saveexec_b32 s13, s13
; %bb.415:                              ;   in Loop: Header=BB4_130 Depth=2
	v_bfe_u32 v14, v15, 23, 1
; %bb.416:                              ;   in Loop: Header=BB4_130 Depth=2
	s_or_b32 exec_lo, exec_lo, s13
	v_lshrrev_b32_e32 v15, 20, v15
	v_min_i32_e32 v16, 15, v14
	v_cmp_gt_i32_e32 vcc_lo, 16, v14
	v_and_b32_sdwa v10, v10, v97 dst_sel:DWORD dst_unused:UNUSED_PAD src0_sel:BYTE_3 src1_sel:DWORD
	v_lshlrev_b32_e32 v16, 3, v16
	v_cndmask_b32_e32 v15, 7, v15, vcc_lo
	v_and_b32_e32 v16, 0xf8, v16
	v_and_b32_e32 v17, 7, v15
	v_or_b32_e32 v14, v14, v15
	v_or3_b32 v10, v10, v16, v17
	v_cmp_ne_u32_e32 vcc_lo, 0, v14
	v_lshlrev_b32_e32 v10, 8, v10
	v_cndmask_b32_e32 v57, 0, v10, vcc_lo
.LBB4_417:                              ;   in Loop: Header=BB4_130 Depth=2
	s_or_b32 exec_lo, exec_lo, s42
.LBB4_418:                              ;   in Loop: Header=BB4_130 Depth=2
	s_or_b32 exec_lo, exec_lo, s41
	v_cmp_gt_i16_sdwa s41, v11, v96 src0_sel:BYTE_0 src1_sel:DWORD
	s_mov_b32 s13, 0
	s_and_saveexec_b32 s42, s41
	s_xor_b32 s41, exec_lo, s42
	s_cbranch_execz .LBB4_1264
; %bb.419:                              ;   in Loop: Header=BB4_130 Depth=2
	v_cmp_eq_u16_sdwa s43, v11, v97 src0_sel:BYTE_0 src1_sel:DWORD
	s_mov_b32 s13, -1
	s_and_saveexec_b32 s42, s43
; %bb.420:                              ;   in Loop: Header=BB4_130 Depth=2
	s_xor_b32 s13, exec_lo, -1
; %bb.421:                              ;   in Loop: Header=BB4_130 Depth=2
	s_or_b32 exec_lo, exec_lo, s42
	s_and_b32 s13, s13, exec_lo
	s_or_saveexec_b32 s41, s41
	v_mov_b32_e32 v10, 0x7f800001
	s_xor_b32 exec_lo, exec_lo, s41
	s_cbranch_execnz .LBB4_1265
.LBB4_422:                              ;   in Loop: Header=BB4_130 Depth=2
	s_or_b32 exec_lo, exec_lo, s41
	s_and_saveexec_b32 s41, s13
	s_cbranch_execz .LBB4_424
.LBB4_423:                              ;   in Loop: Header=BB4_130 Depth=2
	v_and_b32_e32 v10, 7, v11
	v_bfe_u32 v16, v11, 3, 4
	v_lshlrev_b32_e32 v17, 24, v11
	v_ffbh_u32_e32 v14, v10
	v_cmp_eq_u32_e32 vcc_lo, 0, v16
	v_min_u32_e32 v14, 32, v14
	v_subrev_nc_u32_e32 v15, 28, v14
	v_sub_nc_u32_e32 v14, 29, v14
	v_lshlrev_b32_e32 v15, v15, v11
	v_cndmask_b32_e32 v14, v16, v14, vcc_lo
	v_and_b32_e32 v15, 7, v15
	v_lshl_add_u32 v14, v14, 23, 0x3b800000
	v_cndmask_b32_e32 v10, v10, v15, vcc_lo
	v_and_b32_e32 v15, 0x80000000, v17
	v_lshlrev_b32_e32 v10, 20, v10
	v_or3_b32 v10, v15, v14, v10
.LBB4_424:                              ;   in Loop: Header=BB4_130 Depth=2
	s_or_b32 exec_lo, exec_lo, s41
	v_mul_f32_e32 v10, s40, v10
	v_mov_b32_e32 v43, 0x80
	s_mov_b32 s41, exec_lo
	v_and_b32_e32 v14, 0x7f800000, v10
	v_cmpx_ne_u32_e32 0x7f800000, v14
	s_cbranch_execz .LBB4_432
; %bb.425:                              ;   in Loop: Header=BB4_130 Depth=2
	v_mov_b32_e32 v43, 0
	s_mov_b32 s42, exec_lo
	v_cmpx_ne_u32_e32 0, v10
	s_cbranch_execz .LBB4_431
; %bb.426:                              ;   in Loop: Header=BB4_130 Depth=2
	v_bfe_u32 v14, v10, 23, 8
	v_and_b32_e32 v15, 0x7fffff, v10
	v_sub_nc_u32_e32 v16, 0x78, v14
	v_cmp_gt_u32_e32 vcc_lo, 0x79, v14
	v_or_b32_e32 v17, 0x800000, v15
	v_cndmask_b32_e32 v16, 0, v16, vcc_lo
	v_cmp_eq_u32_e32 vcc_lo, 0, v14
	v_add_nc_u32_e32 v14, 0xffffff89, v14
	v_cndmask_b32_e64 v16, v16, 0x77, vcc_lo
	v_cndmask_b32_e32 v15, v17, v15, vcc_lo
	v_cndmask_b32_e64 v14, v14, 0xffffff8a, vcc_lo
	v_lshl_add_u32 v17, 0x100000, v16, -1
	v_lshrrev_b32_e32 v112, v16, v15
	v_lshlrev_b32_e64 v114, v16, 0x80000
	v_add_nc_u32_e32 v16, v16, v14
	v_and_b32_e32 v15, v17, v15
	v_bfe_u32 v113, v112, 20, 1
	v_cmp_eq_u32_e64 s13, v15, v114
	v_add_nc_u32_e32 v17, -1, v113
	v_cndmask_b32_e64 v15, 0, v17, s13
	v_lshrrev_b32_e32 v17, 23, v112
	s_mov_b32 s13, exec_lo
	v_add_nc_u32_e32 v15, v15, v112
	v_xor_b32_e32 v17, 1, v17
	v_and_b32_e32 v14, 0xfffff, v15
	v_add_nc_u32_e32 v15, v14, v112
                                        ; implicit-def: $vgpr14
	v_cmpx_ne_u32_e64 v16, v17
	s_xor_b32 s13, exec_lo, s13
; %bb.427:                              ;   in Loop: Header=BB4_130 Depth=2
	v_cmp_lt_u32_e32 vcc_lo, 0xffffff, v15
	v_sub_nc_u32_e32 v14, v16, v17
	v_cndmask_b32_e64 v16, 0, 1, vcc_lo
	v_add_co_ci_u32_e64 v14, null, 0, v14, vcc_lo
	v_lshrrev_b32_e32 v15, v16, v15
; %bb.428:                              ;   in Loop: Header=BB4_130 Depth=2
	s_andn2_saveexec_b32 s13, s13
; %bb.429:                              ;   in Loop: Header=BB4_130 Depth=2
	v_bfe_u32 v14, v15, 23, 1
; %bb.430:                              ;   in Loop: Header=BB4_130 Depth=2
	s_or_b32 exec_lo, exec_lo, s13
	v_lshrrev_b32_e32 v15, 20, v15
	v_min_i32_e32 v16, 15, v14
	v_cmp_gt_i32_e32 vcc_lo, 16, v14
	v_and_b32_sdwa v10, v10, v97 dst_sel:DWORD dst_unused:UNUSED_PAD src0_sel:BYTE_3 src1_sel:DWORD
	v_lshlrev_b32_e32 v16, 3, v16
	v_cndmask_b32_e32 v15, 7, v15, vcc_lo
	v_and_b32_e32 v16, 0xf8, v16
	v_and_b32_e32 v17, 7, v15
	v_or_b32_e32 v14, v14, v15
	v_or3_b32 v10, v16, v10, v17
	v_cmp_ne_u32_e32 vcc_lo, 0, v14
	v_cndmask_b32_e32 v43, 0, v10, vcc_lo
.LBB4_431:                              ;   in Loop: Header=BB4_130 Depth=2
	s_or_b32 exec_lo, exec_lo, s42
.LBB4_432:                              ;   in Loop: Header=BB4_130 Depth=2
	s_or_b32 exec_lo, exec_lo, s41
	v_cmp_gt_i16_sdwa s41, v11, v96 src0_sel:BYTE_1 src1_sel:DWORD
	s_mov_b32 s13, 0
	s_and_saveexec_b32 s42, s41
	s_xor_b32 s41, exec_lo, s42
	s_cbranch_execz .LBB4_1266
; %bb.433:                              ;   in Loop: Header=BB4_130 Depth=2
	v_cmp_eq_u16_sdwa s43, v11, v97 src0_sel:BYTE_1 src1_sel:DWORD
	s_mov_b32 s13, -1
	s_and_saveexec_b32 s42, s43
; %bb.434:                              ;   in Loop: Header=BB4_130 Depth=2
	s_xor_b32 s13, exec_lo, -1
; %bb.435:                              ;   in Loop: Header=BB4_130 Depth=2
	s_or_b32 exec_lo, exec_lo, s42
	s_and_b32 s13, s13, exec_lo
	s_or_saveexec_b32 s41, s41
	v_mov_b32_e32 v10, 0x7f800001
	s_xor_b32 exec_lo, exec_lo, s41
	s_cbranch_execnz .LBB4_1267
.LBB4_436:                              ;   in Loop: Header=BB4_130 Depth=2
	s_or_b32 exec_lo, exec_lo, s41
	s_and_saveexec_b32 s41, s13
	s_cbranch_execz .LBB4_438
.LBB4_437:                              ;   in Loop: Header=BB4_130 Depth=2
	v_and_b32_sdwa v10, v98, v11 dst_sel:DWORD dst_unused:UNUSED_PAD src0_sel:DWORD src1_sel:BYTE_1
	v_and_b32_e32 v14, 7, v10
	v_bfe_u32 v17, v10, 3, 4
	v_ffbh_u32_e32 v15, v14
	v_cmp_eq_u32_e32 vcc_lo, 0, v17
	v_min_u32_e32 v15, 32, v15
	v_subrev_nc_u32_e32 v16, 28, v15
	v_sub_nc_u32_e32 v15, 29, v15
	v_lshlrev_b32_e32 v10, v16, v10
	v_lshlrev_b32_sdwa v16, v99, v11 dst_sel:DWORD dst_unused:UNUSED_PAD src0_sel:DWORD src1_sel:BYTE_1
	v_cndmask_b32_e32 v15, v17, v15, vcc_lo
	v_and_b32_e32 v10, 7, v10
	v_lshl_add_u32 v15, v15, 23, 0x3b800000
	v_cndmask_b32_e32 v10, v14, v10, vcc_lo
	v_and_b32_e32 v14, 0x80000000, v16
	v_lshlrev_b32_e32 v10, 20, v10
	v_or3_b32 v10, v14, v15, v10
.LBB4_438:                              ;   in Loop: Header=BB4_130 Depth=2
	s_or_b32 exec_lo, exec_lo, s41
	v_mul_f32_e32 v10, s40, v10
	v_mov_b32_e32 v46, 0x8000
	s_mov_b32 s41, exec_lo
	v_and_b32_e32 v14, 0x7f800000, v10
	v_cmpx_ne_u32_e32 0x7f800000, v14
	s_cbranch_execz .LBB4_446
; %bb.439:                              ;   in Loop: Header=BB4_130 Depth=2
	v_mov_b32_e32 v46, 0
	s_mov_b32 s42, exec_lo
	v_cmpx_ne_u32_e32 0, v10
	s_cbranch_execz .LBB4_445
; %bb.440:                              ;   in Loop: Header=BB4_130 Depth=2
	v_bfe_u32 v14, v10, 23, 8
	v_and_b32_e32 v15, 0x7fffff, v10
	v_sub_nc_u32_e32 v16, 0x78, v14
	v_cmp_gt_u32_e32 vcc_lo, 0x79, v14
	v_or_b32_e32 v17, 0x800000, v15
	v_cndmask_b32_e32 v16, 0, v16, vcc_lo
	v_cmp_eq_u32_e32 vcc_lo, 0, v14
	v_add_nc_u32_e32 v14, 0xffffff89, v14
	v_cndmask_b32_e64 v16, v16, 0x77, vcc_lo
	v_cndmask_b32_e32 v15, v17, v15, vcc_lo
	v_cndmask_b32_e64 v14, v14, 0xffffff8a, vcc_lo
	v_lshl_add_u32 v17, 0x100000, v16, -1
	v_lshrrev_b32_e32 v112, v16, v15
	v_lshlrev_b32_e64 v114, v16, 0x80000
	v_add_nc_u32_e32 v16, v16, v14
	v_and_b32_e32 v15, v17, v15
	v_bfe_u32 v113, v112, 20, 1
	v_cmp_eq_u32_e64 s13, v15, v114
	v_add_nc_u32_e32 v17, -1, v113
	v_cndmask_b32_e64 v15, 0, v17, s13
	v_lshrrev_b32_e32 v17, 23, v112
	s_mov_b32 s13, exec_lo
	v_add_nc_u32_e32 v15, v15, v112
	v_xor_b32_e32 v17, 1, v17
	v_and_b32_e32 v14, 0xfffff, v15
	v_add_nc_u32_e32 v15, v14, v112
                                        ; implicit-def: $vgpr14
	v_cmpx_ne_u32_e64 v16, v17
	s_xor_b32 s13, exec_lo, s13
; %bb.441:                              ;   in Loop: Header=BB4_130 Depth=2
	v_cmp_lt_u32_e32 vcc_lo, 0xffffff, v15
	v_sub_nc_u32_e32 v14, v16, v17
	v_cndmask_b32_e64 v16, 0, 1, vcc_lo
	v_add_co_ci_u32_e64 v14, null, 0, v14, vcc_lo
	v_lshrrev_b32_e32 v15, v16, v15
; %bb.442:                              ;   in Loop: Header=BB4_130 Depth=2
	s_andn2_saveexec_b32 s13, s13
; %bb.443:                              ;   in Loop: Header=BB4_130 Depth=2
	v_bfe_u32 v14, v15, 23, 1
; %bb.444:                              ;   in Loop: Header=BB4_130 Depth=2
	s_or_b32 exec_lo, exec_lo, s13
	v_lshrrev_b32_e32 v15, 20, v15
	v_min_i32_e32 v16, 15, v14
	v_cmp_gt_i32_e32 vcc_lo, 16, v14
	v_and_b32_sdwa v10, v10, v97 dst_sel:DWORD dst_unused:UNUSED_PAD src0_sel:BYTE_3 src1_sel:DWORD
	v_lshlrev_b32_e32 v16, 3, v16
	v_cndmask_b32_e32 v15, 7, v15, vcc_lo
	v_and_b32_e32 v16, 0xf8, v16
	v_and_b32_e32 v17, 7, v15
	v_or_b32_e32 v14, v14, v15
	v_or3_b32 v10, v10, v16, v17
	v_cmp_ne_u32_e32 vcc_lo, 0, v14
	v_lshlrev_b32_e32 v10, 8, v10
	v_cndmask_b32_e32 v46, 0, v10, vcc_lo
.LBB4_445:                              ;   in Loop: Header=BB4_130 Depth=2
	s_or_b32 exec_lo, exec_lo, s42
.LBB4_446:                              ;   in Loop: Header=BB4_130 Depth=2
	s_or_b32 exec_lo, exec_lo, s41
	v_and_b32_sdwa v14, v11, v100 dst_sel:DWORD dst_unused:UNUSED_PAD src0_sel:WORD_1 src1_sel:DWORD
	s_mov_b32 s13, 0
	s_mov_b32 s41, exec_lo
	v_cmpx_lt_i16_e32 0x7f, v14
	s_xor_b32 s41, exec_lo, s41
	s_cbranch_execz .LBB4_1268
; %bb.447:                              ;   in Loop: Header=BB4_130 Depth=2
	s_mov_b32 s13, -1
	s_mov_b32 s42, exec_lo
	v_cmpx_eq_u16_e32 0x80, v14
; %bb.448:                              ;   in Loop: Header=BB4_130 Depth=2
	s_xor_b32 s13, exec_lo, -1
; %bb.449:                              ;   in Loop: Header=BB4_130 Depth=2
	s_or_b32 exec_lo, exec_lo, s42
	s_and_b32 s13, s13, exec_lo
                                        ; implicit-def: $vgpr14
	s_or_saveexec_b32 s41, s41
	v_mov_b32_e32 v10, 0x7f800001
	s_xor_b32 exec_lo, exec_lo, s41
	s_cbranch_execnz .LBB4_1269
.LBB4_450:                              ;   in Loop: Header=BB4_130 Depth=2
	s_or_b32 exec_lo, exec_lo, s41
	s_and_saveexec_b32 s41, s13
	s_cbranch_execz .LBB4_452
.LBB4_451:                              ;   in Loop: Header=BB4_130 Depth=2
	v_bfe_u32 v10, v11, 16, 3
	v_bfe_u32 v16, v11, 19, 4
	v_lshlrev_b32_e32 v17, 8, v11
	v_ffbh_u32_e32 v14, v10
	v_cmp_eq_u32_e32 vcc_lo, 0, v16
	v_min_u32_e32 v14, 32, v14
	v_subrev_nc_u32_e32 v15, 28, v14
	v_sub_nc_u32_e32 v14, 29, v14
	v_lshlrev_b32_sdwa v15, v15, v11 dst_sel:DWORD dst_unused:UNUSED_PAD src0_sel:DWORD src1_sel:WORD_1
	v_cndmask_b32_e32 v14, v16, v14, vcc_lo
	v_and_b32_e32 v15, 7, v15
	v_lshl_add_u32 v14, v14, 23, 0x3b800000
	v_cndmask_b32_e32 v10, v10, v15, vcc_lo
	v_and_b32_e32 v15, 0x80000000, v17
	v_lshlrev_b32_e32 v10, 20, v10
	v_or3_b32 v10, v15, v14, v10
.LBB4_452:                              ;   in Loop: Header=BB4_130 Depth=2
	s_or_b32 exec_lo, exec_lo, s41
	v_mul_f32_e32 v10, s40, v10
	v_mov_b32_e32 v41, 0x80
	s_mov_b32 s41, exec_lo
	v_and_b32_e32 v14, 0x7f800000, v10
	v_cmpx_ne_u32_e32 0x7f800000, v14
	s_cbranch_execz .LBB4_460
; %bb.453:                              ;   in Loop: Header=BB4_130 Depth=2
	v_mov_b32_e32 v41, 0
	s_mov_b32 s42, exec_lo
	v_cmpx_ne_u32_e32 0, v10
	s_cbranch_execz .LBB4_459
; %bb.454:                              ;   in Loop: Header=BB4_130 Depth=2
	v_bfe_u32 v14, v10, 23, 8
	v_and_b32_e32 v15, 0x7fffff, v10
	v_sub_nc_u32_e32 v16, 0x78, v14
	v_cmp_gt_u32_e32 vcc_lo, 0x79, v14
	v_or_b32_e32 v17, 0x800000, v15
	v_cndmask_b32_e32 v16, 0, v16, vcc_lo
	v_cmp_eq_u32_e32 vcc_lo, 0, v14
	v_add_nc_u32_e32 v14, 0xffffff89, v14
	v_cndmask_b32_e64 v16, v16, 0x77, vcc_lo
	v_cndmask_b32_e32 v15, v17, v15, vcc_lo
	v_cndmask_b32_e64 v14, v14, 0xffffff8a, vcc_lo
	v_lshl_add_u32 v17, 0x100000, v16, -1
	v_lshrrev_b32_e32 v112, v16, v15
	v_lshlrev_b32_e64 v114, v16, 0x80000
	v_add_nc_u32_e32 v16, v16, v14
	v_and_b32_e32 v15, v17, v15
	v_bfe_u32 v113, v112, 20, 1
	v_cmp_eq_u32_e64 s13, v15, v114
	v_add_nc_u32_e32 v17, -1, v113
	v_cndmask_b32_e64 v15, 0, v17, s13
	v_lshrrev_b32_e32 v17, 23, v112
	s_mov_b32 s13, exec_lo
	v_add_nc_u32_e32 v15, v15, v112
	v_xor_b32_e32 v17, 1, v17
	v_and_b32_e32 v14, 0xfffff, v15
	v_add_nc_u32_e32 v15, v14, v112
                                        ; implicit-def: $vgpr14
	v_cmpx_ne_u32_e64 v16, v17
	s_xor_b32 s13, exec_lo, s13
; %bb.455:                              ;   in Loop: Header=BB4_130 Depth=2
	v_cmp_lt_u32_e32 vcc_lo, 0xffffff, v15
	v_sub_nc_u32_e32 v14, v16, v17
	v_cndmask_b32_e64 v16, 0, 1, vcc_lo
	v_add_co_ci_u32_e64 v14, null, 0, v14, vcc_lo
	v_lshrrev_b32_e32 v15, v16, v15
; %bb.456:                              ;   in Loop: Header=BB4_130 Depth=2
	s_andn2_saveexec_b32 s13, s13
; %bb.457:                              ;   in Loop: Header=BB4_130 Depth=2
	v_bfe_u32 v14, v15, 23, 1
; %bb.458:                              ;   in Loop: Header=BB4_130 Depth=2
	s_or_b32 exec_lo, exec_lo, s13
	v_lshrrev_b32_e32 v15, 20, v15
	v_min_i32_e32 v16, 15, v14
	v_cmp_gt_i32_e32 vcc_lo, 16, v14
	v_and_b32_sdwa v10, v10, v97 dst_sel:DWORD dst_unused:UNUSED_PAD src0_sel:BYTE_3 src1_sel:DWORD
	v_lshlrev_b32_e32 v16, 3, v16
	v_cndmask_b32_e32 v15, 7, v15, vcc_lo
	v_and_b32_e32 v16, 0xf8, v16
	v_and_b32_e32 v17, 7, v15
	v_or_b32_e32 v14, v14, v15
	v_or3_b32 v10, v16, v10, v17
	v_cmp_ne_u32_e32 vcc_lo, 0, v14
	v_cndmask_b32_e32 v41, 0, v10, vcc_lo
.LBB4_459:                              ;   in Loop: Header=BB4_130 Depth=2
	s_or_b32 exec_lo, exec_lo, s42
.LBB4_460:                              ;   in Loop: Header=BB4_130 Depth=2
	s_or_b32 exec_lo, exec_lo, s41
	v_cmp_gt_i16_sdwa s41, v11, v96 src0_sel:BYTE_3 src1_sel:DWORD
	s_mov_b32 s13, 0
	s_and_saveexec_b32 s42, s41
	s_xor_b32 s41, exec_lo, s42
	s_cbranch_execz .LBB4_1270
; %bb.461:                              ;   in Loop: Header=BB4_130 Depth=2
	v_cmp_eq_u16_sdwa s43, v11, v97 src0_sel:BYTE_3 src1_sel:DWORD
	s_mov_b32 s13, -1
	s_and_saveexec_b32 s42, s43
; %bb.462:                              ;   in Loop: Header=BB4_130 Depth=2
	s_xor_b32 s13, exec_lo, -1
; %bb.463:                              ;   in Loop: Header=BB4_130 Depth=2
	s_or_b32 exec_lo, exec_lo, s42
	s_and_b32 s13, s13, exec_lo
	s_or_saveexec_b32 s41, s41
	v_mov_b32_e32 v10, 0x7f800001
	s_xor_b32 exec_lo, exec_lo, s41
	s_cbranch_execnz .LBB4_1271
.LBB4_464:                              ;   in Loop: Header=BB4_130 Depth=2
	s_or_b32 exec_lo, exec_lo, s41
	s_and_saveexec_b32 s41, s13
	s_cbranch_execz .LBB4_466
.LBB4_465:                              ;   in Loop: Header=BB4_130 Depth=2
	v_bfe_u32 v10, v11, 24, 3
	v_bfe_u32 v16, v11, 27, 4
	v_ffbh_u32_e32 v14, v10
	v_cmp_eq_u32_e32 vcc_lo, 0, v16
	v_min_u32_e32 v14, 32, v14
	v_subrev_nc_u32_e32 v15, 28, v14
	v_sub_nc_u32_e32 v14, 29, v14
	v_lshlrev_b32_sdwa v15, v15, v11 dst_sel:DWORD dst_unused:UNUSED_PAD src0_sel:DWORD src1_sel:BYTE_3
	v_cndmask_b32_e32 v14, v16, v14, vcc_lo
	v_and_b32_e32 v11, 0x80000000, v11
	v_and_b32_e32 v15, 7, v15
	v_lshl_add_u32 v14, v14, 23, 0x3b800000
	v_cndmask_b32_e32 v10, v10, v15, vcc_lo
	v_lshlrev_b32_e32 v10, 20, v10
	v_or3_b32 v10, v11, v14, v10
.LBB4_466:                              ;   in Loop: Header=BB4_130 Depth=2
	s_or_b32 exec_lo, exec_lo, s41
	v_mul_f32_e32 v10, s40, v10
	v_mov_b32_e32 v44, 0x8000
	s_mov_b32 s41, exec_lo
	v_and_b32_e32 v11, 0x7f800000, v10
	v_cmpx_ne_u32_e32 0x7f800000, v11
	s_cbranch_execz .LBB4_474
; %bb.467:                              ;   in Loop: Header=BB4_130 Depth=2
	v_mov_b32_e32 v44, 0
	s_mov_b32 s42, exec_lo
	v_cmpx_ne_u32_e32 0, v10
	s_cbranch_execz .LBB4_473
; %bb.468:                              ;   in Loop: Header=BB4_130 Depth=2
	v_bfe_u32 v11, v10, 23, 8
	v_and_b32_e32 v14, 0x7fffff, v10
	v_sub_nc_u32_e32 v15, 0x78, v11
	v_cmp_gt_u32_e32 vcc_lo, 0x79, v11
	v_or_b32_e32 v16, 0x800000, v14
	v_cndmask_b32_e32 v15, 0, v15, vcc_lo
	v_cmp_eq_u32_e32 vcc_lo, 0, v11
	v_add_nc_u32_e32 v11, 0xffffff89, v11
	v_cndmask_b32_e64 v15, v15, 0x77, vcc_lo
	v_cndmask_b32_e32 v14, v16, v14, vcc_lo
	v_cndmask_b32_e64 v11, v11, 0xffffff8a, vcc_lo
	v_lshl_add_u32 v16, 0x100000, v15, -1
	v_lshrrev_b32_e32 v17, v15, v14
	v_lshlrev_b32_e64 v113, v15, 0x80000
	v_add_nc_u32_e32 v15, v15, v11
	v_and_b32_e32 v14, v16, v14
	v_bfe_u32 v112, v17, 20, 1
	v_cmp_eq_u32_e64 s13, v14, v113
	v_add_nc_u32_e32 v16, -1, v112
	v_cndmask_b32_e64 v14, 0, v16, s13
	v_lshrrev_b32_e32 v16, 23, v17
	s_mov_b32 s13, exec_lo
	v_add_nc_u32_e32 v14, v14, v17
	v_xor_b32_e32 v16, 1, v16
	v_and_b32_e32 v11, 0xfffff, v14
	v_add_nc_u32_e32 v14, v11, v17
                                        ; implicit-def: $vgpr11
	v_cmpx_ne_u32_e64 v15, v16
	s_xor_b32 s13, exec_lo, s13
; %bb.469:                              ;   in Loop: Header=BB4_130 Depth=2
	v_cmp_lt_u32_e32 vcc_lo, 0xffffff, v14
	v_sub_nc_u32_e32 v11, v15, v16
	v_cndmask_b32_e64 v15, 0, 1, vcc_lo
	v_add_co_ci_u32_e64 v11, null, 0, v11, vcc_lo
	v_lshrrev_b32_e32 v14, v15, v14
; %bb.470:                              ;   in Loop: Header=BB4_130 Depth=2
	s_andn2_saveexec_b32 s13, s13
; %bb.471:                              ;   in Loop: Header=BB4_130 Depth=2
	v_bfe_u32 v11, v14, 23, 1
; %bb.472:                              ;   in Loop: Header=BB4_130 Depth=2
	s_or_b32 exec_lo, exec_lo, s13
	v_lshrrev_b32_e32 v14, 20, v14
	v_min_i32_e32 v15, 15, v11
	v_cmp_gt_i32_e32 vcc_lo, 16, v11
	v_and_b32_sdwa v10, v10, v97 dst_sel:DWORD dst_unused:UNUSED_PAD src0_sel:BYTE_3 src1_sel:DWORD
	v_lshlrev_b32_e32 v15, 3, v15
	v_cndmask_b32_e32 v14, 7, v14, vcc_lo
	v_and_b32_e32 v15, 0xf8, v15
	v_and_b32_e32 v16, 7, v14
	v_or_b32_e32 v11, v11, v14
	v_or3_b32 v10, v10, v15, v16
	v_cmp_ne_u32_e32 vcc_lo, 0, v11
	v_lshlrev_b32_e32 v10, 8, v10
	v_cndmask_b32_e32 v44, 0, v10, vcc_lo
.LBB4_473:                              ;   in Loop: Header=BB4_130 Depth=2
	s_or_b32 exec_lo, exec_lo, s42
.LBB4_474:                              ;   in Loop: Header=BB4_130 Depth=2
	s_or_b32 exec_lo, exec_lo, s41
	v_cmp_gt_i16_sdwa s41, v12, v96 src0_sel:BYTE_0 src1_sel:DWORD
	s_mov_b32 s13, 0
	s_and_saveexec_b32 s42, s41
	s_xor_b32 s41, exec_lo, s42
	s_cbranch_execz .LBB4_1272
; %bb.475:                              ;   in Loop: Header=BB4_130 Depth=2
	v_cmp_eq_u16_sdwa s43, v12, v97 src0_sel:BYTE_0 src1_sel:DWORD
	s_mov_b32 s13, -1
	s_and_saveexec_b32 s42, s43
; %bb.476:                              ;   in Loop: Header=BB4_130 Depth=2
	s_xor_b32 s13, exec_lo, -1
; %bb.477:                              ;   in Loop: Header=BB4_130 Depth=2
	s_or_b32 exec_lo, exec_lo, s42
	s_and_b32 s13, s13, exec_lo
	s_or_saveexec_b32 s41, s41
	v_mov_b32_e32 v10, 0x7f800001
	s_xor_b32 exec_lo, exec_lo, s41
	s_cbranch_execnz .LBB4_1273
.LBB4_478:                              ;   in Loop: Header=BB4_130 Depth=2
	s_or_b32 exec_lo, exec_lo, s41
	s_and_saveexec_b32 s41, s13
	s_cbranch_execz .LBB4_480
.LBB4_479:                              ;   in Loop: Header=BB4_130 Depth=2
	v_and_b32_e32 v10, 7, v12
	v_bfe_u32 v15, v12, 3, 4
	v_lshlrev_b32_e32 v16, 24, v12
	v_ffbh_u32_e32 v11, v10
	v_cmp_eq_u32_e32 vcc_lo, 0, v15
	v_min_u32_e32 v11, 32, v11
	v_subrev_nc_u32_e32 v14, 28, v11
	v_sub_nc_u32_e32 v11, 29, v11
	v_lshlrev_b32_e32 v14, v14, v12
	v_cndmask_b32_e32 v11, v15, v11, vcc_lo
	v_and_b32_e32 v14, 7, v14
	v_lshl_add_u32 v11, v11, 23, 0x3b800000
	v_cndmask_b32_e32 v10, v10, v14, vcc_lo
	v_and_b32_e32 v14, 0x80000000, v16
	v_lshlrev_b32_e32 v10, 20, v10
	v_or3_b32 v10, v14, v11, v10
.LBB4_480:                              ;   in Loop: Header=BB4_130 Depth=2
	s_or_b32 exec_lo, exec_lo, s41
	v_mul_f32_e32 v10, s40, v10
	v_mov_b32_e32 v118, 0x80
	s_mov_b32 s41, exec_lo
	v_and_b32_e32 v11, 0x7f800000, v10
	v_cmpx_ne_u32_e32 0x7f800000, v11
	s_cbranch_execz .LBB4_488
; %bb.481:                              ;   in Loop: Header=BB4_130 Depth=2
	v_mov_b32_e32 v118, 0
	s_mov_b32 s42, exec_lo
	v_cmpx_ne_u32_e32 0, v10
	s_cbranch_execz .LBB4_487
; %bb.482:                              ;   in Loop: Header=BB4_130 Depth=2
	v_bfe_u32 v11, v10, 23, 8
	v_and_b32_e32 v14, 0x7fffff, v10
	v_sub_nc_u32_e32 v15, 0x78, v11
	v_cmp_gt_u32_e32 vcc_lo, 0x79, v11
	v_or_b32_e32 v16, 0x800000, v14
	v_cndmask_b32_e32 v15, 0, v15, vcc_lo
	v_cmp_eq_u32_e32 vcc_lo, 0, v11
	v_add_nc_u32_e32 v11, 0xffffff89, v11
	v_cndmask_b32_e64 v15, v15, 0x77, vcc_lo
	v_cndmask_b32_e32 v14, v16, v14, vcc_lo
	v_cndmask_b32_e64 v11, v11, 0xffffff8a, vcc_lo
	v_lshl_add_u32 v16, 0x100000, v15, -1
	v_lshrrev_b32_e32 v17, v15, v14
	v_lshlrev_b32_e64 v113, v15, 0x80000
	v_add_nc_u32_e32 v15, v15, v11
	v_and_b32_e32 v14, v16, v14
	v_bfe_u32 v112, v17, 20, 1
	v_cmp_eq_u32_e64 s13, v14, v113
	v_add_nc_u32_e32 v16, -1, v112
	v_cndmask_b32_e64 v14, 0, v16, s13
	v_lshrrev_b32_e32 v16, 23, v17
	s_mov_b32 s13, exec_lo
	v_add_nc_u32_e32 v14, v14, v17
	v_xor_b32_e32 v16, 1, v16
	v_and_b32_e32 v11, 0xfffff, v14
	v_add_nc_u32_e32 v14, v11, v17
                                        ; implicit-def: $vgpr11
	v_cmpx_ne_u32_e64 v15, v16
	s_xor_b32 s13, exec_lo, s13
; %bb.483:                              ;   in Loop: Header=BB4_130 Depth=2
	v_cmp_lt_u32_e32 vcc_lo, 0xffffff, v14
	v_sub_nc_u32_e32 v11, v15, v16
	v_cndmask_b32_e64 v15, 0, 1, vcc_lo
	v_add_co_ci_u32_e64 v11, null, 0, v11, vcc_lo
	v_lshrrev_b32_e32 v14, v15, v14
; %bb.484:                              ;   in Loop: Header=BB4_130 Depth=2
	s_andn2_saveexec_b32 s13, s13
; %bb.485:                              ;   in Loop: Header=BB4_130 Depth=2
	v_bfe_u32 v11, v14, 23, 1
; %bb.486:                              ;   in Loop: Header=BB4_130 Depth=2
	s_or_b32 exec_lo, exec_lo, s13
	v_lshrrev_b32_e32 v14, 20, v14
	v_min_i32_e32 v15, 15, v11
	v_cmp_gt_i32_e32 vcc_lo, 16, v11
	v_and_b32_sdwa v10, v10, v97 dst_sel:DWORD dst_unused:UNUSED_PAD src0_sel:BYTE_3 src1_sel:DWORD
	v_lshlrev_b32_e32 v15, 3, v15
	v_cndmask_b32_e32 v14, 7, v14, vcc_lo
	v_and_b32_e32 v15, 0xf8, v15
	v_and_b32_e32 v16, 7, v14
	v_or_b32_e32 v11, v11, v14
	v_or3_b32 v10, v15, v10, v16
	v_cmp_ne_u32_e32 vcc_lo, 0, v11
	v_cndmask_b32_e32 v118, 0, v10, vcc_lo
.LBB4_487:                              ;   in Loop: Header=BB4_130 Depth=2
	s_or_b32 exec_lo, exec_lo, s42
.LBB4_488:                              ;   in Loop: Header=BB4_130 Depth=2
	s_or_b32 exec_lo, exec_lo, s41
	v_cmp_gt_i16_sdwa s41, v12, v96 src0_sel:BYTE_1 src1_sel:DWORD
	s_mov_b32 s13, 0
	s_and_saveexec_b32 s42, s41
	s_xor_b32 s41, exec_lo, s42
	s_cbranch_execz .LBB4_1274
; %bb.489:                              ;   in Loop: Header=BB4_130 Depth=2
	v_cmp_eq_u16_sdwa s43, v12, v97 src0_sel:BYTE_1 src1_sel:DWORD
	s_mov_b32 s13, -1
	s_and_saveexec_b32 s42, s43
; %bb.490:                              ;   in Loop: Header=BB4_130 Depth=2
	s_xor_b32 s13, exec_lo, -1
; %bb.491:                              ;   in Loop: Header=BB4_130 Depth=2
	s_or_b32 exec_lo, exec_lo, s42
	s_and_b32 s13, s13, exec_lo
	s_or_saveexec_b32 s41, s41
	v_mov_b32_e32 v10, 0x7f800001
	s_xor_b32 exec_lo, exec_lo, s41
	s_cbranch_execnz .LBB4_1275
.LBB4_492:                              ;   in Loop: Header=BB4_130 Depth=2
	s_or_b32 exec_lo, exec_lo, s41
	s_and_saveexec_b32 s41, s13
	s_cbranch_execz .LBB4_494
.LBB4_493:                              ;   in Loop: Header=BB4_130 Depth=2
	v_and_b32_sdwa v10, v98, v12 dst_sel:DWORD dst_unused:UNUSED_PAD src0_sel:DWORD src1_sel:BYTE_1
	v_and_b32_e32 v11, 7, v10
	v_bfe_u32 v16, v10, 3, 4
	v_ffbh_u32_e32 v14, v11
	v_cmp_eq_u32_e32 vcc_lo, 0, v16
	v_min_u32_e32 v14, 32, v14
	v_subrev_nc_u32_e32 v15, 28, v14
	v_sub_nc_u32_e32 v14, 29, v14
	v_lshlrev_b32_e32 v10, v15, v10
	v_lshlrev_b32_sdwa v15, v99, v12 dst_sel:DWORD dst_unused:UNUSED_PAD src0_sel:DWORD src1_sel:BYTE_1
	v_cndmask_b32_e32 v14, v16, v14, vcc_lo
	v_and_b32_e32 v10, 7, v10
	v_lshl_add_u32 v14, v14, 23, 0x3b800000
	v_cndmask_b32_e32 v10, v11, v10, vcc_lo
	v_and_b32_e32 v11, 0x80000000, v15
	v_lshlrev_b32_e32 v10, 20, v10
	v_or3_b32 v10, v11, v14, v10
.LBB4_494:                              ;   in Loop: Header=BB4_130 Depth=2
	s_or_b32 exec_lo, exec_lo, s41
	v_mul_f32_e32 v10, s40, v10
	v_mov_b32_e32 v42, 0x8000
	s_mov_b32 s41, exec_lo
	v_and_b32_e32 v11, 0x7f800000, v10
	v_cmpx_ne_u32_e32 0x7f800000, v11
	s_cbranch_execz .LBB4_502
; %bb.495:                              ;   in Loop: Header=BB4_130 Depth=2
	v_mov_b32_e32 v42, 0
	s_mov_b32 s42, exec_lo
	v_cmpx_ne_u32_e32 0, v10
	s_cbranch_execz .LBB4_501
; %bb.496:                              ;   in Loop: Header=BB4_130 Depth=2
	v_bfe_u32 v11, v10, 23, 8
	v_and_b32_e32 v14, 0x7fffff, v10
	v_sub_nc_u32_e32 v15, 0x78, v11
	v_cmp_gt_u32_e32 vcc_lo, 0x79, v11
	v_or_b32_e32 v16, 0x800000, v14
	v_cndmask_b32_e32 v15, 0, v15, vcc_lo
	v_cmp_eq_u32_e32 vcc_lo, 0, v11
	v_add_nc_u32_e32 v11, 0xffffff89, v11
	v_cndmask_b32_e64 v15, v15, 0x77, vcc_lo
	v_cndmask_b32_e32 v14, v16, v14, vcc_lo
	v_cndmask_b32_e64 v11, v11, 0xffffff8a, vcc_lo
	v_lshl_add_u32 v16, 0x100000, v15, -1
	v_lshrrev_b32_e32 v17, v15, v14
	v_lshlrev_b32_e64 v113, v15, 0x80000
	v_add_nc_u32_e32 v15, v15, v11
	v_and_b32_e32 v14, v16, v14
	v_bfe_u32 v112, v17, 20, 1
	v_cmp_eq_u32_e64 s13, v14, v113
	v_add_nc_u32_e32 v16, -1, v112
	v_cndmask_b32_e64 v14, 0, v16, s13
	v_lshrrev_b32_e32 v16, 23, v17
	s_mov_b32 s13, exec_lo
	v_add_nc_u32_e32 v14, v14, v17
	v_xor_b32_e32 v16, 1, v16
	v_and_b32_e32 v11, 0xfffff, v14
	v_add_nc_u32_e32 v14, v11, v17
                                        ; implicit-def: $vgpr11
	v_cmpx_ne_u32_e64 v15, v16
	s_xor_b32 s13, exec_lo, s13
; %bb.497:                              ;   in Loop: Header=BB4_130 Depth=2
	v_cmp_lt_u32_e32 vcc_lo, 0xffffff, v14
	v_sub_nc_u32_e32 v11, v15, v16
	v_cndmask_b32_e64 v15, 0, 1, vcc_lo
	v_add_co_ci_u32_e64 v11, null, 0, v11, vcc_lo
	v_lshrrev_b32_e32 v14, v15, v14
; %bb.498:                              ;   in Loop: Header=BB4_130 Depth=2
	s_andn2_saveexec_b32 s13, s13
; %bb.499:                              ;   in Loop: Header=BB4_130 Depth=2
	v_bfe_u32 v11, v14, 23, 1
; %bb.500:                              ;   in Loop: Header=BB4_130 Depth=2
	s_or_b32 exec_lo, exec_lo, s13
	v_lshrrev_b32_e32 v14, 20, v14
	v_min_i32_e32 v15, 15, v11
	v_cmp_gt_i32_e32 vcc_lo, 16, v11
	v_and_b32_sdwa v10, v10, v97 dst_sel:DWORD dst_unused:UNUSED_PAD src0_sel:BYTE_3 src1_sel:DWORD
	v_lshlrev_b32_e32 v15, 3, v15
	v_cndmask_b32_e32 v14, 7, v14, vcc_lo
	v_and_b32_e32 v15, 0xf8, v15
	v_and_b32_e32 v16, 7, v14
	v_or_b32_e32 v11, v11, v14
	v_or3_b32 v10, v10, v15, v16
	v_cmp_ne_u32_e32 vcc_lo, 0, v11
	v_lshlrev_b32_e32 v10, 8, v10
	v_cndmask_b32_e32 v42, 0, v10, vcc_lo
.LBB4_501:                              ;   in Loop: Header=BB4_130 Depth=2
	s_or_b32 exec_lo, exec_lo, s42
.LBB4_502:                              ;   in Loop: Header=BB4_130 Depth=2
	s_or_b32 exec_lo, exec_lo, s41
	v_and_b32_sdwa v11, v12, v100 dst_sel:DWORD dst_unused:UNUSED_PAD src0_sel:WORD_1 src1_sel:DWORD
	s_mov_b32 s13, 0
	s_mov_b32 s41, exec_lo
	v_cmpx_lt_i16_e32 0x7f, v11
	s_xor_b32 s41, exec_lo, s41
	s_cbranch_execz .LBB4_1276
; %bb.503:                              ;   in Loop: Header=BB4_130 Depth=2
	s_mov_b32 s13, -1
	s_mov_b32 s42, exec_lo
	v_cmpx_eq_u16_e32 0x80, v11
; %bb.504:                              ;   in Loop: Header=BB4_130 Depth=2
	s_xor_b32 s13, exec_lo, -1
; %bb.505:                              ;   in Loop: Header=BB4_130 Depth=2
	s_or_b32 exec_lo, exec_lo, s42
	s_and_b32 s13, s13, exec_lo
                                        ; implicit-def: $vgpr11
	s_or_saveexec_b32 s41, s41
	v_mov_b32_e32 v10, 0x7f800001
	s_xor_b32 exec_lo, exec_lo, s41
	s_cbranch_execnz .LBB4_1277
.LBB4_506:                              ;   in Loop: Header=BB4_130 Depth=2
	s_or_b32 exec_lo, exec_lo, s41
	s_and_saveexec_b32 s41, s13
	s_cbranch_execz .LBB4_508
.LBB4_507:                              ;   in Loop: Header=BB4_130 Depth=2
	v_bfe_u32 v10, v12, 16, 3
	v_bfe_u32 v15, v12, 19, 4
	v_lshlrev_b32_e32 v16, 8, v12
	v_ffbh_u32_e32 v11, v10
	v_cmp_eq_u32_e32 vcc_lo, 0, v15
	v_min_u32_e32 v11, 32, v11
	v_subrev_nc_u32_e32 v14, 28, v11
	v_sub_nc_u32_e32 v11, 29, v11
	v_lshlrev_b32_sdwa v14, v14, v12 dst_sel:DWORD dst_unused:UNUSED_PAD src0_sel:DWORD src1_sel:WORD_1
	v_cndmask_b32_e32 v11, v15, v11, vcc_lo
	v_and_b32_e32 v14, 7, v14
	v_lshl_add_u32 v11, v11, 23, 0x3b800000
	v_cndmask_b32_e32 v10, v10, v14, vcc_lo
	v_and_b32_e32 v14, 0x80000000, v16
	v_lshlrev_b32_e32 v10, 20, v10
	v_or3_b32 v10, v14, v11, v10
.LBB4_508:                              ;   in Loop: Header=BB4_130 Depth=2
	s_or_b32 exec_lo, exec_lo, s41
	v_mul_f32_e32 v10, s40, v10
	v_mov_b32_e32 v116, 0x80
	s_mov_b32 s41, exec_lo
	v_and_b32_e32 v11, 0x7f800000, v10
	v_cmpx_ne_u32_e32 0x7f800000, v11
	s_cbranch_execz .LBB4_516
; %bb.509:                              ;   in Loop: Header=BB4_130 Depth=2
	v_mov_b32_e32 v116, 0
	s_mov_b32 s42, exec_lo
	v_cmpx_ne_u32_e32 0, v10
	s_cbranch_execz .LBB4_515
; %bb.510:                              ;   in Loop: Header=BB4_130 Depth=2
	v_bfe_u32 v11, v10, 23, 8
	v_and_b32_e32 v14, 0x7fffff, v10
	v_sub_nc_u32_e32 v15, 0x78, v11
	v_cmp_gt_u32_e32 vcc_lo, 0x79, v11
	v_or_b32_e32 v16, 0x800000, v14
	v_cndmask_b32_e32 v15, 0, v15, vcc_lo
	v_cmp_eq_u32_e32 vcc_lo, 0, v11
	v_add_nc_u32_e32 v11, 0xffffff89, v11
	v_cndmask_b32_e64 v15, v15, 0x77, vcc_lo
	v_cndmask_b32_e32 v14, v16, v14, vcc_lo
	v_cndmask_b32_e64 v11, v11, 0xffffff8a, vcc_lo
	v_lshl_add_u32 v16, 0x100000, v15, -1
	v_lshrrev_b32_e32 v17, v15, v14
	v_lshlrev_b32_e64 v113, v15, 0x80000
	v_add_nc_u32_e32 v15, v15, v11
	v_and_b32_e32 v14, v16, v14
	v_bfe_u32 v112, v17, 20, 1
	v_cmp_eq_u32_e64 s13, v14, v113
	v_add_nc_u32_e32 v16, -1, v112
	v_cndmask_b32_e64 v14, 0, v16, s13
	v_lshrrev_b32_e32 v16, 23, v17
	s_mov_b32 s13, exec_lo
	v_add_nc_u32_e32 v14, v14, v17
	v_xor_b32_e32 v16, 1, v16
	v_and_b32_e32 v11, 0xfffff, v14
	v_add_nc_u32_e32 v14, v11, v17
                                        ; implicit-def: $vgpr11
	v_cmpx_ne_u32_e64 v15, v16
	s_xor_b32 s13, exec_lo, s13
; %bb.511:                              ;   in Loop: Header=BB4_130 Depth=2
	v_cmp_lt_u32_e32 vcc_lo, 0xffffff, v14
	v_sub_nc_u32_e32 v11, v15, v16
	v_cndmask_b32_e64 v15, 0, 1, vcc_lo
	v_add_co_ci_u32_e64 v11, null, 0, v11, vcc_lo
	v_lshrrev_b32_e32 v14, v15, v14
; %bb.512:                              ;   in Loop: Header=BB4_130 Depth=2
	s_andn2_saveexec_b32 s13, s13
; %bb.513:                              ;   in Loop: Header=BB4_130 Depth=2
	v_bfe_u32 v11, v14, 23, 1
; %bb.514:                              ;   in Loop: Header=BB4_130 Depth=2
	s_or_b32 exec_lo, exec_lo, s13
	v_lshrrev_b32_e32 v14, 20, v14
	v_min_i32_e32 v15, 15, v11
	v_cmp_gt_i32_e32 vcc_lo, 16, v11
	v_and_b32_sdwa v10, v10, v97 dst_sel:DWORD dst_unused:UNUSED_PAD src0_sel:BYTE_3 src1_sel:DWORD
	v_lshlrev_b32_e32 v15, 3, v15
	v_cndmask_b32_e32 v14, 7, v14, vcc_lo
	v_and_b32_e32 v15, 0xf8, v15
	v_and_b32_e32 v16, 7, v14
	v_or_b32_e32 v11, v11, v14
	v_or3_b32 v10, v15, v10, v16
	v_cmp_ne_u32_e32 vcc_lo, 0, v11
	v_cndmask_b32_e32 v116, 0, v10, vcc_lo
.LBB4_515:                              ;   in Loop: Header=BB4_130 Depth=2
	s_or_b32 exec_lo, exec_lo, s42
.LBB4_516:                              ;   in Loop: Header=BB4_130 Depth=2
	s_or_b32 exec_lo, exec_lo, s41
	v_cmp_gt_i16_sdwa s41, v12, v96 src0_sel:BYTE_3 src1_sel:DWORD
	s_mov_b32 s13, 0
	s_and_saveexec_b32 s42, s41
	s_xor_b32 s41, exec_lo, s42
	s_cbranch_execz .LBB4_1278
; %bb.517:                              ;   in Loop: Header=BB4_130 Depth=2
	v_cmp_eq_u16_sdwa s43, v12, v97 src0_sel:BYTE_3 src1_sel:DWORD
	s_mov_b32 s13, -1
	s_and_saveexec_b32 s42, s43
; %bb.518:                              ;   in Loop: Header=BB4_130 Depth=2
	s_xor_b32 s13, exec_lo, -1
; %bb.519:                              ;   in Loop: Header=BB4_130 Depth=2
	s_or_b32 exec_lo, exec_lo, s42
	s_and_b32 s13, s13, exec_lo
	s_or_saveexec_b32 s41, s41
	v_mov_b32_e32 v10, 0x7f800001
	s_xor_b32 exec_lo, exec_lo, s41
	s_cbranch_execnz .LBB4_1279
.LBB4_520:                              ;   in Loop: Header=BB4_130 Depth=2
	s_or_b32 exec_lo, exec_lo, s41
	s_and_saveexec_b32 s41, s13
	s_cbranch_execz .LBB4_522
.LBB4_521:                              ;   in Loop: Header=BB4_130 Depth=2
	v_bfe_u32 v10, v12, 24, 3
	v_bfe_u32 v15, v12, 27, 4
	v_ffbh_u32_e32 v11, v10
	v_cmp_eq_u32_e32 vcc_lo, 0, v15
	v_min_u32_e32 v11, 32, v11
	v_subrev_nc_u32_e32 v14, 28, v11
	v_sub_nc_u32_e32 v11, 29, v11
	v_lshlrev_b32_sdwa v14, v14, v12 dst_sel:DWORD dst_unused:UNUSED_PAD src0_sel:DWORD src1_sel:BYTE_3
	v_cndmask_b32_e32 v11, v15, v11, vcc_lo
	v_and_b32_e32 v12, 0x80000000, v12
	v_and_b32_e32 v14, 7, v14
	v_lshl_add_u32 v11, v11, 23, 0x3b800000
	v_cndmask_b32_e32 v10, v10, v14, vcc_lo
	v_lshlrev_b32_e32 v10, 20, v10
	v_or3_b32 v10, v12, v11, v10
.LBB4_522:                              ;   in Loop: Header=BB4_130 Depth=2
	s_or_b32 exec_lo, exec_lo, s41
	v_mul_f32_e32 v10, s40, v10
	v_mov_b32_e32 v40, 0x8000
	s_mov_b32 s41, exec_lo
	v_and_b32_e32 v11, 0x7f800000, v10
	v_cmpx_ne_u32_e32 0x7f800000, v11
	s_cbranch_execz .LBB4_530
; %bb.523:                              ;   in Loop: Header=BB4_130 Depth=2
	v_mov_b32_e32 v40, 0
	s_mov_b32 s42, exec_lo
	v_cmpx_ne_u32_e32 0, v10
	s_cbranch_execz .LBB4_529
; %bb.524:                              ;   in Loop: Header=BB4_130 Depth=2
	v_bfe_u32 v11, v10, 23, 8
	v_and_b32_e32 v12, 0x7fffff, v10
	v_sub_nc_u32_e32 v14, 0x78, v11
	v_cmp_gt_u32_e32 vcc_lo, 0x79, v11
	v_or_b32_e32 v15, 0x800000, v12
	v_cndmask_b32_e32 v14, 0, v14, vcc_lo
	v_cmp_eq_u32_e32 vcc_lo, 0, v11
	v_add_nc_u32_e32 v11, 0xffffff89, v11
	v_cndmask_b32_e64 v14, v14, 0x77, vcc_lo
	v_cndmask_b32_e32 v12, v15, v12, vcc_lo
	v_cndmask_b32_e64 v11, v11, 0xffffff8a, vcc_lo
	v_lshl_add_u32 v15, 0x100000, v14, -1
	v_lshrrev_b32_e32 v16, v14, v12
	v_lshlrev_b32_e64 v112, v14, 0x80000
	v_add_nc_u32_e32 v14, v14, v11
	v_and_b32_e32 v12, v15, v12
	v_bfe_u32 v17, v16, 20, 1
	v_cmp_eq_u32_e64 s13, v12, v112
	v_add_nc_u32_e32 v15, -1, v17
	v_cndmask_b32_e64 v12, 0, v15, s13
	v_lshrrev_b32_e32 v15, 23, v16
	s_mov_b32 s13, exec_lo
	v_add_nc_u32_e32 v12, v12, v16
	v_xor_b32_e32 v15, 1, v15
	v_and_b32_e32 v11, 0xfffff, v12
	v_add_nc_u32_e32 v12, v11, v16
                                        ; implicit-def: $vgpr11
	v_cmpx_ne_u32_e64 v14, v15
	s_xor_b32 s13, exec_lo, s13
; %bb.525:                              ;   in Loop: Header=BB4_130 Depth=2
	v_cmp_lt_u32_e32 vcc_lo, 0xffffff, v12
	v_sub_nc_u32_e32 v11, v14, v15
	v_cndmask_b32_e64 v14, 0, 1, vcc_lo
	v_add_co_ci_u32_e64 v11, null, 0, v11, vcc_lo
	v_lshrrev_b32_e32 v12, v14, v12
; %bb.526:                              ;   in Loop: Header=BB4_130 Depth=2
	s_andn2_saveexec_b32 s13, s13
; %bb.527:                              ;   in Loop: Header=BB4_130 Depth=2
	v_bfe_u32 v11, v12, 23, 1
; %bb.528:                              ;   in Loop: Header=BB4_130 Depth=2
	s_or_b32 exec_lo, exec_lo, s13
	v_lshrrev_b32_e32 v12, 20, v12
	v_min_i32_e32 v14, 15, v11
	v_cmp_gt_i32_e32 vcc_lo, 16, v11
	v_and_b32_sdwa v10, v10, v97 dst_sel:DWORD dst_unused:UNUSED_PAD src0_sel:BYTE_3 src1_sel:DWORD
	v_lshlrev_b32_e32 v14, 3, v14
	v_cndmask_b32_e32 v12, 7, v12, vcc_lo
	v_and_b32_e32 v14, 0xf8, v14
	v_and_b32_e32 v15, 7, v12
	v_or_b32_e32 v11, v11, v12
	v_or3_b32 v10, v10, v14, v15
	v_cmp_ne_u32_e32 vcc_lo, 0, v11
	v_lshlrev_b32_e32 v10, 8, v10
	v_cndmask_b32_e32 v40, 0, v10, vcc_lo
.LBB4_529:                              ;   in Loop: Header=BB4_130 Depth=2
	s_or_b32 exec_lo, exec_lo, s42
.LBB4_530:                              ;   in Loop: Header=BB4_130 Depth=2
	s_or_b32 exec_lo, exec_lo, s41
	v_cmp_gt_i16_sdwa s41, v13, v96 src0_sel:BYTE_0 src1_sel:DWORD
	s_mov_b32 s13, 0
	s_and_saveexec_b32 s42, s41
	s_xor_b32 s41, exec_lo, s42
	s_cbranch_execz .LBB4_1280
; %bb.531:                              ;   in Loop: Header=BB4_130 Depth=2
	v_cmp_eq_u16_sdwa s43, v13, v97 src0_sel:BYTE_0 src1_sel:DWORD
	s_mov_b32 s13, -1
	s_and_saveexec_b32 s42, s43
; %bb.532:                              ;   in Loop: Header=BB4_130 Depth=2
	s_xor_b32 s13, exec_lo, -1
; %bb.533:                              ;   in Loop: Header=BB4_130 Depth=2
	s_or_b32 exec_lo, exec_lo, s42
	s_and_b32 s13, s13, exec_lo
	s_or_saveexec_b32 s41, s41
	v_mov_b32_e32 v10, 0x7f800001
	s_xor_b32 exec_lo, exec_lo, s41
	s_cbranch_execnz .LBB4_1281
.LBB4_534:                              ;   in Loop: Header=BB4_130 Depth=2
	s_or_b32 exec_lo, exec_lo, s41
	s_and_saveexec_b32 s41, s13
	s_cbranch_execz .LBB4_536
.LBB4_535:                              ;   in Loop: Header=BB4_130 Depth=2
	v_and_b32_e32 v10, 7, v13
	v_bfe_u32 v14, v13, 3, 4
	v_lshlrev_b32_e32 v15, 24, v13
	v_ffbh_u32_e32 v11, v10
	v_cmp_eq_u32_e32 vcc_lo, 0, v14
	v_min_u32_e32 v11, 32, v11
	v_subrev_nc_u32_e32 v12, 28, v11
	v_sub_nc_u32_e32 v11, 29, v11
	v_lshlrev_b32_e32 v12, v12, v13
	v_cndmask_b32_e32 v11, v14, v11, vcc_lo
	v_and_b32_e32 v12, 7, v12
	v_lshl_add_u32 v11, v11, 23, 0x3b800000
	v_cndmask_b32_e32 v10, v10, v12, vcc_lo
	v_and_b32_e32 v12, 0x80000000, v15
	v_lshlrev_b32_e32 v10, 20, v10
	v_or3_b32 v10, v12, v11, v10
.LBB4_536:                              ;   in Loop: Header=BB4_130 Depth=2
	s_or_b32 exec_lo, exec_lo, s41
	v_mul_f32_e32 v10, s40, v10
	v_mov_b32_e32 v113, 0x80
	s_mov_b32 s41, exec_lo
	v_and_b32_e32 v11, 0x7f800000, v10
	v_cmpx_ne_u32_e32 0x7f800000, v11
	s_cbranch_execz .LBB4_544
; %bb.537:                              ;   in Loop: Header=BB4_130 Depth=2
	v_mov_b32_e32 v113, 0
	s_mov_b32 s42, exec_lo
	v_cmpx_ne_u32_e32 0, v10
	s_cbranch_execz .LBB4_543
; %bb.538:                              ;   in Loop: Header=BB4_130 Depth=2
	v_bfe_u32 v11, v10, 23, 8
	v_and_b32_e32 v12, 0x7fffff, v10
	v_sub_nc_u32_e32 v14, 0x78, v11
	v_cmp_gt_u32_e32 vcc_lo, 0x79, v11
	v_or_b32_e32 v15, 0x800000, v12
	v_cndmask_b32_e32 v14, 0, v14, vcc_lo
	v_cmp_eq_u32_e32 vcc_lo, 0, v11
	v_add_nc_u32_e32 v11, 0xffffff89, v11
	v_cndmask_b32_e64 v14, v14, 0x77, vcc_lo
	v_cndmask_b32_e32 v12, v15, v12, vcc_lo
	v_cndmask_b32_e64 v11, v11, 0xffffff8a, vcc_lo
	v_lshl_add_u32 v15, 0x100000, v14, -1
	v_lshrrev_b32_e32 v16, v14, v12
	v_lshlrev_b32_e64 v112, v14, 0x80000
	v_add_nc_u32_e32 v14, v14, v11
	v_and_b32_e32 v12, v15, v12
	v_bfe_u32 v17, v16, 20, 1
	v_cmp_eq_u32_e64 s13, v12, v112
	v_add_nc_u32_e32 v15, -1, v17
	v_cndmask_b32_e64 v12, 0, v15, s13
	v_lshrrev_b32_e32 v15, 23, v16
	s_mov_b32 s13, exec_lo
	v_add_nc_u32_e32 v12, v12, v16
	v_xor_b32_e32 v15, 1, v15
	v_and_b32_e32 v11, 0xfffff, v12
	v_add_nc_u32_e32 v12, v11, v16
                                        ; implicit-def: $vgpr11
	v_cmpx_ne_u32_e64 v14, v15
	s_xor_b32 s13, exec_lo, s13
; %bb.539:                              ;   in Loop: Header=BB4_130 Depth=2
	v_cmp_lt_u32_e32 vcc_lo, 0xffffff, v12
	v_sub_nc_u32_e32 v11, v14, v15
	v_cndmask_b32_e64 v14, 0, 1, vcc_lo
	v_add_co_ci_u32_e64 v11, null, 0, v11, vcc_lo
	v_lshrrev_b32_e32 v12, v14, v12
; %bb.540:                              ;   in Loop: Header=BB4_130 Depth=2
	s_andn2_saveexec_b32 s13, s13
; %bb.541:                              ;   in Loop: Header=BB4_130 Depth=2
	v_bfe_u32 v11, v12, 23, 1
; %bb.542:                              ;   in Loop: Header=BB4_130 Depth=2
	s_or_b32 exec_lo, exec_lo, s13
	v_lshrrev_b32_e32 v12, 20, v12
	v_min_i32_e32 v14, 15, v11
	v_cmp_gt_i32_e32 vcc_lo, 16, v11
	v_and_b32_sdwa v10, v10, v97 dst_sel:DWORD dst_unused:UNUSED_PAD src0_sel:BYTE_3 src1_sel:DWORD
	v_lshlrev_b32_e32 v14, 3, v14
	v_cndmask_b32_e32 v12, 7, v12, vcc_lo
	v_and_b32_e32 v14, 0xf8, v14
	v_and_b32_e32 v15, 7, v12
	v_or_b32_e32 v11, v11, v12
	v_or3_b32 v10, v14, v10, v15
	v_cmp_ne_u32_e32 vcc_lo, 0, v11
	v_cndmask_b32_e32 v113, 0, v10, vcc_lo
.LBB4_543:                              ;   in Loop: Header=BB4_130 Depth=2
	s_or_b32 exec_lo, exec_lo, s42
.LBB4_544:                              ;   in Loop: Header=BB4_130 Depth=2
	s_or_b32 exec_lo, exec_lo, s41
	v_cmp_gt_i16_sdwa s41, v13, v96 src0_sel:BYTE_1 src1_sel:DWORD
	s_mov_b32 s13, 0
	s_and_saveexec_b32 s42, s41
	s_xor_b32 s41, exec_lo, s42
	s_cbranch_execz .LBB4_1282
; %bb.545:                              ;   in Loop: Header=BB4_130 Depth=2
	v_cmp_eq_u16_sdwa s43, v13, v97 src0_sel:BYTE_1 src1_sel:DWORD
	s_mov_b32 s13, -1
	s_and_saveexec_b32 s42, s43
; %bb.546:                              ;   in Loop: Header=BB4_130 Depth=2
	s_xor_b32 s13, exec_lo, -1
; %bb.547:                              ;   in Loop: Header=BB4_130 Depth=2
	s_or_b32 exec_lo, exec_lo, s42
	s_and_b32 s13, s13, exec_lo
	s_or_saveexec_b32 s41, s41
	v_mov_b32_e32 v10, 0x7f800001
	s_xor_b32 exec_lo, exec_lo, s41
	s_cbranch_execnz .LBB4_1283
.LBB4_548:                              ;   in Loop: Header=BB4_130 Depth=2
	s_or_b32 exec_lo, exec_lo, s41
	s_and_saveexec_b32 s41, s13
	s_cbranch_execz .LBB4_550
.LBB4_549:                              ;   in Loop: Header=BB4_130 Depth=2
	v_and_b32_sdwa v10, v98, v13 dst_sel:DWORD dst_unused:UNUSED_PAD src0_sel:DWORD src1_sel:BYTE_1
	v_and_b32_e32 v11, 7, v10
	v_bfe_u32 v15, v10, 3, 4
	v_ffbh_u32_e32 v12, v11
	v_cmp_eq_u32_e32 vcc_lo, 0, v15
	v_min_u32_e32 v12, 32, v12
	v_subrev_nc_u32_e32 v14, 28, v12
	v_sub_nc_u32_e32 v12, 29, v12
	v_lshlrev_b32_e32 v10, v14, v10
	v_lshlrev_b32_sdwa v14, v99, v13 dst_sel:DWORD dst_unused:UNUSED_PAD src0_sel:DWORD src1_sel:BYTE_1
	v_cndmask_b32_e32 v12, v15, v12, vcc_lo
	v_and_b32_e32 v10, 7, v10
	v_lshl_add_u32 v12, v12, 23, 0x3b800000
	v_cndmask_b32_e32 v10, v11, v10, vcc_lo
	v_and_b32_e32 v11, 0x80000000, v14
	v_lshlrev_b32_e32 v10, 20, v10
	v_or3_b32 v10, v11, v12, v10
.LBB4_550:                              ;   in Loop: Header=BB4_130 Depth=2
	s_or_b32 exec_lo, exec_lo, s41
	v_mul_f32_e32 v10, s40, v10
	v_mov_b32_e32 v117, 0x8000
	s_mov_b32 s41, exec_lo
	v_and_b32_e32 v11, 0x7f800000, v10
	v_cmpx_ne_u32_e32 0x7f800000, v11
	s_cbranch_execz .LBB4_558
; %bb.551:                              ;   in Loop: Header=BB4_130 Depth=2
	v_mov_b32_e32 v117, 0
	s_mov_b32 s42, exec_lo
	v_cmpx_ne_u32_e32 0, v10
	s_cbranch_execz .LBB4_557
; %bb.552:                              ;   in Loop: Header=BB4_130 Depth=2
	v_bfe_u32 v11, v10, 23, 8
	v_and_b32_e32 v12, 0x7fffff, v10
	v_sub_nc_u32_e32 v14, 0x78, v11
	v_cmp_gt_u32_e32 vcc_lo, 0x79, v11
	v_or_b32_e32 v15, 0x800000, v12
	v_cndmask_b32_e32 v14, 0, v14, vcc_lo
	v_cmp_eq_u32_e32 vcc_lo, 0, v11
	v_add_nc_u32_e32 v11, 0xffffff89, v11
	v_cndmask_b32_e64 v14, v14, 0x77, vcc_lo
	v_cndmask_b32_e32 v12, v15, v12, vcc_lo
	v_cndmask_b32_e64 v11, v11, 0xffffff8a, vcc_lo
	v_lshl_add_u32 v15, 0x100000, v14, -1
	v_lshrrev_b32_e32 v16, v14, v12
	v_lshlrev_b32_e64 v112, v14, 0x80000
	v_add_nc_u32_e32 v14, v14, v11
	v_and_b32_e32 v12, v15, v12
	v_bfe_u32 v17, v16, 20, 1
	v_cmp_eq_u32_e64 s13, v12, v112
	v_add_nc_u32_e32 v15, -1, v17
	v_cndmask_b32_e64 v12, 0, v15, s13
	v_lshrrev_b32_e32 v15, 23, v16
	s_mov_b32 s13, exec_lo
	v_add_nc_u32_e32 v12, v12, v16
	v_xor_b32_e32 v15, 1, v15
	v_and_b32_e32 v11, 0xfffff, v12
	v_add_nc_u32_e32 v12, v11, v16
                                        ; implicit-def: $vgpr11
	v_cmpx_ne_u32_e64 v14, v15
	s_xor_b32 s13, exec_lo, s13
; %bb.553:                              ;   in Loop: Header=BB4_130 Depth=2
	v_cmp_lt_u32_e32 vcc_lo, 0xffffff, v12
	v_sub_nc_u32_e32 v11, v14, v15
	v_cndmask_b32_e64 v14, 0, 1, vcc_lo
	v_add_co_ci_u32_e64 v11, null, 0, v11, vcc_lo
	v_lshrrev_b32_e32 v12, v14, v12
; %bb.554:                              ;   in Loop: Header=BB4_130 Depth=2
	s_andn2_saveexec_b32 s13, s13
; %bb.555:                              ;   in Loop: Header=BB4_130 Depth=2
	v_bfe_u32 v11, v12, 23, 1
; %bb.556:                              ;   in Loop: Header=BB4_130 Depth=2
	s_or_b32 exec_lo, exec_lo, s13
	v_lshrrev_b32_e32 v12, 20, v12
	v_min_i32_e32 v14, 15, v11
	v_cmp_gt_i32_e32 vcc_lo, 16, v11
	v_and_b32_sdwa v10, v10, v97 dst_sel:DWORD dst_unused:UNUSED_PAD src0_sel:BYTE_3 src1_sel:DWORD
	v_lshlrev_b32_e32 v14, 3, v14
	v_cndmask_b32_e32 v12, 7, v12, vcc_lo
	v_and_b32_e32 v14, 0xf8, v14
	v_and_b32_e32 v15, 7, v12
	v_or_b32_e32 v11, v11, v12
	v_or3_b32 v10, v10, v14, v15
	v_cmp_ne_u32_e32 vcc_lo, 0, v11
	v_lshlrev_b32_e32 v10, 8, v10
	v_cndmask_b32_e32 v117, 0, v10, vcc_lo
.LBB4_557:                              ;   in Loop: Header=BB4_130 Depth=2
	s_or_b32 exec_lo, exec_lo, s42
.LBB4_558:                              ;   in Loop: Header=BB4_130 Depth=2
	s_or_b32 exec_lo, exec_lo, s41
	v_and_b32_sdwa v11, v13, v100 dst_sel:DWORD dst_unused:UNUSED_PAD src0_sel:WORD_1 src1_sel:DWORD
	s_mov_b32 s13, 0
	s_mov_b32 s41, exec_lo
	v_cmpx_lt_i16_e32 0x7f, v11
	s_xor_b32 s41, exec_lo, s41
	s_cbranch_execz .LBB4_1284
; %bb.559:                              ;   in Loop: Header=BB4_130 Depth=2
	s_mov_b32 s13, -1
	s_mov_b32 s42, exec_lo
	v_cmpx_eq_u16_e32 0x80, v11
; %bb.560:                              ;   in Loop: Header=BB4_130 Depth=2
	s_xor_b32 s13, exec_lo, -1
; %bb.561:                              ;   in Loop: Header=BB4_130 Depth=2
	s_or_b32 exec_lo, exec_lo, s42
	s_and_b32 s13, s13, exec_lo
                                        ; implicit-def: $vgpr11
	s_or_saveexec_b32 s41, s41
	v_mov_b32_e32 v10, 0x7f800001
	s_xor_b32 exec_lo, exec_lo, s41
	s_cbranch_execnz .LBB4_1285
.LBB4_562:                              ;   in Loop: Header=BB4_130 Depth=2
	s_or_b32 exec_lo, exec_lo, s41
	s_and_saveexec_b32 s41, s13
	s_cbranch_execz .LBB4_564
.LBB4_563:                              ;   in Loop: Header=BB4_130 Depth=2
	v_bfe_u32 v10, v13, 16, 3
	v_bfe_u32 v14, v13, 19, 4
	v_lshlrev_b32_e32 v15, 8, v13
	v_ffbh_u32_e32 v11, v10
	v_cmp_eq_u32_e32 vcc_lo, 0, v14
	v_min_u32_e32 v11, 32, v11
	v_subrev_nc_u32_e32 v12, 28, v11
	v_sub_nc_u32_e32 v11, 29, v11
	v_lshlrev_b32_sdwa v12, v12, v13 dst_sel:DWORD dst_unused:UNUSED_PAD src0_sel:DWORD src1_sel:WORD_1
	v_cndmask_b32_e32 v11, v14, v11, vcc_lo
	v_and_b32_e32 v12, 7, v12
	v_lshl_add_u32 v11, v11, 23, 0x3b800000
	v_cndmask_b32_e32 v10, v10, v12, vcc_lo
	v_and_b32_e32 v12, 0x80000000, v15
	v_lshlrev_b32_e32 v10, 20, v10
	v_or3_b32 v10, v12, v11, v10
.LBB4_564:                              ;   in Loop: Header=BB4_130 Depth=2
	s_or_b32 exec_lo, exec_lo, s41
	v_mul_f32_e32 v10, s40, v10
	v_mov_b32_e32 v112, 0x80
	s_mov_b32 s41, exec_lo
	v_and_b32_e32 v11, 0x7f800000, v10
	v_cmpx_ne_u32_e32 0x7f800000, v11
	s_cbranch_execz .LBB4_572
; %bb.565:                              ;   in Loop: Header=BB4_130 Depth=2
	v_mov_b32_e32 v112, 0
	s_mov_b32 s42, exec_lo
	v_cmpx_ne_u32_e32 0, v10
	s_cbranch_execz .LBB4_571
; %bb.566:                              ;   in Loop: Header=BB4_130 Depth=2
	v_bfe_u32 v11, v10, 23, 8
	v_and_b32_e32 v12, 0x7fffff, v10
	v_sub_nc_u32_e32 v14, 0x78, v11
	v_cmp_gt_u32_e32 vcc_lo, 0x79, v11
	v_or_b32_e32 v15, 0x800000, v12
	v_cndmask_b32_e32 v14, 0, v14, vcc_lo
	v_cmp_eq_u32_e32 vcc_lo, 0, v11
	v_add_nc_u32_e32 v11, 0xffffff89, v11
	v_cndmask_b32_e64 v14, v14, 0x77, vcc_lo
	v_cndmask_b32_e32 v12, v15, v12, vcc_lo
	v_cndmask_b32_e64 v11, v11, 0xffffff8a, vcc_lo
	v_lshl_add_u32 v15, 0x100000, v14, -1
	v_lshrrev_b32_e32 v16, v14, v12
	v_lshlrev_b32_e64 v112, v14, 0x80000
	v_add_nc_u32_e32 v14, v14, v11
	v_and_b32_e32 v12, v15, v12
	v_bfe_u32 v17, v16, 20, 1
	v_cmp_eq_u32_e64 s13, v12, v112
	v_add_nc_u32_e32 v15, -1, v17
	v_cndmask_b32_e64 v12, 0, v15, s13
	v_lshrrev_b32_e32 v15, 23, v16
	s_mov_b32 s13, exec_lo
	v_add_nc_u32_e32 v12, v12, v16
	v_xor_b32_e32 v15, 1, v15
	v_and_b32_e32 v11, 0xfffff, v12
	v_add_nc_u32_e32 v12, v11, v16
                                        ; implicit-def: $vgpr11
	v_cmpx_ne_u32_e64 v14, v15
	s_xor_b32 s13, exec_lo, s13
; %bb.567:                              ;   in Loop: Header=BB4_130 Depth=2
	v_cmp_lt_u32_e32 vcc_lo, 0xffffff, v12
	v_sub_nc_u32_e32 v11, v14, v15
	v_cndmask_b32_e64 v14, 0, 1, vcc_lo
	v_add_co_ci_u32_e64 v11, null, 0, v11, vcc_lo
	v_lshrrev_b32_e32 v12, v14, v12
; %bb.568:                              ;   in Loop: Header=BB4_130 Depth=2
	s_andn2_saveexec_b32 s13, s13
; %bb.569:                              ;   in Loop: Header=BB4_130 Depth=2
	v_bfe_u32 v11, v12, 23, 1
; %bb.570:                              ;   in Loop: Header=BB4_130 Depth=2
	s_or_b32 exec_lo, exec_lo, s13
	v_lshrrev_b32_e32 v12, 20, v12
	v_min_i32_e32 v14, 15, v11
	v_cmp_gt_i32_e32 vcc_lo, 16, v11
	v_and_b32_sdwa v10, v10, v97 dst_sel:DWORD dst_unused:UNUSED_PAD src0_sel:BYTE_3 src1_sel:DWORD
	v_lshlrev_b32_e32 v14, 3, v14
	v_cndmask_b32_e32 v12, 7, v12, vcc_lo
	v_and_b32_e32 v14, 0xf8, v14
	v_and_b32_e32 v15, 7, v12
	v_or_b32_e32 v11, v11, v12
	v_or3_b32 v10, v14, v10, v15
	v_cmp_ne_u32_e32 vcc_lo, 0, v11
	v_cndmask_b32_e32 v112, 0, v10, vcc_lo
.LBB4_571:                              ;   in Loop: Header=BB4_130 Depth=2
	s_or_b32 exec_lo, exec_lo, s42
.LBB4_572:                              ;   in Loop: Header=BB4_130 Depth=2
	s_or_b32 exec_lo, exec_lo, s41
	v_cmp_gt_i16_sdwa s41, v13, v96 src0_sel:BYTE_3 src1_sel:DWORD
	s_mov_b32 s13, 0
	s_and_saveexec_b32 s42, s41
	s_xor_b32 s41, exec_lo, s42
	s_cbranch_execz .LBB4_1286
; %bb.573:                              ;   in Loop: Header=BB4_130 Depth=2
	v_cmp_eq_u16_sdwa s43, v13, v97 src0_sel:BYTE_3 src1_sel:DWORD
	s_mov_b32 s13, -1
	s_and_saveexec_b32 s42, s43
; %bb.574:                              ;   in Loop: Header=BB4_130 Depth=2
	s_xor_b32 s13, exec_lo, -1
; %bb.575:                              ;   in Loop: Header=BB4_130 Depth=2
	s_or_b32 exec_lo, exec_lo, s42
	s_and_b32 s13, s13, exec_lo
	s_or_saveexec_b32 s41, s41
	v_mov_b32_e32 v10, 0x7f800001
	s_xor_b32 exec_lo, exec_lo, s41
	s_cbranch_execnz .LBB4_1287
.LBB4_576:                              ;   in Loop: Header=BB4_130 Depth=2
	s_or_b32 exec_lo, exec_lo, s41
	s_and_saveexec_b32 s41, s13
	s_cbranch_execz .LBB4_578
.LBB4_577:                              ;   in Loop: Header=BB4_130 Depth=2
	v_bfe_u32 v10, v13, 24, 3
	v_bfe_u32 v14, v13, 27, 4
	v_ffbh_u32_e32 v11, v10
	v_cmp_eq_u32_e32 vcc_lo, 0, v14
	v_min_u32_e32 v11, 32, v11
	v_subrev_nc_u32_e32 v12, 28, v11
	v_sub_nc_u32_e32 v11, 29, v11
	v_lshlrev_b32_sdwa v12, v12, v13 dst_sel:DWORD dst_unused:UNUSED_PAD src0_sel:DWORD src1_sel:BYTE_3
	v_cndmask_b32_e32 v11, v14, v11, vcc_lo
	v_and_b32_e32 v12, 7, v12
	v_lshl_add_u32 v11, v11, 23, 0x3b800000
	v_cndmask_b32_e32 v10, v10, v12, vcc_lo
	v_and_b32_e32 v12, 0x80000000, v13
	v_lshlrev_b32_e32 v10, 20, v10
	v_or3_b32 v10, v12, v11, v10
.LBB4_578:                              ;   in Loop: Header=BB4_130 Depth=2
	s_or_b32 exec_lo, exec_lo, s41
	v_mul_f32_e32 v10, s40, v10
	v_mov_b32_e32 v114, 0x8000
	s_mov_b32 s40, exec_lo
	v_and_b32_e32 v11, 0x7f800000, v10
	v_cmpx_ne_u32_e32 0x7f800000, v11
	s_cbranch_execz .LBB4_586
; %bb.579:                              ;   in Loop: Header=BB4_130 Depth=2
	v_mov_b32_e32 v114, 0
	s_mov_b32 s41, exec_lo
	v_cmpx_ne_u32_e32 0, v10
	s_cbranch_execz .LBB4_585
; %bb.580:                              ;   in Loop: Header=BB4_130 Depth=2
	v_bfe_u32 v11, v10, 23, 8
	v_and_b32_e32 v12, 0x7fffff, v10
	v_sub_nc_u32_e32 v13, 0x78, v11
	v_cmp_gt_u32_e32 vcc_lo, 0x79, v11
	v_or_b32_e32 v14, 0x800000, v12
	v_cndmask_b32_e32 v13, 0, v13, vcc_lo
	v_cmp_eq_u32_e32 vcc_lo, 0, v11
	v_add_nc_u32_e32 v11, 0xffffff89, v11
	v_cndmask_b32_e64 v13, v13, 0x77, vcc_lo
	v_cndmask_b32_e32 v12, v14, v12, vcc_lo
	v_cndmask_b32_e64 v11, v11, 0xffffff8a, vcc_lo
	v_lshl_add_u32 v14, 0x100000, v13, -1
	v_lshrrev_b32_e32 v15, v13, v12
	v_lshlrev_b32_e64 v17, v13, 0x80000
	v_add_nc_u32_e32 v13, v13, v11
	v_and_b32_e32 v12, v14, v12
	v_bfe_u32 v16, v15, 20, 1
	v_cmp_eq_u32_e64 s13, v12, v17
	v_add_nc_u32_e32 v14, -1, v16
	v_cndmask_b32_e64 v12, 0, v14, s13
	v_lshrrev_b32_e32 v14, 23, v15
	s_mov_b32 s13, exec_lo
	v_add_nc_u32_e32 v12, v12, v15
	v_xor_b32_e32 v14, 1, v14
	v_and_b32_e32 v11, 0xfffff, v12
	v_add_nc_u32_e32 v12, v11, v15
                                        ; implicit-def: $vgpr11
	v_cmpx_ne_u32_e64 v13, v14
	s_xor_b32 s13, exec_lo, s13
; %bb.581:                              ;   in Loop: Header=BB4_130 Depth=2
	v_cmp_lt_u32_e32 vcc_lo, 0xffffff, v12
	v_sub_nc_u32_e32 v11, v13, v14
	v_cndmask_b32_e64 v13, 0, 1, vcc_lo
	v_add_co_ci_u32_e64 v11, null, 0, v11, vcc_lo
	v_lshrrev_b32_e32 v12, v13, v12
; %bb.582:                              ;   in Loop: Header=BB4_130 Depth=2
	s_andn2_saveexec_b32 s13, s13
; %bb.583:                              ;   in Loop: Header=BB4_130 Depth=2
	v_bfe_u32 v11, v12, 23, 1
; %bb.584:                              ;   in Loop: Header=BB4_130 Depth=2
	s_or_b32 exec_lo, exec_lo, s13
	v_lshrrev_b32_e32 v12, 20, v12
	v_min_i32_e32 v13, 15, v11
	v_cmp_gt_i32_e32 vcc_lo, 16, v11
	v_and_b32_sdwa v10, v10, v97 dst_sel:DWORD dst_unused:UNUSED_PAD src0_sel:BYTE_3 src1_sel:DWORD
	v_lshlrev_b32_e32 v13, 3, v13
	v_cndmask_b32_e32 v12, 7, v12, vcc_lo
	v_and_b32_e32 v13, 0xf8, v13
	v_and_b32_e32 v14, 7, v12
	v_or_b32_e32 v11, v11, v12
	v_or3_b32 v10, v10, v13, v14
	v_cmp_ne_u32_e32 vcc_lo, 0, v11
	v_lshlrev_b32_e32 v10, 8, v10
	v_cndmask_b32_e32 v114, 0, v10, vcc_lo
.LBB4_585:                              ;   in Loop: Header=BB4_130 Depth=2
	s_or_b32 exec_lo, exec_lo, s41
.LBB4_586:                              ;   in Loop: Header=BB4_130 Depth=2
	s_or_b32 exec_lo, exec_lo, s40
	s_clause 0x1
	global_load_dwordx4 v[14:17], v[66:67], off slc
	global_load_dwordx4 v[10:13], v[66:67], off offset:512 slc
	v_or_b32_e32 v79, v115, v103
	s_mov_b32 s13, 0
	v_cmp_gt_i16_sdwa s40, v79, v96 src0_sel:BYTE_0 src1_sel:DWORD
	s_and_saveexec_b32 s41, s40
	s_xor_b32 s40, exec_lo, s41
	s_cbranch_execz .LBB4_1288
; %bb.587:                              ;   in Loop: Header=BB4_130 Depth=2
	v_cmp_eq_u16_sdwa s42, v79, v97 src0_sel:BYTE_0 src1_sel:DWORD
	s_mov_b32 s13, -1
	s_and_saveexec_b32 s41, s42
; %bb.588:                              ;   in Loop: Header=BB4_130 Depth=2
	s_xor_b32 s13, exec_lo, -1
; %bb.589:                              ;   in Loop: Header=BB4_130 Depth=2
	s_or_b32 exec_lo, exec_lo, s41
	s_and_b32 s13, s13, exec_lo
	s_or_saveexec_b32 s40, s40
	v_mov_b32_e32 v103, 0x7f800001
	s_xor_b32 exec_lo, exec_lo, s40
	s_cbranch_execnz .LBB4_1289
.LBB4_590:                              ;   in Loop: Header=BB4_130 Depth=2
	s_or_b32 exec_lo, exec_lo, s40
	s_and_saveexec_b32 s40, s13
	s_cbranch_execz .LBB4_592
.LBB4_591:                              ;   in Loop: Header=BB4_130 Depth=2
	v_and_b32_e32 v103, 7, v79
	v_bfe_u32 v89, v79, 3, 4
	v_lshlrev_b32_e32 v90, 24, v79
	v_ffbh_u32_e32 v115, v103
	v_cmp_eq_u32_e32 vcc_lo, 0, v89
	v_min_u32_e32 v115, 32, v115
	v_subrev_nc_u32_e32 v88, 28, v115
	v_sub_nc_u32_e32 v115, 29, v115
	v_lshlrev_b32_e32 v88, v88, v79
	v_cndmask_b32_e32 v115, v89, v115, vcc_lo
	v_and_b32_e32 v88, 7, v88
	v_lshl_add_u32 v115, v115, 23, 0x3b800000
	v_cndmask_b32_e32 v103, v103, v88, vcc_lo
	v_and_b32_e32 v88, 0x80000000, v90
	v_lshlrev_b32_e32 v103, 20, v103
	v_or3_b32 v103, v88, v115, v103
.LBB4_592:                              ;   in Loop: Header=BB4_130 Depth=2
	s_or_b32 exec_lo, exec_lo, s40
	s_waitcnt vmcnt(1)
	v_cmp_gt_i16_sdwa s40, v14, v96 src0_sel:BYTE_0 src1_sel:DWORD
	s_mov_b32 s13, 0
	s_and_saveexec_b32 s41, s40
	s_xor_b32 s40, exec_lo, s41
	s_cbranch_execz .LBB4_1290
; %bb.593:                              ;   in Loop: Header=BB4_130 Depth=2
	v_cmp_eq_u16_sdwa s42, v14, v97 src0_sel:BYTE_0 src1_sel:DWORD
	s_mov_b32 s13, -1
	s_and_saveexec_b32 s41, s42
; %bb.594:                              ;   in Loop: Header=BB4_130 Depth=2
	s_xor_b32 s13, exec_lo, -1
; %bb.595:                              ;   in Loop: Header=BB4_130 Depth=2
	s_or_b32 exec_lo, exec_lo, s41
	s_and_b32 s13, s13, exec_lo
	s_or_saveexec_b32 s40, s40
	v_mov_b32_e32 v115, 0x7f800001
	s_xor_b32 exec_lo, exec_lo, s40
	s_cbranch_execnz .LBB4_1291
.LBB4_596:                              ;   in Loop: Header=BB4_130 Depth=2
	s_or_b32 exec_lo, exec_lo, s40
	s_and_saveexec_b32 s40, s13
	s_cbranch_execz .LBB4_598
.LBB4_597:                              ;   in Loop: Header=BB4_130 Depth=2
	v_and_b32_e32 v115, 7, v14
	v_bfe_u32 v90, v14, 3, 4
	v_lshlrev_b32_e32 v91, 24, v14
	v_ffbh_u32_e32 v88, v115
	v_cmp_eq_u32_e32 vcc_lo, 0, v90
	v_min_u32_e32 v88, 32, v88
	v_subrev_nc_u32_e32 v89, 28, v88
	v_sub_nc_u32_e32 v88, 29, v88
	v_lshlrev_b32_e32 v89, v89, v14
	v_cndmask_b32_e32 v88, v90, v88, vcc_lo
	v_and_b32_e32 v89, 7, v89
	v_lshl_add_u32 v88, v88, 23, 0x3b800000
	v_cndmask_b32_e32 v115, v115, v89, vcc_lo
	v_and_b32_e32 v89, 0x80000000, v91
	v_lshlrev_b32_e32 v115, 20, v115
	v_or3_b32 v115, v89, v88, v115
.LBB4_598:                              ;   in Loop: Header=BB4_130 Depth=2
	s_or_b32 exec_lo, exec_lo, s40
	v_add_f32_e32 v115, v103, v115
	v_and_b32_e32 v103, 0x7f800000, v115
	v_cmp_ne_u32_e32 vcc_lo, 0x7f800000, v103
	v_mov_b32_e32 v103, 0x80
	s_and_saveexec_b32 s40, vcc_lo
	s_cbranch_execz .LBB4_606
; %bb.599:                              ;   in Loop: Header=BB4_130 Depth=2
	v_mov_b32_e32 v103, 0
	s_mov_b32 s41, exec_lo
	v_cmpx_ne_u32_e32 0, v115
	s_cbranch_execz .LBB4_605
; %bb.600:                              ;   in Loop: Header=BB4_130 Depth=2
	v_bfe_u32 v103, v115, 23, 8
	v_and_b32_e32 v88, 0x7fffff, v115
	v_sub_nc_u32_e32 v89, 0x78, v103
	v_cmp_gt_u32_e32 vcc_lo, 0x79, v103
	v_or_b32_e32 v90, 0x800000, v88
	v_cndmask_b32_e32 v89, 0, v89, vcc_lo
	v_cmp_eq_u32_e32 vcc_lo, 0, v103
	v_add_nc_u32_e32 v103, 0xffffff89, v103
	v_cndmask_b32_e64 v89, v89, 0x77, vcc_lo
	v_cndmask_b32_e32 v88, v90, v88, vcc_lo
	v_cndmask_b32_e64 v103, v103, 0xffffff8a, vcc_lo
	v_lshl_add_u32 v90, 0x100000, v89, -1
	v_lshrrev_b32_e32 v91, v89, v88
	v_lshlrev_b32_e64 v93, v89, 0x80000
	v_add_nc_u32_e32 v89, v89, v103
	v_and_b32_e32 v88, v90, v88
	v_bfe_u32 v92, v91, 20, 1
	v_cmp_eq_u32_e64 s13, v88, v93
	v_add_nc_u32_e32 v90, -1, v92
	v_cndmask_b32_e64 v88, 0, v90, s13
	v_lshrrev_b32_e32 v90, 23, v91
	s_mov_b32 s13, exec_lo
	v_add_nc_u32_e32 v88, v88, v91
	v_xor_b32_e32 v90, 1, v90
	v_and_b32_e32 v103, 0xfffff, v88
	v_add_nc_u32_e32 v88, v103, v91
                                        ; implicit-def: $vgpr103
	v_cmpx_ne_u32_e64 v89, v90
	s_xor_b32 s13, exec_lo, s13
; %bb.601:                              ;   in Loop: Header=BB4_130 Depth=2
	v_cmp_lt_u32_e32 vcc_lo, 0xffffff, v88
	v_sub_nc_u32_e32 v103, v89, v90
	v_cndmask_b32_e64 v89, 0, 1, vcc_lo
	v_add_co_ci_u32_e64 v103, null, 0, v103, vcc_lo
	v_lshrrev_b32_e32 v88, v89, v88
; %bb.602:                              ;   in Loop: Header=BB4_130 Depth=2
	s_andn2_saveexec_b32 s13, s13
; %bb.603:                              ;   in Loop: Header=BB4_130 Depth=2
	v_bfe_u32 v103, v88, 23, 1
; %bb.604:                              ;   in Loop: Header=BB4_130 Depth=2
	s_or_b32 exec_lo, exec_lo, s13
	v_lshrrev_b32_e32 v88, 20, v88
	v_min_i32_e32 v89, 15, v103
	v_cmp_gt_i32_e32 vcc_lo, 16, v103
	v_and_b32_sdwa v115, v115, v97 dst_sel:DWORD dst_unused:UNUSED_PAD src0_sel:BYTE_3 src1_sel:DWORD
	v_lshlrev_b32_e32 v89, 3, v89
	v_cndmask_b32_e32 v88, 7, v88, vcc_lo
	v_and_b32_e32 v89, 0xf8, v89
	v_and_b32_e32 v90, 7, v88
	v_or_b32_e32 v103, v103, v88
	v_or3_b32 v115, v89, v115, v90
	v_cmp_ne_u32_e32 vcc_lo, 0, v103
	v_cndmask_b32_e32 v103, 0, v115, vcc_lo
.LBB4_605:                              ;   in Loop: Header=BB4_130 Depth=2
	s_or_b32 exec_lo, exec_lo, s41
.LBB4_606:                              ;   in Loop: Header=BB4_130 Depth=2
	s_or_b32 exec_lo, exec_lo, s40
	v_cmp_gt_i16_sdwa s40, v79, v96 src0_sel:BYTE_1 src1_sel:DWORD
	s_mov_b32 s13, 0
	s_and_saveexec_b32 s41, s40
	s_xor_b32 s40, exec_lo, s41
	s_cbranch_execz .LBB4_1292
; %bb.607:                              ;   in Loop: Header=BB4_130 Depth=2
	v_cmp_eq_u16_sdwa s42, v79, v97 src0_sel:BYTE_1 src1_sel:DWORD
	s_mov_b32 s13, -1
	s_and_saveexec_b32 s41, s42
; %bb.608:                              ;   in Loop: Header=BB4_130 Depth=2
	s_xor_b32 s13, exec_lo, -1
; %bb.609:                              ;   in Loop: Header=BB4_130 Depth=2
	s_or_b32 exec_lo, exec_lo, s41
	s_and_b32 s13, s13, exec_lo
	s_or_saveexec_b32 s40, s40
	v_mov_b32_e32 v115, 0x7f800001
	s_xor_b32 exec_lo, exec_lo, s40
	s_cbranch_execnz .LBB4_1293
.LBB4_610:                              ;   in Loop: Header=BB4_130 Depth=2
	s_or_b32 exec_lo, exec_lo, s40
	s_and_saveexec_b32 s40, s13
	s_cbranch_execz .LBB4_612
.LBB4_611:                              ;   in Loop: Header=BB4_130 Depth=2
	v_and_b32_sdwa v115, v98, v79 dst_sel:DWORD dst_unused:UNUSED_PAD src0_sel:DWORD src1_sel:BYTE_1
	v_and_b32_e32 v88, 7, v115
	v_bfe_u32 v91, v115, 3, 4
	v_ffbh_u32_e32 v89, v88
	v_cmp_eq_u32_e32 vcc_lo, 0, v91
	v_min_u32_e32 v89, 32, v89
	v_subrev_nc_u32_e32 v90, 28, v89
	v_sub_nc_u32_e32 v89, 29, v89
	v_lshlrev_b32_e32 v115, v90, v115
	v_lshlrev_b32_sdwa v90, v99, v79 dst_sel:DWORD dst_unused:UNUSED_PAD src0_sel:DWORD src1_sel:BYTE_1
	v_cndmask_b32_e32 v89, v91, v89, vcc_lo
	v_and_b32_e32 v115, 7, v115
	v_lshl_add_u32 v89, v89, 23, 0x3b800000
	v_cndmask_b32_e32 v115, v88, v115, vcc_lo
	v_and_b32_e32 v88, 0x80000000, v90
	v_lshlrev_b32_e32 v115, 20, v115
	v_or3_b32 v115, v88, v89, v115
.LBB4_612:                              ;   in Loop: Header=BB4_130 Depth=2
	s_or_b32 exec_lo, exec_lo, s40
	v_cmp_gt_i16_sdwa s40, v14, v96 src0_sel:BYTE_1 src1_sel:DWORD
	s_mov_b32 s13, 0
	s_and_saveexec_b32 s41, s40
	s_xor_b32 s40, exec_lo, s41
	s_cbranch_execz .LBB4_1294
; %bb.613:                              ;   in Loop: Header=BB4_130 Depth=2
	v_cmp_eq_u16_sdwa s42, v14, v97 src0_sel:BYTE_1 src1_sel:DWORD
	s_mov_b32 s13, -1
	s_and_saveexec_b32 s41, s42
; %bb.614:                              ;   in Loop: Header=BB4_130 Depth=2
	s_xor_b32 s13, exec_lo, -1
; %bb.615:                              ;   in Loop: Header=BB4_130 Depth=2
	s_or_b32 exec_lo, exec_lo, s41
	s_and_b32 s13, s13, exec_lo
	s_or_saveexec_b32 s40, s40
	v_mov_b32_e32 v88, 0x7f800001
	s_xor_b32 exec_lo, exec_lo, s40
	s_cbranch_execnz .LBB4_1295
.LBB4_616:                              ;   in Loop: Header=BB4_130 Depth=2
	s_or_b32 exec_lo, exec_lo, s40
	s_and_saveexec_b32 s40, s13
	s_cbranch_execz .LBB4_618
.LBB4_617:                              ;   in Loop: Header=BB4_130 Depth=2
	v_and_b32_sdwa v88, v98, v14 dst_sel:DWORD dst_unused:UNUSED_PAD src0_sel:DWORD src1_sel:BYTE_1
	v_and_b32_e32 v89, 7, v88
	v_bfe_u32 v92, v88, 3, 4
	v_ffbh_u32_e32 v90, v89
	v_cmp_eq_u32_e32 vcc_lo, 0, v92
	v_min_u32_e32 v90, 32, v90
	v_subrev_nc_u32_e32 v91, 28, v90
	v_sub_nc_u32_e32 v90, 29, v90
	v_lshlrev_b32_e32 v88, v91, v88
	v_lshlrev_b32_sdwa v91, v99, v14 dst_sel:DWORD dst_unused:UNUSED_PAD src0_sel:DWORD src1_sel:BYTE_1
	v_cndmask_b32_e32 v90, v92, v90, vcc_lo
	v_and_b32_e32 v88, 7, v88
	v_lshl_add_u32 v90, v90, 23, 0x3b800000
	v_cndmask_b32_e32 v88, v89, v88, vcc_lo
	v_and_b32_e32 v89, 0x80000000, v91
	v_lshlrev_b32_e32 v88, 20, v88
	v_or3_b32 v88, v89, v90, v88
.LBB4_618:                              ;   in Loop: Header=BB4_130 Depth=2
	s_or_b32 exec_lo, exec_lo, s40
	v_add_f32_e32 v88, v115, v88
	v_and_b32_e32 v115, 0x7f800000, v88
	v_cmp_ne_u32_e32 vcc_lo, 0x7f800000, v115
	v_mov_b32_e32 v115, 0x8000
	s_and_saveexec_b32 s40, vcc_lo
	s_cbranch_execz .LBB4_626
; %bb.619:                              ;   in Loop: Header=BB4_130 Depth=2
	v_mov_b32_e32 v115, 0
	s_mov_b32 s41, exec_lo
	v_cmpx_ne_u32_e32 0, v88
	s_cbranch_execz .LBB4_625
; %bb.620:                              ;   in Loop: Header=BB4_130 Depth=2
	v_bfe_u32 v115, v88, 23, 8
	v_and_b32_e32 v89, 0x7fffff, v88
	v_sub_nc_u32_e32 v90, 0x78, v115
	v_cmp_gt_u32_e32 vcc_lo, 0x79, v115
	v_or_b32_e32 v91, 0x800000, v89
	v_cndmask_b32_e32 v90, 0, v90, vcc_lo
	v_cmp_eq_u32_e32 vcc_lo, 0, v115
	v_add_nc_u32_e32 v115, 0xffffff89, v115
	v_cndmask_b32_e64 v90, v90, 0x77, vcc_lo
	v_cndmask_b32_e32 v89, v91, v89, vcc_lo
	v_cndmask_b32_e64 v115, v115, 0xffffff8a, vcc_lo
	v_lshl_add_u32 v91, 0x100000, v90, -1
	v_lshrrev_b32_e32 v92, v90, v89
	v_lshlrev_b32_e64 v94, v90, 0x80000
	v_add_nc_u32_e32 v90, v90, v115
	v_and_b32_e32 v89, v91, v89
	v_bfe_u32 v93, v92, 20, 1
	v_cmp_eq_u32_e64 s13, v89, v94
	v_add_nc_u32_e32 v91, -1, v93
	v_cndmask_b32_e64 v89, 0, v91, s13
	v_lshrrev_b32_e32 v91, 23, v92
	s_mov_b32 s13, exec_lo
	v_add_nc_u32_e32 v89, v89, v92
	v_xor_b32_e32 v91, 1, v91
	v_and_b32_e32 v115, 0xfffff, v89
	v_add_nc_u32_e32 v89, v115, v92
                                        ; implicit-def: $vgpr115
	v_cmpx_ne_u32_e64 v90, v91
	s_xor_b32 s13, exec_lo, s13
; %bb.621:                              ;   in Loop: Header=BB4_130 Depth=2
	v_cmp_lt_u32_e32 vcc_lo, 0xffffff, v89
	v_sub_nc_u32_e32 v115, v90, v91
	v_cndmask_b32_e64 v90, 0, 1, vcc_lo
	v_add_co_ci_u32_e64 v115, null, 0, v115, vcc_lo
	v_lshrrev_b32_e32 v89, v90, v89
; %bb.622:                              ;   in Loop: Header=BB4_130 Depth=2
	s_andn2_saveexec_b32 s13, s13
; %bb.623:                              ;   in Loop: Header=BB4_130 Depth=2
	v_bfe_u32 v115, v89, 23, 1
; %bb.624:                              ;   in Loop: Header=BB4_130 Depth=2
	s_or_b32 exec_lo, exec_lo, s13
	v_lshrrev_b32_e32 v89, 20, v89
	v_min_i32_e32 v90, 15, v115
	v_cmp_gt_i32_e32 vcc_lo, 16, v115
	v_and_b32_sdwa v88, v88, v97 dst_sel:DWORD dst_unused:UNUSED_PAD src0_sel:BYTE_3 src1_sel:DWORD
	v_lshlrev_b32_e32 v90, 3, v90
	v_cndmask_b32_e32 v89, 7, v89, vcc_lo
	v_and_b32_e32 v90, 0xf8, v90
	v_and_b32_e32 v91, 7, v89
	v_or_b32_e32 v115, v115, v89
	v_or3_b32 v88, v88, v90, v91
	v_cmp_ne_u32_e32 vcc_lo, 0, v115
	v_lshlrev_b32_e32 v88, 8, v88
	v_cndmask_b32_e32 v115, 0, v88, vcc_lo
.LBB4_625:                              ;   in Loop: Header=BB4_130 Depth=2
	s_or_b32 exec_lo, exec_lo, s41
.LBB4_626:                              ;   in Loop: Header=BB4_130 Depth=2
	s_or_b32 exec_lo, exec_lo, s40
	v_or_b32_e32 v78, v78, v119
	s_mov_b32 s13, 0
	v_cmp_gt_i16_sdwa s40, v78, v96 src0_sel:BYTE_0 src1_sel:DWORD
	s_and_saveexec_b32 s41, s40
	s_xor_b32 s40, exec_lo, s41
	s_cbranch_execz .LBB4_1296
; %bb.627:                              ;   in Loop: Header=BB4_130 Depth=2
	v_cmp_eq_u16_sdwa s42, v78, v97 src0_sel:BYTE_0 src1_sel:DWORD
	s_mov_b32 s13, -1
	s_and_saveexec_b32 s41, s42
; %bb.628:                              ;   in Loop: Header=BB4_130 Depth=2
	s_xor_b32 s13, exec_lo, -1
; %bb.629:                              ;   in Loop: Header=BB4_130 Depth=2
	s_or_b32 exec_lo, exec_lo, s41
	s_and_b32 s13, s13, exec_lo
	s_or_saveexec_b32 s40, s40
	v_mov_b32_e32 v119, 0x7f800001
	s_xor_b32 exec_lo, exec_lo, s40
	s_cbranch_execnz .LBB4_1297
.LBB4_630:                              ;   in Loop: Header=BB4_130 Depth=2
	s_or_b32 exec_lo, exec_lo, s40
	v_lshl_or_b32 v78, v78, 16, v79
	s_and_saveexec_b32 s40, s13
	s_cbranch_execz .LBB4_632
.LBB4_631:                              ;   in Loop: Header=BB4_130 Depth=2
	v_bfe_u32 v119, v78, 16, 3
	v_bfe_u32 v89, v78, 19, 4
	v_lshlrev_b32_e32 v90, 8, v78
	v_ffbh_u32_e32 v79, v119
	v_cmp_eq_u32_e32 vcc_lo, 0, v89
	v_min_u32_e32 v79, 32, v79
	v_subrev_nc_u32_e32 v88, 28, v79
	v_sub_nc_u32_e32 v79, 29, v79
	v_lshlrev_b32_sdwa v88, v88, v78 dst_sel:DWORD dst_unused:UNUSED_PAD src0_sel:DWORD src1_sel:WORD_1
	v_cndmask_b32_e32 v79, v89, v79, vcc_lo
	v_and_b32_e32 v88, 7, v88
	v_lshl_add_u32 v79, v79, 23, 0x3b800000
	v_cndmask_b32_e32 v119, v119, v88, vcc_lo
	v_and_b32_e32 v88, 0x80000000, v90
	v_lshlrev_b32_e32 v119, 20, v119
	v_or3_b32 v119, v88, v79, v119
.LBB4_632:                              ;   in Loop: Header=BB4_130 Depth=2
	s_or_b32 exec_lo, exec_lo, s40
	v_and_b32_sdwa v88, v14, v100 dst_sel:DWORD dst_unused:UNUSED_PAD src0_sel:WORD_1 src1_sel:DWORD
	s_mov_b32 s13, 0
	s_mov_b32 s40, exec_lo
	v_cmpx_lt_i16_e32 0x7f, v88
	s_xor_b32 s40, exec_lo, s40
	s_cbranch_execz .LBB4_1298
; %bb.633:                              ;   in Loop: Header=BB4_130 Depth=2
	s_mov_b32 s13, -1
	s_mov_b32 s41, exec_lo
	v_cmpx_eq_u16_e32 0x80, v88
; %bb.634:                              ;   in Loop: Header=BB4_130 Depth=2
	s_xor_b32 s13, exec_lo, -1
; %bb.635:                              ;   in Loop: Header=BB4_130 Depth=2
	s_or_b32 exec_lo, exec_lo, s41
	s_and_b32 s13, s13, exec_lo
                                        ; implicit-def: $vgpr88
	s_or_saveexec_b32 s40, s40
	v_mov_b32_e32 v79, 0x7f800001
	s_xor_b32 exec_lo, exec_lo, s40
	s_cbranch_execnz .LBB4_1299
.LBB4_636:                              ;   in Loop: Header=BB4_130 Depth=2
	s_or_b32 exec_lo, exec_lo, s40
	s_and_saveexec_b32 s40, s13
	s_cbranch_execz .LBB4_638
.LBB4_637:                              ;   in Loop: Header=BB4_130 Depth=2
	v_bfe_u32 v79, v14, 16, 3
	v_bfe_u32 v90, v14, 19, 4
	v_lshlrev_b32_e32 v91, 8, v14
	v_ffbh_u32_e32 v88, v79
	v_cmp_eq_u32_e32 vcc_lo, 0, v90
	v_min_u32_e32 v88, 32, v88
	v_subrev_nc_u32_e32 v89, 28, v88
	v_sub_nc_u32_e32 v88, 29, v88
	v_lshlrev_b32_sdwa v89, v89, v14 dst_sel:DWORD dst_unused:UNUSED_PAD src0_sel:DWORD src1_sel:WORD_1
	v_cndmask_b32_e32 v88, v90, v88, vcc_lo
	v_and_b32_e32 v89, 7, v89
	v_lshl_add_u32 v88, v88, 23, 0x3b800000
	v_cndmask_b32_e32 v79, v79, v89, vcc_lo
	v_and_b32_e32 v89, 0x80000000, v91
	v_lshlrev_b32_e32 v79, 20, v79
	v_or3_b32 v79, v89, v88, v79
.LBB4_638:                              ;   in Loop: Header=BB4_130 Depth=2
	s_or_b32 exec_lo, exec_lo, s40
	v_add_f32_e32 v79, v119, v79
	v_and_b32_e32 v119, 0x7f800000, v79
	v_cmp_ne_u32_e32 vcc_lo, 0x7f800000, v119
	v_mov_b32_e32 v119, 0x80
	s_and_saveexec_b32 s40, vcc_lo
	s_cbranch_execz .LBB4_646
; %bb.639:                              ;   in Loop: Header=BB4_130 Depth=2
	v_mov_b32_e32 v119, 0
	s_mov_b32 s41, exec_lo
	v_cmpx_ne_u32_e32 0, v79
	s_cbranch_execz .LBB4_645
; %bb.640:                              ;   in Loop: Header=BB4_130 Depth=2
	v_bfe_u32 v119, v79, 23, 8
	v_and_b32_e32 v88, 0x7fffff, v79
	v_sub_nc_u32_e32 v89, 0x78, v119
	v_cmp_gt_u32_e32 vcc_lo, 0x79, v119
	v_or_b32_e32 v90, 0x800000, v88
	v_cndmask_b32_e32 v89, 0, v89, vcc_lo
	v_cmp_eq_u32_e32 vcc_lo, 0, v119
	v_add_nc_u32_e32 v119, 0xffffff89, v119
	v_cndmask_b32_e64 v89, v89, 0x77, vcc_lo
	v_cndmask_b32_e32 v88, v90, v88, vcc_lo
	v_cndmask_b32_e64 v119, v119, 0xffffff8a, vcc_lo
	v_lshl_add_u32 v90, 0x100000, v89, -1
	v_lshrrev_b32_e32 v91, v89, v88
	v_lshlrev_b32_e64 v93, v89, 0x80000
	v_add_nc_u32_e32 v89, v89, v119
	v_and_b32_e32 v88, v90, v88
	v_bfe_u32 v92, v91, 20, 1
	v_cmp_eq_u32_e64 s13, v88, v93
	v_add_nc_u32_e32 v90, -1, v92
	v_cndmask_b32_e64 v88, 0, v90, s13
	v_lshrrev_b32_e32 v90, 23, v91
	s_mov_b32 s13, exec_lo
	v_add_nc_u32_e32 v88, v88, v91
	v_xor_b32_e32 v90, 1, v90
	v_and_b32_e32 v119, 0xfffff, v88
	v_add_nc_u32_e32 v88, v119, v91
                                        ; implicit-def: $vgpr119
	v_cmpx_ne_u32_e64 v89, v90
	s_xor_b32 s13, exec_lo, s13
; %bb.641:                              ;   in Loop: Header=BB4_130 Depth=2
	v_cmp_lt_u32_e32 vcc_lo, 0xffffff, v88
	v_sub_nc_u32_e32 v119, v89, v90
	v_cndmask_b32_e64 v89, 0, 1, vcc_lo
	v_add_co_ci_u32_e64 v119, null, 0, v119, vcc_lo
	v_lshrrev_b32_e32 v88, v89, v88
; %bb.642:                              ;   in Loop: Header=BB4_130 Depth=2
	s_andn2_saveexec_b32 s13, s13
; %bb.643:                              ;   in Loop: Header=BB4_130 Depth=2
	v_bfe_u32 v119, v88, 23, 1
; %bb.644:                              ;   in Loop: Header=BB4_130 Depth=2
	s_or_b32 exec_lo, exec_lo, s13
	v_lshrrev_b32_e32 v88, 20, v88
	v_min_i32_e32 v89, 15, v119
	v_cmp_gt_i32_e32 vcc_lo, 16, v119
	v_and_b32_sdwa v79, v79, v97 dst_sel:DWORD dst_unused:UNUSED_PAD src0_sel:BYTE_3 src1_sel:DWORD
	v_lshlrev_b32_e32 v89, 3, v89
	v_cndmask_b32_e32 v88, 7, v88, vcc_lo
	v_and_b32_e32 v89, 0xf8, v89
	v_and_b32_e32 v90, 7, v88
	v_or_b32_e32 v119, v119, v88
	v_or3_b32 v79, v89, v79, v90
	v_cmp_ne_u32_e32 vcc_lo, 0, v119
	v_cndmask_b32_e32 v119, 0, v79, vcc_lo
.LBB4_645:                              ;   in Loop: Header=BB4_130 Depth=2
	s_or_b32 exec_lo, exec_lo, s41
.LBB4_646:                              ;   in Loop: Header=BB4_130 Depth=2
	s_or_b32 exec_lo, exec_lo, s40
	v_cmp_gt_i16_sdwa s40, v78, v96 src0_sel:BYTE_3 src1_sel:DWORD
	s_mov_b32 s13, 0
	s_and_saveexec_b32 s41, s40
	s_xor_b32 s40, exec_lo, s41
	s_cbranch_execz .LBB4_1300
; %bb.647:                              ;   in Loop: Header=BB4_130 Depth=2
	v_cmp_eq_u16_sdwa s42, v78, v97 src0_sel:BYTE_3 src1_sel:DWORD
	s_mov_b32 s13, -1
	s_and_saveexec_b32 s41, s42
; %bb.648:                              ;   in Loop: Header=BB4_130 Depth=2
	s_xor_b32 s13, exec_lo, -1
; %bb.649:                              ;   in Loop: Header=BB4_130 Depth=2
	s_or_b32 exec_lo, exec_lo, s41
	s_and_b32 s13, s13, exec_lo
	s_or_saveexec_b32 s40, s40
	v_mov_b32_e32 v79, 0x7f800001
	s_xor_b32 exec_lo, exec_lo, s40
	s_cbranch_execnz .LBB4_1301
.LBB4_650:                              ;   in Loop: Header=BB4_130 Depth=2
	s_or_b32 exec_lo, exec_lo, s40
	s_and_saveexec_b32 s40, s13
	s_cbranch_execz .LBB4_652
.LBB4_651:                              ;   in Loop: Header=BB4_130 Depth=2
	v_bfe_u32 v79, v78, 24, 3
	v_bfe_u32 v90, v78, 27, 4
	v_ffbh_u32_e32 v88, v79
	v_cmp_eq_u32_e32 vcc_lo, 0, v90
	v_min_u32_e32 v88, 32, v88
	v_subrev_nc_u32_e32 v89, 28, v88
	v_sub_nc_u32_e32 v88, 29, v88
	v_lshlrev_b32_sdwa v89, v89, v78 dst_sel:DWORD dst_unused:UNUSED_PAD src0_sel:DWORD src1_sel:BYTE_3
	v_cndmask_b32_e32 v88, v90, v88, vcc_lo
	v_and_b32_e32 v78, 0x80000000, v78
	v_and_b32_e32 v89, 7, v89
	v_lshl_add_u32 v88, v88, 23, 0x3b800000
	v_cndmask_b32_e32 v79, v79, v89, vcc_lo
	v_lshlrev_b32_e32 v79, 20, v79
	v_or3_b32 v79, v78, v88, v79
.LBB4_652:                              ;   in Loop: Header=BB4_130 Depth=2
	s_or_b32 exec_lo, exec_lo, s40
	v_cmp_gt_i16_sdwa s40, v14, v96 src0_sel:BYTE_3 src1_sel:DWORD
	s_mov_b32 s13, 0
	s_and_saveexec_b32 s41, s40
	s_xor_b32 s40, exec_lo, s41
	s_cbranch_execz .LBB4_1302
; %bb.653:                              ;   in Loop: Header=BB4_130 Depth=2
	v_cmp_eq_u16_sdwa s42, v14, v97 src0_sel:BYTE_3 src1_sel:DWORD
	s_mov_b32 s13, -1
	s_and_saveexec_b32 s41, s42
; %bb.654:                              ;   in Loop: Header=BB4_130 Depth=2
	s_xor_b32 s13, exec_lo, -1
; %bb.655:                              ;   in Loop: Header=BB4_130 Depth=2
	s_or_b32 exec_lo, exec_lo, s41
	s_and_b32 s13, s13, exec_lo
	s_or_saveexec_b32 s40, s40
	v_mov_b32_e32 v78, 0x7f800001
	s_xor_b32 exec_lo, exec_lo, s40
	s_cbranch_execnz .LBB4_1303
.LBB4_656:                              ;   in Loop: Header=BB4_130 Depth=2
	s_or_b32 exec_lo, exec_lo, s40
	s_and_saveexec_b32 s40, s13
	s_cbranch_execz .LBB4_658
.LBB4_657:                              ;   in Loop: Header=BB4_130 Depth=2
	v_bfe_u32 v78, v14, 24, 3
	v_bfe_u32 v90, v14, 27, 4
	v_ffbh_u32_e32 v88, v78
	v_cmp_eq_u32_e32 vcc_lo, 0, v90
	v_min_u32_e32 v88, 32, v88
	v_subrev_nc_u32_e32 v89, 28, v88
	v_sub_nc_u32_e32 v88, 29, v88
	v_lshlrev_b32_sdwa v89, v89, v14 dst_sel:DWORD dst_unused:UNUSED_PAD src0_sel:DWORD src1_sel:BYTE_3
	v_cndmask_b32_e32 v88, v90, v88, vcc_lo
	v_and_b32_e32 v14, 0x80000000, v14
	v_and_b32_e32 v89, 7, v89
	v_lshl_add_u32 v88, v88, 23, 0x3b800000
	v_cndmask_b32_e32 v78, v78, v89, vcc_lo
	v_lshlrev_b32_e32 v78, 20, v78
	v_or3_b32 v78, v14, v88, v78
.LBB4_658:                              ;   in Loop: Header=BB4_130 Depth=2
	s_or_b32 exec_lo, exec_lo, s40
	v_add_f32_e32 v78, v79, v78
	v_and_b32_e32 v14, 0x7f800000, v78
	v_cmp_ne_u32_e32 vcc_lo, 0x7f800000, v14
	v_mov_b32_e32 v14, 0x8000
	s_and_saveexec_b32 s40, vcc_lo
	s_cbranch_execz .LBB4_666
; %bb.659:                              ;   in Loop: Header=BB4_130 Depth=2
	v_mov_b32_e32 v14, 0
	s_mov_b32 s41, exec_lo
	v_cmpx_ne_u32_e32 0, v78
	s_cbranch_execz .LBB4_665
; %bb.660:                              ;   in Loop: Header=BB4_130 Depth=2
	v_bfe_u32 v14, v78, 23, 8
	v_and_b32_e32 v79, 0x7fffff, v78
	v_sub_nc_u32_e32 v88, 0x78, v14
	v_cmp_gt_u32_e32 vcc_lo, 0x79, v14
	v_or_b32_e32 v89, 0x800000, v79
	v_cndmask_b32_e32 v88, 0, v88, vcc_lo
	v_cmp_eq_u32_e32 vcc_lo, 0, v14
	v_add_nc_u32_e32 v14, 0xffffff89, v14
	v_cndmask_b32_e64 v88, v88, 0x77, vcc_lo
	v_cndmask_b32_e32 v79, v89, v79, vcc_lo
	v_cndmask_b32_e64 v14, v14, 0xffffff8a, vcc_lo
	v_lshl_add_u32 v89, 0x100000, v88, -1
	v_lshrrev_b32_e32 v90, v88, v79
	v_lshlrev_b32_e64 v92, v88, 0x80000
	v_add_nc_u32_e32 v88, v88, v14
	v_and_b32_e32 v79, v89, v79
	v_bfe_u32 v91, v90, 20, 1
	v_cmp_eq_u32_e64 s13, v79, v92
	v_add_nc_u32_e32 v89, -1, v91
	v_cndmask_b32_e64 v79, 0, v89, s13
	v_lshrrev_b32_e32 v89, 23, v90
	s_mov_b32 s13, exec_lo
	v_add_nc_u32_e32 v79, v79, v90
	v_xor_b32_e32 v89, 1, v89
	v_and_b32_e32 v14, 0xfffff, v79
	v_add_nc_u32_e32 v79, v14, v90
                                        ; implicit-def: $vgpr14
	v_cmpx_ne_u32_e64 v88, v89
	s_xor_b32 s13, exec_lo, s13
; %bb.661:                              ;   in Loop: Header=BB4_130 Depth=2
	v_cmp_lt_u32_e32 vcc_lo, 0xffffff, v79
	v_sub_nc_u32_e32 v14, v88, v89
	v_cndmask_b32_e64 v88, 0, 1, vcc_lo
	v_add_co_ci_u32_e64 v14, null, 0, v14, vcc_lo
	v_lshrrev_b32_e32 v79, v88, v79
; %bb.662:                              ;   in Loop: Header=BB4_130 Depth=2
	s_andn2_saveexec_b32 s13, s13
; %bb.663:                              ;   in Loop: Header=BB4_130 Depth=2
	v_bfe_u32 v14, v79, 23, 1
; %bb.664:                              ;   in Loop: Header=BB4_130 Depth=2
	s_or_b32 exec_lo, exec_lo, s13
	v_lshrrev_b32_e32 v79, 20, v79
	v_min_i32_e32 v88, 15, v14
	v_cmp_gt_i32_e32 vcc_lo, 16, v14
	v_and_b32_sdwa v78, v78, v97 dst_sel:DWORD dst_unused:UNUSED_PAD src0_sel:BYTE_3 src1_sel:DWORD
	v_lshlrev_b32_e32 v88, 3, v88
	v_cndmask_b32_e32 v79, 7, v79, vcc_lo
	v_and_b32_e32 v88, 0xf8, v88
	v_and_b32_e32 v89, 7, v79
	v_or_b32_e32 v14, v14, v79
	v_or3_b32 v78, v78, v88, v89
	v_cmp_ne_u32_e32 vcc_lo, 0, v14
	v_lshlrev_b32_e32 v78, 8, v78
	v_cndmask_b32_e32 v14, 0, v78, vcc_lo
.LBB4_665:                              ;   in Loop: Header=BB4_130 Depth=2
	s_or_b32 exec_lo, exec_lo, s41
.LBB4_666:                              ;   in Loop: Header=BB4_130 Depth=2
	s_or_b32 exec_lo, exec_lo, s40
	v_or_b32_e32 v78, v59, v47
	s_mov_b32 s13, 0
	v_cmp_gt_i16_sdwa s40, v78, v96 src0_sel:BYTE_0 src1_sel:DWORD
	s_and_saveexec_b32 s41, s40
	s_xor_b32 s40, exec_lo, s41
	s_cbranch_execz .LBB4_1304
; %bb.667:                              ;   in Loop: Header=BB4_130 Depth=2
	v_cmp_eq_u16_sdwa s42, v78, v97 src0_sel:BYTE_0 src1_sel:DWORD
	s_mov_b32 s13, -1
	s_and_saveexec_b32 s41, s42
; %bb.668:                              ;   in Loop: Header=BB4_130 Depth=2
	s_xor_b32 s13, exec_lo, -1
; %bb.669:                              ;   in Loop: Header=BB4_130 Depth=2
	s_or_b32 exec_lo, exec_lo, s41
	s_and_b32 s13, s13, exec_lo
	s_or_saveexec_b32 s40, s40
	v_mov_b32_e32 v47, 0x7f800001
	s_xor_b32 exec_lo, exec_lo, s40
	s_cbranch_execnz .LBB4_1305
.LBB4_670:                              ;   in Loop: Header=BB4_130 Depth=2
	s_or_b32 exec_lo, exec_lo, s40
	s_and_saveexec_b32 s40, s13
	s_cbranch_execz .LBB4_672
.LBB4_671:                              ;   in Loop: Header=BB4_130 Depth=2
	v_and_b32_e32 v47, 7, v78
	v_bfe_u32 v88, v78, 3, 4
	v_lshlrev_b32_e32 v89, 24, v78
	v_ffbh_u32_e32 v59, v47
	v_cmp_eq_u32_e32 vcc_lo, 0, v88
	v_min_u32_e32 v59, 32, v59
	v_subrev_nc_u32_e32 v79, 28, v59
	v_sub_nc_u32_e32 v59, 29, v59
	v_lshlrev_b32_e32 v79, v79, v78
	v_cndmask_b32_e32 v59, v88, v59, vcc_lo
	v_and_b32_e32 v79, 7, v79
	v_lshl_add_u32 v59, v59, 23, 0x3b800000
	v_cndmask_b32_e32 v47, v47, v79, vcc_lo
	v_and_b32_e32 v79, 0x80000000, v89
	v_lshlrev_b32_e32 v47, 20, v47
	v_or3_b32 v47, v79, v59, v47
.LBB4_672:                              ;   in Loop: Header=BB4_130 Depth=2
	s_or_b32 exec_lo, exec_lo, s40
	v_cmp_gt_i16_sdwa s40, v15, v96 src0_sel:BYTE_0 src1_sel:DWORD
	s_mov_b32 s13, 0
	s_and_saveexec_b32 s41, s40
	s_xor_b32 s40, exec_lo, s41
	s_cbranch_execz .LBB4_1306
; %bb.673:                              ;   in Loop: Header=BB4_130 Depth=2
	v_cmp_eq_u16_sdwa s42, v15, v97 src0_sel:BYTE_0 src1_sel:DWORD
	s_mov_b32 s13, -1
	s_and_saveexec_b32 s41, s42
; %bb.674:                              ;   in Loop: Header=BB4_130 Depth=2
	s_xor_b32 s13, exec_lo, -1
; %bb.675:                              ;   in Loop: Header=BB4_130 Depth=2
	s_or_b32 exec_lo, exec_lo, s41
	s_and_b32 s13, s13, exec_lo
	s_or_saveexec_b32 s40, s40
	v_mov_b32_e32 v59, 0x7f800001
	s_xor_b32 exec_lo, exec_lo, s40
	s_cbranch_execnz .LBB4_1307
.LBB4_676:                              ;   in Loop: Header=BB4_130 Depth=2
	s_or_b32 exec_lo, exec_lo, s40
	s_and_saveexec_b32 s40, s13
	s_cbranch_execz .LBB4_678
.LBB4_677:                              ;   in Loop: Header=BB4_130 Depth=2
	v_and_b32_e32 v59, 7, v15
	v_bfe_u32 v89, v15, 3, 4
	v_lshlrev_b32_e32 v90, 24, v15
	v_ffbh_u32_e32 v79, v59
	v_cmp_eq_u32_e32 vcc_lo, 0, v89
	v_min_u32_e32 v79, 32, v79
	v_subrev_nc_u32_e32 v88, 28, v79
	v_sub_nc_u32_e32 v79, 29, v79
	v_lshlrev_b32_e32 v88, v88, v15
	v_cndmask_b32_e32 v79, v89, v79, vcc_lo
	v_and_b32_e32 v88, 7, v88
	v_lshl_add_u32 v79, v79, 23, 0x3b800000
	v_cndmask_b32_e32 v59, v59, v88, vcc_lo
	v_and_b32_e32 v88, 0x80000000, v90
	v_lshlrev_b32_e32 v59, 20, v59
	v_or3_b32 v59, v88, v79, v59
.LBB4_678:                              ;   in Loop: Header=BB4_130 Depth=2
	s_or_b32 exec_lo, exec_lo, s40
	v_add_f32_e32 v59, v47, v59
	v_and_b32_e32 v47, 0x7f800000, v59
	v_cmp_ne_u32_e32 vcc_lo, 0x7f800000, v47
	v_mov_b32_e32 v47, 0x80
	s_and_saveexec_b32 s40, vcc_lo
	s_cbranch_execz .LBB4_686
; %bb.679:                              ;   in Loop: Header=BB4_130 Depth=2
	v_mov_b32_e32 v47, 0
	s_mov_b32 s41, exec_lo
	v_cmpx_ne_u32_e32 0, v59
	s_cbranch_execz .LBB4_685
; %bb.680:                              ;   in Loop: Header=BB4_130 Depth=2
	v_bfe_u32 v47, v59, 23, 8
	v_and_b32_e32 v79, 0x7fffff, v59
	v_sub_nc_u32_e32 v88, 0x78, v47
	v_cmp_gt_u32_e32 vcc_lo, 0x79, v47
	v_or_b32_e32 v89, 0x800000, v79
	v_cndmask_b32_e32 v88, 0, v88, vcc_lo
	v_cmp_eq_u32_e32 vcc_lo, 0, v47
	v_add_nc_u32_e32 v47, 0xffffff89, v47
	v_cndmask_b32_e64 v88, v88, 0x77, vcc_lo
	v_cndmask_b32_e32 v79, v89, v79, vcc_lo
	v_cndmask_b32_e64 v47, v47, 0xffffff8a, vcc_lo
	v_lshl_add_u32 v89, 0x100000, v88, -1
	v_lshrrev_b32_e32 v90, v88, v79
	v_lshlrev_b32_e64 v92, v88, 0x80000
	v_add_nc_u32_e32 v88, v88, v47
	v_and_b32_e32 v79, v89, v79
	v_bfe_u32 v91, v90, 20, 1
	v_cmp_eq_u32_e64 s13, v79, v92
	v_add_nc_u32_e32 v89, -1, v91
	v_cndmask_b32_e64 v79, 0, v89, s13
	v_lshrrev_b32_e32 v89, 23, v90
	s_mov_b32 s13, exec_lo
	v_add_nc_u32_e32 v79, v79, v90
	v_xor_b32_e32 v89, 1, v89
	v_and_b32_e32 v47, 0xfffff, v79
	v_add_nc_u32_e32 v79, v47, v90
                                        ; implicit-def: $vgpr47
	v_cmpx_ne_u32_e64 v88, v89
	s_xor_b32 s13, exec_lo, s13
; %bb.681:                              ;   in Loop: Header=BB4_130 Depth=2
	v_cmp_lt_u32_e32 vcc_lo, 0xffffff, v79
	v_sub_nc_u32_e32 v47, v88, v89
	v_cndmask_b32_e64 v88, 0, 1, vcc_lo
	v_add_co_ci_u32_e64 v47, null, 0, v47, vcc_lo
	v_lshrrev_b32_e32 v79, v88, v79
; %bb.682:                              ;   in Loop: Header=BB4_130 Depth=2
	s_andn2_saveexec_b32 s13, s13
; %bb.683:                              ;   in Loop: Header=BB4_130 Depth=2
	v_bfe_u32 v47, v79, 23, 1
; %bb.684:                              ;   in Loop: Header=BB4_130 Depth=2
	s_or_b32 exec_lo, exec_lo, s13
	v_lshrrev_b32_e32 v79, 20, v79
	v_min_i32_e32 v88, 15, v47
	v_cmp_gt_i32_e32 vcc_lo, 16, v47
	v_and_b32_sdwa v59, v59, v97 dst_sel:DWORD dst_unused:UNUSED_PAD src0_sel:BYTE_3 src1_sel:DWORD
	v_lshlrev_b32_e32 v88, 3, v88
	v_cndmask_b32_e32 v79, 7, v79, vcc_lo
	v_and_b32_e32 v88, 0xf8, v88
	v_and_b32_e32 v89, 7, v79
	v_or_b32_e32 v47, v47, v79
	v_or3_b32 v59, v88, v59, v89
	v_cmp_ne_u32_e32 vcc_lo, 0, v47
	v_cndmask_b32_e32 v47, 0, v59, vcc_lo
.LBB4_685:                              ;   in Loop: Header=BB4_130 Depth=2
	s_or_b32 exec_lo, exec_lo, s41
.LBB4_686:                              ;   in Loop: Header=BB4_130 Depth=2
	s_or_b32 exec_lo, exec_lo, s40
	v_cmp_gt_i16_sdwa s40, v78, v96 src0_sel:BYTE_1 src1_sel:DWORD
	s_mov_b32 s13, 0
	s_and_saveexec_b32 s41, s40
	s_xor_b32 s40, exec_lo, s41
	s_cbranch_execz .LBB4_1308
; %bb.687:                              ;   in Loop: Header=BB4_130 Depth=2
	v_cmp_eq_u16_sdwa s42, v78, v97 src0_sel:BYTE_1 src1_sel:DWORD
	s_mov_b32 s13, -1
	s_and_saveexec_b32 s41, s42
; %bb.688:                              ;   in Loop: Header=BB4_130 Depth=2
	s_xor_b32 s13, exec_lo, -1
; %bb.689:                              ;   in Loop: Header=BB4_130 Depth=2
	s_or_b32 exec_lo, exec_lo, s41
	s_and_b32 s13, s13, exec_lo
	s_or_saveexec_b32 s40, s40
	v_mov_b32_e32 v59, 0x7f800001
	s_xor_b32 exec_lo, exec_lo, s40
	s_cbranch_execnz .LBB4_1309
.LBB4_690:                              ;   in Loop: Header=BB4_130 Depth=2
	s_or_b32 exec_lo, exec_lo, s40
	s_and_saveexec_b32 s40, s13
	s_cbranch_execz .LBB4_692
.LBB4_691:                              ;   in Loop: Header=BB4_130 Depth=2
	v_and_b32_sdwa v59, v98, v78 dst_sel:DWORD dst_unused:UNUSED_PAD src0_sel:DWORD src1_sel:BYTE_1
	v_and_b32_e32 v79, 7, v59
	v_bfe_u32 v90, v59, 3, 4
	v_ffbh_u32_e32 v88, v79
	v_cmp_eq_u32_e32 vcc_lo, 0, v90
	v_min_u32_e32 v88, 32, v88
	v_subrev_nc_u32_e32 v89, 28, v88
	v_sub_nc_u32_e32 v88, 29, v88
	v_lshlrev_b32_e32 v59, v89, v59
	v_lshlrev_b32_sdwa v89, v99, v78 dst_sel:DWORD dst_unused:UNUSED_PAD src0_sel:DWORD src1_sel:BYTE_1
	v_cndmask_b32_e32 v88, v90, v88, vcc_lo
	v_and_b32_e32 v59, 7, v59
	v_lshl_add_u32 v88, v88, 23, 0x3b800000
	v_cndmask_b32_e32 v59, v79, v59, vcc_lo
	v_and_b32_e32 v79, 0x80000000, v89
	v_lshlrev_b32_e32 v59, 20, v59
	v_or3_b32 v59, v79, v88, v59
.LBB4_692:                              ;   in Loop: Header=BB4_130 Depth=2
	s_or_b32 exec_lo, exec_lo, s40
	v_cmp_gt_i16_sdwa s40, v15, v96 src0_sel:BYTE_1 src1_sel:DWORD
	s_mov_b32 s13, 0
	s_and_saveexec_b32 s41, s40
	s_xor_b32 s40, exec_lo, s41
	s_cbranch_execz .LBB4_1310
; %bb.693:                              ;   in Loop: Header=BB4_130 Depth=2
	v_cmp_eq_u16_sdwa s42, v15, v97 src0_sel:BYTE_1 src1_sel:DWORD
	s_mov_b32 s13, -1
	s_and_saveexec_b32 s41, s42
; %bb.694:                              ;   in Loop: Header=BB4_130 Depth=2
	s_xor_b32 s13, exec_lo, -1
; %bb.695:                              ;   in Loop: Header=BB4_130 Depth=2
	s_or_b32 exec_lo, exec_lo, s41
	s_and_b32 s13, s13, exec_lo
	s_or_saveexec_b32 s40, s40
	v_mov_b32_e32 v79, 0x7f800001
	s_xor_b32 exec_lo, exec_lo, s40
	s_cbranch_execnz .LBB4_1311
.LBB4_696:                              ;   in Loop: Header=BB4_130 Depth=2
	s_or_b32 exec_lo, exec_lo, s40
	s_and_saveexec_b32 s40, s13
	s_cbranch_execz .LBB4_698
.LBB4_697:                              ;   in Loop: Header=BB4_130 Depth=2
	v_and_b32_sdwa v79, v98, v15 dst_sel:DWORD dst_unused:UNUSED_PAD src0_sel:DWORD src1_sel:BYTE_1
	v_and_b32_e32 v88, 7, v79
	v_bfe_u32 v91, v79, 3, 4
	v_ffbh_u32_e32 v89, v88
	v_cmp_eq_u32_e32 vcc_lo, 0, v91
	v_min_u32_e32 v89, 32, v89
	v_subrev_nc_u32_e32 v90, 28, v89
	v_sub_nc_u32_e32 v89, 29, v89
	v_lshlrev_b32_e32 v79, v90, v79
	v_lshlrev_b32_sdwa v90, v99, v15 dst_sel:DWORD dst_unused:UNUSED_PAD src0_sel:DWORD src1_sel:BYTE_1
	v_cndmask_b32_e32 v89, v91, v89, vcc_lo
	v_and_b32_e32 v79, 7, v79
	v_lshl_add_u32 v89, v89, 23, 0x3b800000
	v_cndmask_b32_e32 v79, v88, v79, vcc_lo
	v_and_b32_e32 v88, 0x80000000, v90
	v_lshlrev_b32_e32 v79, 20, v79
	v_or3_b32 v79, v88, v89, v79
.LBB4_698:                              ;   in Loop: Header=BB4_130 Depth=2
	s_or_b32 exec_lo, exec_lo, s40
	v_add_f32_e32 v79, v59, v79
	v_and_b32_e32 v59, 0x7f800000, v79
	v_cmp_ne_u32_e32 vcc_lo, 0x7f800000, v59
	v_mov_b32_e32 v59, 0x8000
	s_and_saveexec_b32 s40, vcc_lo
	s_cbranch_execz .LBB4_706
; %bb.699:                              ;   in Loop: Header=BB4_130 Depth=2
	v_mov_b32_e32 v59, 0
	s_mov_b32 s41, exec_lo
	v_cmpx_ne_u32_e32 0, v79
	s_cbranch_execz .LBB4_705
; %bb.700:                              ;   in Loop: Header=BB4_130 Depth=2
	v_bfe_u32 v59, v79, 23, 8
	v_and_b32_e32 v88, 0x7fffff, v79
	v_sub_nc_u32_e32 v89, 0x78, v59
	v_cmp_gt_u32_e32 vcc_lo, 0x79, v59
	v_or_b32_e32 v90, 0x800000, v88
	v_cndmask_b32_e32 v89, 0, v89, vcc_lo
	v_cmp_eq_u32_e32 vcc_lo, 0, v59
	v_add_nc_u32_e32 v59, 0xffffff89, v59
	v_cndmask_b32_e64 v89, v89, 0x77, vcc_lo
	v_cndmask_b32_e32 v88, v90, v88, vcc_lo
	v_cndmask_b32_e64 v59, v59, 0xffffff8a, vcc_lo
	v_lshl_add_u32 v90, 0x100000, v89, -1
	v_lshrrev_b32_e32 v91, v89, v88
	v_lshlrev_b32_e64 v93, v89, 0x80000
	v_add_nc_u32_e32 v89, v89, v59
	v_and_b32_e32 v88, v90, v88
	v_bfe_u32 v92, v91, 20, 1
	v_cmp_eq_u32_e64 s13, v88, v93
	v_add_nc_u32_e32 v90, -1, v92
	v_cndmask_b32_e64 v88, 0, v90, s13
	v_lshrrev_b32_e32 v90, 23, v91
	s_mov_b32 s13, exec_lo
	v_add_nc_u32_e32 v88, v88, v91
	v_xor_b32_e32 v90, 1, v90
	v_and_b32_e32 v59, 0xfffff, v88
	v_add_nc_u32_e32 v88, v59, v91
                                        ; implicit-def: $vgpr59
	v_cmpx_ne_u32_e64 v89, v90
	s_xor_b32 s13, exec_lo, s13
; %bb.701:                              ;   in Loop: Header=BB4_130 Depth=2
	v_cmp_lt_u32_e32 vcc_lo, 0xffffff, v88
	v_sub_nc_u32_e32 v59, v89, v90
	v_cndmask_b32_e64 v89, 0, 1, vcc_lo
	v_add_co_ci_u32_e64 v59, null, 0, v59, vcc_lo
	v_lshrrev_b32_e32 v88, v89, v88
; %bb.702:                              ;   in Loop: Header=BB4_130 Depth=2
	s_andn2_saveexec_b32 s13, s13
; %bb.703:                              ;   in Loop: Header=BB4_130 Depth=2
	v_bfe_u32 v59, v88, 23, 1
; %bb.704:                              ;   in Loop: Header=BB4_130 Depth=2
	s_or_b32 exec_lo, exec_lo, s13
	v_lshrrev_b32_e32 v88, 20, v88
	v_min_i32_e32 v89, 15, v59
	v_cmp_gt_i32_e32 vcc_lo, 16, v59
	v_and_b32_sdwa v79, v79, v97 dst_sel:DWORD dst_unused:UNUSED_PAD src0_sel:BYTE_3 src1_sel:DWORD
	v_lshlrev_b32_e32 v89, 3, v89
	v_cndmask_b32_e32 v88, 7, v88, vcc_lo
	v_and_b32_e32 v89, 0xf8, v89
	v_and_b32_e32 v90, 7, v88
	v_or_b32_e32 v59, v59, v88
	v_or3_b32 v79, v79, v89, v90
	v_cmp_ne_u32_e32 vcc_lo, 0, v59
	v_lshlrev_b32_e32 v79, 8, v79
	v_cndmask_b32_e32 v59, 0, v79, vcc_lo
.LBB4_705:                              ;   in Loop: Header=BB4_130 Depth=2
	s_or_b32 exec_lo, exec_lo, s41
.LBB4_706:                              ;   in Loop: Header=BB4_130 Depth=2
	s_or_b32 exec_lo, exec_lo, s40
	v_or_b32_e32 v77, v77, v63
	s_mov_b32 s13, 0
	v_cmp_gt_i16_sdwa s40, v77, v96 src0_sel:BYTE_0 src1_sel:DWORD
	s_and_saveexec_b32 s41, s40
	s_xor_b32 s40, exec_lo, s41
	s_cbranch_execz .LBB4_1312
; %bb.707:                              ;   in Loop: Header=BB4_130 Depth=2
	v_cmp_eq_u16_sdwa s42, v77, v97 src0_sel:BYTE_0 src1_sel:DWORD
	s_mov_b32 s13, -1
	s_and_saveexec_b32 s41, s42
; %bb.708:                              ;   in Loop: Header=BB4_130 Depth=2
	s_xor_b32 s13, exec_lo, -1
; %bb.709:                              ;   in Loop: Header=BB4_130 Depth=2
	s_or_b32 exec_lo, exec_lo, s41
	s_and_b32 s13, s13, exec_lo
	s_or_saveexec_b32 s40, s40
	v_mov_b32_e32 v63, 0x7f800001
	s_xor_b32 exec_lo, exec_lo, s40
	s_cbranch_execnz .LBB4_1313
.LBB4_710:                              ;   in Loop: Header=BB4_130 Depth=2
	s_or_b32 exec_lo, exec_lo, s40
	v_lshl_or_b32 v77, v77, 16, v78
	s_and_saveexec_b32 s40, s13
	s_cbranch_execz .LBB4_712
.LBB4_711:                              ;   in Loop: Header=BB4_130 Depth=2
	v_bfe_u32 v63, v77, 16, 3
	v_bfe_u32 v88, v77, 19, 4
	v_lshlrev_b32_e32 v89, 8, v77
	v_ffbh_u32_e32 v78, v63
	v_cmp_eq_u32_e32 vcc_lo, 0, v88
	v_min_u32_e32 v78, 32, v78
	v_subrev_nc_u32_e32 v79, 28, v78
	v_sub_nc_u32_e32 v78, 29, v78
	v_lshlrev_b32_sdwa v79, v79, v77 dst_sel:DWORD dst_unused:UNUSED_PAD src0_sel:DWORD src1_sel:WORD_1
	v_cndmask_b32_e32 v78, v88, v78, vcc_lo
	v_and_b32_e32 v79, 7, v79
	v_lshl_add_u32 v78, v78, 23, 0x3b800000
	v_cndmask_b32_e32 v63, v63, v79, vcc_lo
	v_and_b32_e32 v79, 0x80000000, v89
	v_lshlrev_b32_e32 v63, 20, v63
	v_or3_b32 v63, v79, v78, v63
.LBB4_712:                              ;   in Loop: Header=BB4_130 Depth=2
	s_or_b32 exec_lo, exec_lo, s40
	v_and_b32_sdwa v79, v15, v100 dst_sel:DWORD dst_unused:UNUSED_PAD src0_sel:WORD_1 src1_sel:DWORD
	s_mov_b32 s13, 0
	s_mov_b32 s40, exec_lo
	v_cmpx_lt_i16_e32 0x7f, v79
	s_xor_b32 s40, exec_lo, s40
	s_cbranch_execz .LBB4_1314
; %bb.713:                              ;   in Loop: Header=BB4_130 Depth=2
	s_mov_b32 s13, -1
	s_mov_b32 s41, exec_lo
	v_cmpx_eq_u16_e32 0x80, v79
; %bb.714:                              ;   in Loop: Header=BB4_130 Depth=2
	s_xor_b32 s13, exec_lo, -1
; %bb.715:                              ;   in Loop: Header=BB4_130 Depth=2
	s_or_b32 exec_lo, exec_lo, s41
	s_and_b32 s13, s13, exec_lo
                                        ; implicit-def: $vgpr79
	s_or_saveexec_b32 s40, s40
	v_mov_b32_e32 v78, 0x7f800001
	s_xor_b32 exec_lo, exec_lo, s40
	s_cbranch_execnz .LBB4_1315
.LBB4_716:                              ;   in Loop: Header=BB4_130 Depth=2
	s_or_b32 exec_lo, exec_lo, s40
	s_and_saveexec_b32 s40, s13
	s_cbranch_execz .LBB4_718
.LBB4_717:                              ;   in Loop: Header=BB4_130 Depth=2
	v_bfe_u32 v78, v15, 16, 3
	v_bfe_u32 v89, v15, 19, 4
	v_lshlrev_b32_e32 v90, 8, v15
	v_ffbh_u32_e32 v79, v78
	v_cmp_eq_u32_e32 vcc_lo, 0, v89
	v_min_u32_e32 v79, 32, v79
	v_subrev_nc_u32_e32 v88, 28, v79
	v_sub_nc_u32_e32 v79, 29, v79
	v_lshlrev_b32_sdwa v88, v88, v15 dst_sel:DWORD dst_unused:UNUSED_PAD src0_sel:DWORD src1_sel:WORD_1
	v_cndmask_b32_e32 v79, v89, v79, vcc_lo
	v_and_b32_e32 v88, 7, v88
	v_lshl_add_u32 v79, v79, 23, 0x3b800000
	v_cndmask_b32_e32 v78, v78, v88, vcc_lo
	v_and_b32_e32 v88, 0x80000000, v90
	v_lshlrev_b32_e32 v78, 20, v78
	v_or3_b32 v78, v88, v79, v78
.LBB4_718:                              ;   in Loop: Header=BB4_130 Depth=2
	s_or_b32 exec_lo, exec_lo, s40
	v_add_f32_e32 v78, v63, v78
	v_and_b32_e32 v63, 0x7f800000, v78
	v_cmp_ne_u32_e32 vcc_lo, 0x7f800000, v63
	v_mov_b32_e32 v63, 0x80
	s_and_saveexec_b32 s40, vcc_lo
	s_cbranch_execz .LBB4_726
; %bb.719:                              ;   in Loop: Header=BB4_130 Depth=2
	v_mov_b32_e32 v63, 0
	s_mov_b32 s41, exec_lo
	v_cmpx_ne_u32_e32 0, v78
	s_cbranch_execz .LBB4_725
; %bb.720:                              ;   in Loop: Header=BB4_130 Depth=2
	v_bfe_u32 v63, v78, 23, 8
	v_and_b32_e32 v79, 0x7fffff, v78
	v_sub_nc_u32_e32 v88, 0x78, v63
	v_cmp_gt_u32_e32 vcc_lo, 0x79, v63
	v_or_b32_e32 v89, 0x800000, v79
	v_cndmask_b32_e32 v88, 0, v88, vcc_lo
	v_cmp_eq_u32_e32 vcc_lo, 0, v63
	v_add_nc_u32_e32 v63, 0xffffff89, v63
	v_cndmask_b32_e64 v88, v88, 0x77, vcc_lo
	v_cndmask_b32_e32 v79, v89, v79, vcc_lo
	v_cndmask_b32_e64 v63, v63, 0xffffff8a, vcc_lo
	v_lshl_add_u32 v89, 0x100000, v88, -1
	v_lshrrev_b32_e32 v90, v88, v79
	v_lshlrev_b32_e64 v92, v88, 0x80000
	v_add_nc_u32_e32 v88, v88, v63
	v_and_b32_e32 v79, v89, v79
	v_bfe_u32 v91, v90, 20, 1
	v_cmp_eq_u32_e64 s13, v79, v92
	v_add_nc_u32_e32 v89, -1, v91
	v_cndmask_b32_e64 v79, 0, v89, s13
	v_lshrrev_b32_e32 v89, 23, v90
	s_mov_b32 s13, exec_lo
	v_add_nc_u32_e32 v79, v79, v90
	v_xor_b32_e32 v89, 1, v89
	v_and_b32_e32 v63, 0xfffff, v79
	v_add_nc_u32_e32 v79, v63, v90
                                        ; implicit-def: $vgpr63
	v_cmpx_ne_u32_e64 v88, v89
	s_xor_b32 s13, exec_lo, s13
; %bb.721:                              ;   in Loop: Header=BB4_130 Depth=2
	v_cmp_lt_u32_e32 vcc_lo, 0xffffff, v79
	v_sub_nc_u32_e32 v63, v88, v89
	v_cndmask_b32_e64 v88, 0, 1, vcc_lo
	v_add_co_ci_u32_e64 v63, null, 0, v63, vcc_lo
	v_lshrrev_b32_e32 v79, v88, v79
; %bb.722:                              ;   in Loop: Header=BB4_130 Depth=2
	s_andn2_saveexec_b32 s13, s13
; %bb.723:                              ;   in Loop: Header=BB4_130 Depth=2
	v_bfe_u32 v63, v79, 23, 1
; %bb.724:                              ;   in Loop: Header=BB4_130 Depth=2
	s_or_b32 exec_lo, exec_lo, s13
	v_lshrrev_b32_e32 v79, 20, v79
	v_min_i32_e32 v88, 15, v63
	v_cmp_gt_i32_e32 vcc_lo, 16, v63
	v_and_b32_sdwa v78, v78, v97 dst_sel:DWORD dst_unused:UNUSED_PAD src0_sel:BYTE_3 src1_sel:DWORD
	v_lshlrev_b32_e32 v88, 3, v88
	v_cndmask_b32_e32 v79, 7, v79, vcc_lo
	v_and_b32_e32 v88, 0xf8, v88
	v_and_b32_e32 v89, 7, v79
	v_or_b32_e32 v63, v63, v79
	v_or3_b32 v78, v88, v78, v89
	v_cmp_ne_u32_e32 vcc_lo, 0, v63
	v_cndmask_b32_e32 v63, 0, v78, vcc_lo
.LBB4_725:                              ;   in Loop: Header=BB4_130 Depth=2
	s_or_b32 exec_lo, exec_lo, s41
.LBB4_726:                              ;   in Loop: Header=BB4_130 Depth=2
	s_or_b32 exec_lo, exec_lo, s40
	v_cmp_gt_i16_sdwa s40, v77, v96 src0_sel:BYTE_3 src1_sel:DWORD
	s_mov_b32 s13, 0
	s_and_saveexec_b32 s41, s40
	s_xor_b32 s40, exec_lo, s41
	s_cbranch_execz .LBB4_1316
; %bb.727:                              ;   in Loop: Header=BB4_130 Depth=2
	v_cmp_eq_u16_sdwa s42, v77, v97 src0_sel:BYTE_3 src1_sel:DWORD
	s_mov_b32 s13, -1
	s_and_saveexec_b32 s41, s42
; %bb.728:                              ;   in Loop: Header=BB4_130 Depth=2
	s_xor_b32 s13, exec_lo, -1
; %bb.729:                              ;   in Loop: Header=BB4_130 Depth=2
	s_or_b32 exec_lo, exec_lo, s41
	s_and_b32 s13, s13, exec_lo
	s_or_saveexec_b32 s40, s40
	v_mov_b32_e32 v78, 0x7f800001
	s_xor_b32 exec_lo, exec_lo, s40
	s_cbranch_execnz .LBB4_1317
.LBB4_730:                              ;   in Loop: Header=BB4_130 Depth=2
	s_or_b32 exec_lo, exec_lo, s40
	s_and_saveexec_b32 s40, s13
	s_cbranch_execz .LBB4_732
.LBB4_731:                              ;   in Loop: Header=BB4_130 Depth=2
	v_bfe_u32 v78, v77, 24, 3
	v_bfe_u32 v89, v77, 27, 4
	v_ffbh_u32_e32 v79, v78
	v_cmp_eq_u32_e32 vcc_lo, 0, v89
	v_min_u32_e32 v79, 32, v79
	v_subrev_nc_u32_e32 v88, 28, v79
	v_sub_nc_u32_e32 v79, 29, v79
	v_lshlrev_b32_sdwa v88, v88, v77 dst_sel:DWORD dst_unused:UNUSED_PAD src0_sel:DWORD src1_sel:BYTE_3
	v_cndmask_b32_e32 v79, v89, v79, vcc_lo
	v_and_b32_e32 v77, 0x80000000, v77
	v_and_b32_e32 v88, 7, v88
	v_lshl_add_u32 v79, v79, 23, 0x3b800000
	v_cndmask_b32_e32 v78, v78, v88, vcc_lo
	v_lshlrev_b32_e32 v78, 20, v78
	v_or3_b32 v78, v77, v79, v78
.LBB4_732:                              ;   in Loop: Header=BB4_130 Depth=2
	s_or_b32 exec_lo, exec_lo, s40
	v_cmp_gt_i16_sdwa s40, v15, v96 src0_sel:BYTE_3 src1_sel:DWORD
	s_mov_b32 s13, 0
	s_and_saveexec_b32 s41, s40
	s_xor_b32 s40, exec_lo, s41
	s_cbranch_execz .LBB4_1318
; %bb.733:                              ;   in Loop: Header=BB4_130 Depth=2
	v_cmp_eq_u16_sdwa s42, v15, v97 src0_sel:BYTE_3 src1_sel:DWORD
	s_mov_b32 s13, -1
	s_and_saveexec_b32 s41, s42
; %bb.734:                              ;   in Loop: Header=BB4_130 Depth=2
	s_xor_b32 s13, exec_lo, -1
; %bb.735:                              ;   in Loop: Header=BB4_130 Depth=2
	s_or_b32 exec_lo, exec_lo, s41
	s_and_b32 s13, s13, exec_lo
	s_or_saveexec_b32 s40, s40
	v_mov_b32_e32 v77, 0x7f800001
	s_xor_b32 exec_lo, exec_lo, s40
	s_cbranch_execnz .LBB4_1319
.LBB4_736:                              ;   in Loop: Header=BB4_130 Depth=2
	s_or_b32 exec_lo, exec_lo, s40
	s_and_saveexec_b32 s40, s13
	s_cbranch_execz .LBB4_738
.LBB4_737:                              ;   in Loop: Header=BB4_130 Depth=2
	v_bfe_u32 v77, v15, 24, 3
	v_bfe_u32 v89, v15, 27, 4
	v_ffbh_u32_e32 v79, v77
	v_cmp_eq_u32_e32 vcc_lo, 0, v89
	v_min_u32_e32 v79, 32, v79
	v_subrev_nc_u32_e32 v88, 28, v79
	v_sub_nc_u32_e32 v79, 29, v79
	v_lshlrev_b32_sdwa v88, v88, v15 dst_sel:DWORD dst_unused:UNUSED_PAD src0_sel:DWORD src1_sel:BYTE_3
	v_cndmask_b32_e32 v79, v89, v79, vcc_lo
	v_and_b32_e32 v15, 0x80000000, v15
	v_and_b32_e32 v88, 7, v88
	v_lshl_add_u32 v79, v79, 23, 0x3b800000
	v_cndmask_b32_e32 v77, v77, v88, vcc_lo
	v_lshlrev_b32_e32 v77, 20, v77
	v_or3_b32 v77, v15, v79, v77
.LBB4_738:                              ;   in Loop: Header=BB4_130 Depth=2
	s_or_b32 exec_lo, exec_lo, s40
	v_add_f32_e32 v77, v78, v77
	v_and_b32_e32 v15, 0x7f800000, v77
	v_cmp_ne_u32_e32 vcc_lo, 0x7f800000, v15
	v_mov_b32_e32 v15, 0x8000
	s_and_saveexec_b32 s40, vcc_lo
	s_cbranch_execz .LBB4_746
; %bb.739:                              ;   in Loop: Header=BB4_130 Depth=2
	v_mov_b32_e32 v15, 0
	s_mov_b32 s41, exec_lo
	v_cmpx_ne_u32_e32 0, v77
	s_cbranch_execz .LBB4_745
; %bb.740:                              ;   in Loop: Header=BB4_130 Depth=2
	v_bfe_u32 v15, v77, 23, 8
	v_and_b32_e32 v78, 0x7fffff, v77
	v_sub_nc_u32_e32 v79, 0x78, v15
	v_cmp_gt_u32_e32 vcc_lo, 0x79, v15
	v_or_b32_e32 v88, 0x800000, v78
	v_cndmask_b32_e32 v79, 0, v79, vcc_lo
	v_cmp_eq_u32_e32 vcc_lo, 0, v15
	v_add_nc_u32_e32 v15, 0xffffff89, v15
	v_cndmask_b32_e64 v79, v79, 0x77, vcc_lo
	v_cndmask_b32_e32 v78, v88, v78, vcc_lo
	v_cndmask_b32_e64 v15, v15, 0xffffff8a, vcc_lo
	v_lshl_add_u32 v88, 0x100000, v79, -1
	v_lshrrev_b32_e32 v89, v79, v78
	v_lshlrev_b32_e64 v91, v79, 0x80000
	v_add_nc_u32_e32 v79, v79, v15
	v_and_b32_e32 v78, v88, v78
	v_bfe_u32 v90, v89, 20, 1
	v_cmp_eq_u32_e64 s13, v78, v91
	v_add_nc_u32_e32 v88, -1, v90
	v_cndmask_b32_e64 v78, 0, v88, s13
	v_lshrrev_b32_e32 v88, 23, v89
	s_mov_b32 s13, exec_lo
	v_add_nc_u32_e32 v78, v78, v89
	v_xor_b32_e32 v88, 1, v88
	v_and_b32_e32 v15, 0xfffff, v78
	v_add_nc_u32_e32 v78, v15, v89
                                        ; implicit-def: $vgpr15
	v_cmpx_ne_u32_e64 v79, v88
	s_xor_b32 s13, exec_lo, s13
; %bb.741:                              ;   in Loop: Header=BB4_130 Depth=2
	v_cmp_lt_u32_e32 vcc_lo, 0xffffff, v78
	v_sub_nc_u32_e32 v15, v79, v88
	v_cndmask_b32_e64 v79, 0, 1, vcc_lo
	v_add_co_ci_u32_e64 v15, null, 0, v15, vcc_lo
	v_lshrrev_b32_e32 v78, v79, v78
; %bb.742:                              ;   in Loop: Header=BB4_130 Depth=2
	s_andn2_saveexec_b32 s13, s13
; %bb.743:                              ;   in Loop: Header=BB4_130 Depth=2
	v_bfe_u32 v15, v78, 23, 1
; %bb.744:                              ;   in Loop: Header=BB4_130 Depth=2
	s_or_b32 exec_lo, exec_lo, s13
	v_lshrrev_b32_e32 v78, 20, v78
	v_min_i32_e32 v79, 15, v15
	v_cmp_gt_i32_e32 vcc_lo, 16, v15
	v_and_b32_sdwa v77, v77, v97 dst_sel:DWORD dst_unused:UNUSED_PAD src0_sel:BYTE_3 src1_sel:DWORD
	v_lshlrev_b32_e32 v79, 3, v79
	v_cndmask_b32_e32 v78, 7, v78, vcc_lo
	v_and_b32_e32 v79, 0xf8, v79
	v_and_b32_e32 v88, 7, v78
	v_or_b32_e32 v15, v15, v78
	v_or3_b32 v77, v77, v79, v88
	v_cmp_ne_u32_e32 vcc_lo, 0, v15
	v_lshlrev_b32_e32 v77, 8, v77
	v_cndmask_b32_e32 v15, 0, v77, vcc_lo
.LBB4_745:                              ;   in Loop: Header=BB4_130 Depth=2
	s_or_b32 exec_lo, exec_lo, s41
.LBB4_746:                              ;   in Loop: Header=BB4_130 Depth=2
	s_or_b32 exec_lo, exec_lo, s40
	v_or_b32_e32 v77, v76, v74
	s_mov_b32 s13, 0
	v_cmp_gt_i16_sdwa s40, v77, v96 src0_sel:BYTE_0 src1_sel:DWORD
	s_and_saveexec_b32 s41, s40
	s_xor_b32 s40, exec_lo, s41
	s_cbranch_execz .LBB4_1320
; %bb.747:                              ;   in Loop: Header=BB4_130 Depth=2
	v_cmp_eq_u16_sdwa s42, v77, v97 src0_sel:BYTE_0 src1_sel:DWORD
	s_mov_b32 s13, -1
	s_and_saveexec_b32 s41, s42
; %bb.748:                              ;   in Loop: Header=BB4_130 Depth=2
	s_xor_b32 s13, exec_lo, -1
; %bb.749:                              ;   in Loop: Header=BB4_130 Depth=2
	s_or_b32 exec_lo, exec_lo, s41
	s_and_b32 s13, s13, exec_lo
	s_or_saveexec_b32 s40, s40
	v_mov_b32_e32 v74, 0x7f800001
	s_xor_b32 exec_lo, exec_lo, s40
	s_cbranch_execnz .LBB4_1321
.LBB4_750:                              ;   in Loop: Header=BB4_130 Depth=2
	s_or_b32 exec_lo, exec_lo, s40
	s_and_saveexec_b32 s40, s13
	s_cbranch_execz .LBB4_752
.LBB4_751:                              ;   in Loop: Header=BB4_130 Depth=2
	v_and_b32_e32 v74, 7, v77
	v_bfe_u32 v79, v77, 3, 4
	v_lshlrev_b32_e32 v88, 24, v77
	v_ffbh_u32_e32 v76, v74
	v_cmp_eq_u32_e32 vcc_lo, 0, v79
	v_min_u32_e32 v76, 32, v76
	v_subrev_nc_u32_e32 v78, 28, v76
	v_sub_nc_u32_e32 v76, 29, v76
	v_lshlrev_b32_e32 v78, v78, v77
	v_cndmask_b32_e32 v76, v79, v76, vcc_lo
	v_and_b32_e32 v78, 7, v78
	v_lshl_add_u32 v76, v76, 23, 0x3b800000
	v_cndmask_b32_e32 v74, v74, v78, vcc_lo
	v_and_b32_e32 v78, 0x80000000, v88
	v_lshlrev_b32_e32 v74, 20, v74
	v_or3_b32 v74, v78, v76, v74
.LBB4_752:                              ;   in Loop: Header=BB4_130 Depth=2
	s_or_b32 exec_lo, exec_lo, s40
	v_cmp_gt_i16_sdwa s40, v16, v96 src0_sel:BYTE_0 src1_sel:DWORD
	s_mov_b32 s13, 0
	s_and_saveexec_b32 s41, s40
	s_xor_b32 s40, exec_lo, s41
	s_cbranch_execz .LBB4_1322
; %bb.753:                              ;   in Loop: Header=BB4_130 Depth=2
	v_cmp_eq_u16_sdwa s42, v16, v97 src0_sel:BYTE_0 src1_sel:DWORD
	s_mov_b32 s13, -1
	s_and_saveexec_b32 s41, s42
; %bb.754:                              ;   in Loop: Header=BB4_130 Depth=2
	s_xor_b32 s13, exec_lo, -1
; %bb.755:                              ;   in Loop: Header=BB4_130 Depth=2
	s_or_b32 exec_lo, exec_lo, s41
	s_and_b32 s13, s13, exec_lo
	s_or_saveexec_b32 s40, s40
	v_mov_b32_e32 v76, 0x7f800001
	s_xor_b32 exec_lo, exec_lo, s40
	s_cbranch_execnz .LBB4_1323
.LBB4_756:                              ;   in Loop: Header=BB4_130 Depth=2
	s_or_b32 exec_lo, exec_lo, s40
	s_and_saveexec_b32 s40, s13
	s_cbranch_execz .LBB4_758
.LBB4_757:                              ;   in Loop: Header=BB4_130 Depth=2
	v_and_b32_e32 v76, 7, v16
	v_bfe_u32 v88, v16, 3, 4
	v_lshlrev_b32_e32 v89, 24, v16
	v_ffbh_u32_e32 v78, v76
	v_cmp_eq_u32_e32 vcc_lo, 0, v88
	v_min_u32_e32 v78, 32, v78
	v_subrev_nc_u32_e32 v79, 28, v78
	v_sub_nc_u32_e32 v78, 29, v78
	v_lshlrev_b32_e32 v79, v79, v16
	v_cndmask_b32_e32 v78, v88, v78, vcc_lo
	v_and_b32_e32 v79, 7, v79
	v_lshl_add_u32 v78, v78, 23, 0x3b800000
	v_cndmask_b32_e32 v76, v76, v79, vcc_lo
	v_and_b32_e32 v79, 0x80000000, v89
	v_lshlrev_b32_e32 v76, 20, v76
	v_or3_b32 v76, v79, v78, v76
.LBB4_758:                              ;   in Loop: Header=BB4_130 Depth=2
	s_or_b32 exec_lo, exec_lo, s40
	v_add_f32_e32 v76, v74, v76
	v_and_b32_e32 v74, 0x7f800000, v76
	v_cmp_ne_u32_e32 vcc_lo, 0x7f800000, v74
	v_mov_b32_e32 v74, 0x80
	s_and_saveexec_b32 s40, vcc_lo
	s_cbranch_execz .LBB4_766
; %bb.759:                              ;   in Loop: Header=BB4_130 Depth=2
	v_mov_b32_e32 v74, 0
	s_mov_b32 s41, exec_lo
	v_cmpx_ne_u32_e32 0, v76
	s_cbranch_execz .LBB4_765
; %bb.760:                              ;   in Loop: Header=BB4_130 Depth=2
	v_bfe_u32 v74, v76, 23, 8
	v_and_b32_e32 v78, 0x7fffff, v76
	v_sub_nc_u32_e32 v79, 0x78, v74
	v_cmp_gt_u32_e32 vcc_lo, 0x79, v74
	v_or_b32_e32 v88, 0x800000, v78
	v_cndmask_b32_e32 v79, 0, v79, vcc_lo
	v_cmp_eq_u32_e32 vcc_lo, 0, v74
	v_add_nc_u32_e32 v74, 0xffffff89, v74
	v_cndmask_b32_e64 v79, v79, 0x77, vcc_lo
	v_cndmask_b32_e32 v78, v88, v78, vcc_lo
	v_cndmask_b32_e64 v74, v74, 0xffffff8a, vcc_lo
	v_lshl_add_u32 v88, 0x100000, v79, -1
	v_lshrrev_b32_e32 v89, v79, v78
	v_lshlrev_b32_e64 v91, v79, 0x80000
	v_add_nc_u32_e32 v79, v79, v74
	v_and_b32_e32 v78, v88, v78
	v_bfe_u32 v90, v89, 20, 1
	v_cmp_eq_u32_e64 s13, v78, v91
	v_add_nc_u32_e32 v88, -1, v90
	v_cndmask_b32_e64 v78, 0, v88, s13
	v_lshrrev_b32_e32 v88, 23, v89
	s_mov_b32 s13, exec_lo
	v_add_nc_u32_e32 v78, v78, v89
	v_xor_b32_e32 v88, 1, v88
	v_and_b32_e32 v74, 0xfffff, v78
	v_add_nc_u32_e32 v78, v74, v89
                                        ; implicit-def: $vgpr74
	v_cmpx_ne_u32_e64 v79, v88
	s_xor_b32 s13, exec_lo, s13
; %bb.761:                              ;   in Loop: Header=BB4_130 Depth=2
	v_cmp_lt_u32_e32 vcc_lo, 0xffffff, v78
	v_sub_nc_u32_e32 v74, v79, v88
	v_cndmask_b32_e64 v79, 0, 1, vcc_lo
	v_add_co_ci_u32_e64 v74, null, 0, v74, vcc_lo
	v_lshrrev_b32_e32 v78, v79, v78
; %bb.762:                              ;   in Loop: Header=BB4_130 Depth=2
	s_andn2_saveexec_b32 s13, s13
; %bb.763:                              ;   in Loop: Header=BB4_130 Depth=2
	v_bfe_u32 v74, v78, 23, 1
; %bb.764:                              ;   in Loop: Header=BB4_130 Depth=2
	s_or_b32 exec_lo, exec_lo, s13
	v_lshrrev_b32_e32 v78, 20, v78
	v_min_i32_e32 v79, 15, v74
	v_cmp_gt_i32_e32 vcc_lo, 16, v74
	v_and_b32_sdwa v76, v76, v97 dst_sel:DWORD dst_unused:UNUSED_PAD src0_sel:BYTE_3 src1_sel:DWORD
	v_lshlrev_b32_e32 v79, 3, v79
	v_cndmask_b32_e32 v78, 7, v78, vcc_lo
	v_and_b32_e32 v79, 0xf8, v79
	v_and_b32_e32 v88, 7, v78
	v_or_b32_e32 v74, v74, v78
	v_or3_b32 v76, v79, v76, v88
	v_cmp_ne_u32_e32 vcc_lo, 0, v74
	v_cndmask_b32_e32 v74, 0, v76, vcc_lo
.LBB4_765:                              ;   in Loop: Header=BB4_130 Depth=2
	s_or_b32 exec_lo, exec_lo, s41
.LBB4_766:                              ;   in Loop: Header=BB4_130 Depth=2
	s_or_b32 exec_lo, exec_lo, s40
	v_cmp_gt_i16_sdwa s40, v77, v96 src0_sel:BYTE_1 src1_sel:DWORD
	s_mov_b32 s13, 0
	s_and_saveexec_b32 s41, s40
	s_xor_b32 s40, exec_lo, s41
	s_cbranch_execz .LBB4_1324
; %bb.767:                              ;   in Loop: Header=BB4_130 Depth=2
	v_cmp_eq_u16_sdwa s42, v77, v97 src0_sel:BYTE_1 src1_sel:DWORD
	s_mov_b32 s13, -1
	s_and_saveexec_b32 s41, s42
; %bb.768:                              ;   in Loop: Header=BB4_130 Depth=2
	s_xor_b32 s13, exec_lo, -1
; %bb.769:                              ;   in Loop: Header=BB4_130 Depth=2
	s_or_b32 exec_lo, exec_lo, s41
	s_and_b32 s13, s13, exec_lo
	s_or_saveexec_b32 s40, s40
	v_mov_b32_e32 v76, 0x7f800001
	s_xor_b32 exec_lo, exec_lo, s40
	s_cbranch_execnz .LBB4_1325
.LBB4_770:                              ;   in Loop: Header=BB4_130 Depth=2
	s_or_b32 exec_lo, exec_lo, s40
	s_and_saveexec_b32 s40, s13
	s_cbranch_execz .LBB4_772
.LBB4_771:                              ;   in Loop: Header=BB4_130 Depth=2
	v_and_b32_sdwa v76, v98, v77 dst_sel:DWORD dst_unused:UNUSED_PAD src0_sel:DWORD src1_sel:BYTE_1
	v_and_b32_e32 v78, 7, v76
	v_bfe_u32 v89, v76, 3, 4
	v_ffbh_u32_e32 v79, v78
	v_cmp_eq_u32_e32 vcc_lo, 0, v89
	v_min_u32_e32 v79, 32, v79
	v_subrev_nc_u32_e32 v88, 28, v79
	v_sub_nc_u32_e32 v79, 29, v79
	v_lshlrev_b32_e32 v76, v88, v76
	v_lshlrev_b32_sdwa v88, v99, v77 dst_sel:DWORD dst_unused:UNUSED_PAD src0_sel:DWORD src1_sel:BYTE_1
	v_cndmask_b32_e32 v79, v89, v79, vcc_lo
	v_and_b32_e32 v76, 7, v76
	v_lshl_add_u32 v79, v79, 23, 0x3b800000
	v_cndmask_b32_e32 v76, v78, v76, vcc_lo
	v_and_b32_e32 v78, 0x80000000, v88
	v_lshlrev_b32_e32 v76, 20, v76
	v_or3_b32 v76, v78, v79, v76
.LBB4_772:                              ;   in Loop: Header=BB4_130 Depth=2
	s_or_b32 exec_lo, exec_lo, s40
	v_cmp_gt_i16_sdwa s40, v16, v96 src0_sel:BYTE_1 src1_sel:DWORD
	s_mov_b32 s13, 0
	s_and_saveexec_b32 s41, s40
	s_xor_b32 s40, exec_lo, s41
	s_cbranch_execz .LBB4_1326
; %bb.773:                              ;   in Loop: Header=BB4_130 Depth=2
	v_cmp_eq_u16_sdwa s42, v16, v97 src0_sel:BYTE_1 src1_sel:DWORD
	s_mov_b32 s13, -1
	s_and_saveexec_b32 s41, s42
; %bb.774:                              ;   in Loop: Header=BB4_130 Depth=2
	s_xor_b32 s13, exec_lo, -1
; %bb.775:                              ;   in Loop: Header=BB4_130 Depth=2
	s_or_b32 exec_lo, exec_lo, s41
	s_and_b32 s13, s13, exec_lo
	s_or_saveexec_b32 s40, s40
	v_mov_b32_e32 v78, 0x7f800001
	s_xor_b32 exec_lo, exec_lo, s40
	s_cbranch_execnz .LBB4_1327
.LBB4_776:                              ;   in Loop: Header=BB4_130 Depth=2
	s_or_b32 exec_lo, exec_lo, s40
	s_and_saveexec_b32 s40, s13
	s_cbranch_execz .LBB4_778
.LBB4_777:                              ;   in Loop: Header=BB4_130 Depth=2
	v_and_b32_sdwa v78, v98, v16 dst_sel:DWORD dst_unused:UNUSED_PAD src0_sel:DWORD src1_sel:BYTE_1
	v_and_b32_e32 v79, 7, v78
	v_bfe_u32 v90, v78, 3, 4
	v_ffbh_u32_e32 v88, v79
	v_cmp_eq_u32_e32 vcc_lo, 0, v90
	v_min_u32_e32 v88, 32, v88
	v_subrev_nc_u32_e32 v89, 28, v88
	v_sub_nc_u32_e32 v88, 29, v88
	v_lshlrev_b32_e32 v78, v89, v78
	v_lshlrev_b32_sdwa v89, v99, v16 dst_sel:DWORD dst_unused:UNUSED_PAD src0_sel:DWORD src1_sel:BYTE_1
	v_cndmask_b32_e32 v88, v90, v88, vcc_lo
	v_and_b32_e32 v78, 7, v78
	v_lshl_add_u32 v88, v88, 23, 0x3b800000
	v_cndmask_b32_e32 v78, v79, v78, vcc_lo
	v_and_b32_e32 v79, 0x80000000, v89
	v_lshlrev_b32_e32 v78, 20, v78
	v_or3_b32 v78, v79, v88, v78
.LBB4_778:                              ;   in Loop: Header=BB4_130 Depth=2
	s_or_b32 exec_lo, exec_lo, s40
	v_add_f32_e32 v78, v76, v78
	v_and_b32_e32 v76, 0x7f800000, v78
	v_cmp_ne_u32_e32 vcc_lo, 0x7f800000, v76
	v_mov_b32_e32 v76, 0x8000
	s_and_saveexec_b32 s40, vcc_lo
	s_cbranch_execz .LBB4_786
; %bb.779:                              ;   in Loop: Header=BB4_130 Depth=2
	v_mov_b32_e32 v76, 0
	s_mov_b32 s41, exec_lo
	v_cmpx_ne_u32_e32 0, v78
	s_cbranch_execz .LBB4_785
; %bb.780:                              ;   in Loop: Header=BB4_130 Depth=2
	v_bfe_u32 v76, v78, 23, 8
	v_and_b32_e32 v79, 0x7fffff, v78
	v_sub_nc_u32_e32 v88, 0x78, v76
	v_cmp_gt_u32_e32 vcc_lo, 0x79, v76
	v_or_b32_e32 v89, 0x800000, v79
	v_cndmask_b32_e32 v88, 0, v88, vcc_lo
	v_cmp_eq_u32_e32 vcc_lo, 0, v76
	v_add_nc_u32_e32 v76, 0xffffff89, v76
	v_cndmask_b32_e64 v88, v88, 0x77, vcc_lo
	v_cndmask_b32_e32 v79, v89, v79, vcc_lo
	v_cndmask_b32_e64 v76, v76, 0xffffff8a, vcc_lo
	v_lshl_add_u32 v89, 0x100000, v88, -1
	v_lshrrev_b32_e32 v90, v88, v79
	v_lshlrev_b32_e64 v92, v88, 0x80000
	v_add_nc_u32_e32 v88, v88, v76
	v_and_b32_e32 v79, v89, v79
	v_bfe_u32 v91, v90, 20, 1
	v_cmp_eq_u32_e64 s13, v79, v92
	v_add_nc_u32_e32 v89, -1, v91
	v_cndmask_b32_e64 v79, 0, v89, s13
	v_lshrrev_b32_e32 v89, 23, v90
	s_mov_b32 s13, exec_lo
	v_add_nc_u32_e32 v79, v79, v90
	v_xor_b32_e32 v89, 1, v89
	v_and_b32_e32 v76, 0xfffff, v79
	v_add_nc_u32_e32 v79, v76, v90
                                        ; implicit-def: $vgpr76
	v_cmpx_ne_u32_e64 v88, v89
	s_xor_b32 s13, exec_lo, s13
; %bb.781:                              ;   in Loop: Header=BB4_130 Depth=2
	v_cmp_lt_u32_e32 vcc_lo, 0xffffff, v79
	v_sub_nc_u32_e32 v76, v88, v89
	v_cndmask_b32_e64 v88, 0, 1, vcc_lo
	v_add_co_ci_u32_e64 v76, null, 0, v76, vcc_lo
	v_lshrrev_b32_e32 v79, v88, v79
; %bb.782:                              ;   in Loop: Header=BB4_130 Depth=2
	s_andn2_saveexec_b32 s13, s13
; %bb.783:                              ;   in Loop: Header=BB4_130 Depth=2
	v_bfe_u32 v76, v79, 23, 1
; %bb.784:                              ;   in Loop: Header=BB4_130 Depth=2
	s_or_b32 exec_lo, exec_lo, s13
	v_lshrrev_b32_e32 v79, 20, v79
	v_min_i32_e32 v88, 15, v76
	v_cmp_gt_i32_e32 vcc_lo, 16, v76
	v_and_b32_sdwa v78, v78, v97 dst_sel:DWORD dst_unused:UNUSED_PAD src0_sel:BYTE_3 src1_sel:DWORD
	v_lshlrev_b32_e32 v88, 3, v88
	v_cndmask_b32_e32 v79, 7, v79, vcc_lo
	v_and_b32_e32 v88, 0xf8, v88
	v_and_b32_e32 v89, 7, v79
	v_or_b32_e32 v76, v76, v79
	v_or3_b32 v78, v78, v88, v89
	v_cmp_ne_u32_e32 vcc_lo, 0, v76
	v_lshlrev_b32_e32 v78, 8, v78
	v_cndmask_b32_e32 v76, 0, v78, vcc_lo
.LBB4_785:                              ;   in Loop: Header=BB4_130 Depth=2
	s_or_b32 exec_lo, exec_lo, s41
.LBB4_786:                              ;   in Loop: Header=BB4_130 Depth=2
	s_or_b32 exec_lo, exec_lo, s40
	v_or_b32_e32 v75, v75, v72
	s_mov_b32 s13, 0
	v_cmp_gt_i16_sdwa s40, v75, v96 src0_sel:BYTE_0 src1_sel:DWORD
	s_and_saveexec_b32 s41, s40
	s_xor_b32 s40, exec_lo, s41
	s_cbranch_execz .LBB4_1328
; %bb.787:                              ;   in Loop: Header=BB4_130 Depth=2
	v_cmp_eq_u16_sdwa s42, v75, v97 src0_sel:BYTE_0 src1_sel:DWORD
	s_mov_b32 s13, -1
	s_and_saveexec_b32 s41, s42
; %bb.788:                              ;   in Loop: Header=BB4_130 Depth=2
	s_xor_b32 s13, exec_lo, -1
; %bb.789:                              ;   in Loop: Header=BB4_130 Depth=2
	s_or_b32 exec_lo, exec_lo, s41
	s_and_b32 s13, s13, exec_lo
	s_or_saveexec_b32 s40, s40
	v_mov_b32_e32 v72, 0x7f800001
	s_xor_b32 exec_lo, exec_lo, s40
	s_cbranch_execnz .LBB4_1329
.LBB4_790:                              ;   in Loop: Header=BB4_130 Depth=2
	s_or_b32 exec_lo, exec_lo, s40
	v_lshl_or_b32 v75, v75, 16, v77
	s_and_saveexec_b32 s40, s13
	s_cbranch_execz .LBB4_792
.LBB4_791:                              ;   in Loop: Header=BB4_130 Depth=2
	v_bfe_u32 v72, v75, 16, 3
	v_bfe_u32 v79, v75, 19, 4
	v_lshlrev_b32_e32 v88, 8, v75
	v_ffbh_u32_e32 v77, v72
	v_cmp_eq_u32_e32 vcc_lo, 0, v79
	v_min_u32_e32 v77, 32, v77
	v_subrev_nc_u32_e32 v78, 28, v77
	v_sub_nc_u32_e32 v77, 29, v77
	v_lshlrev_b32_sdwa v78, v78, v75 dst_sel:DWORD dst_unused:UNUSED_PAD src0_sel:DWORD src1_sel:WORD_1
	v_cndmask_b32_e32 v77, v79, v77, vcc_lo
	v_and_b32_e32 v78, 7, v78
	v_lshl_add_u32 v77, v77, 23, 0x3b800000
	v_cndmask_b32_e32 v72, v72, v78, vcc_lo
	v_and_b32_e32 v78, 0x80000000, v88
	v_lshlrev_b32_e32 v72, 20, v72
	v_or3_b32 v72, v78, v77, v72
.LBB4_792:                              ;   in Loop: Header=BB4_130 Depth=2
	s_or_b32 exec_lo, exec_lo, s40
	v_and_b32_sdwa v78, v16, v100 dst_sel:DWORD dst_unused:UNUSED_PAD src0_sel:WORD_1 src1_sel:DWORD
	s_mov_b32 s13, 0
	s_mov_b32 s40, exec_lo
	v_cmpx_lt_i16_e32 0x7f, v78
	s_xor_b32 s40, exec_lo, s40
	s_cbranch_execz .LBB4_1330
; %bb.793:                              ;   in Loop: Header=BB4_130 Depth=2
	s_mov_b32 s13, -1
	s_mov_b32 s41, exec_lo
	v_cmpx_eq_u16_e32 0x80, v78
; %bb.794:                              ;   in Loop: Header=BB4_130 Depth=2
	s_xor_b32 s13, exec_lo, -1
; %bb.795:                              ;   in Loop: Header=BB4_130 Depth=2
	s_or_b32 exec_lo, exec_lo, s41
	s_and_b32 s13, s13, exec_lo
                                        ; implicit-def: $vgpr78
	s_or_saveexec_b32 s40, s40
	v_mov_b32_e32 v77, 0x7f800001
	s_xor_b32 exec_lo, exec_lo, s40
	s_cbranch_execnz .LBB4_1331
.LBB4_796:                              ;   in Loop: Header=BB4_130 Depth=2
	s_or_b32 exec_lo, exec_lo, s40
	s_and_saveexec_b32 s40, s13
	s_cbranch_execz .LBB4_798
.LBB4_797:                              ;   in Loop: Header=BB4_130 Depth=2
	v_bfe_u32 v77, v16, 16, 3
	v_bfe_u32 v88, v16, 19, 4
	v_lshlrev_b32_e32 v89, 8, v16
	v_ffbh_u32_e32 v78, v77
	v_cmp_eq_u32_e32 vcc_lo, 0, v88
	v_min_u32_e32 v78, 32, v78
	v_subrev_nc_u32_e32 v79, 28, v78
	v_sub_nc_u32_e32 v78, 29, v78
	v_lshlrev_b32_sdwa v79, v79, v16 dst_sel:DWORD dst_unused:UNUSED_PAD src0_sel:DWORD src1_sel:WORD_1
	v_cndmask_b32_e32 v78, v88, v78, vcc_lo
	v_and_b32_e32 v79, 7, v79
	v_lshl_add_u32 v78, v78, 23, 0x3b800000
	v_cndmask_b32_e32 v77, v77, v79, vcc_lo
	v_and_b32_e32 v79, 0x80000000, v89
	v_lshlrev_b32_e32 v77, 20, v77
	v_or3_b32 v77, v79, v78, v77
.LBB4_798:                              ;   in Loop: Header=BB4_130 Depth=2
	s_or_b32 exec_lo, exec_lo, s40
	v_add_f32_e32 v77, v72, v77
	v_and_b32_e32 v72, 0x7f800000, v77
	v_cmp_ne_u32_e32 vcc_lo, 0x7f800000, v72
	v_mov_b32_e32 v72, 0x80
	s_and_saveexec_b32 s40, vcc_lo
	s_cbranch_execz .LBB4_806
; %bb.799:                              ;   in Loop: Header=BB4_130 Depth=2
	v_mov_b32_e32 v72, 0
	s_mov_b32 s41, exec_lo
	v_cmpx_ne_u32_e32 0, v77
	s_cbranch_execz .LBB4_805
; %bb.800:                              ;   in Loop: Header=BB4_130 Depth=2
	v_bfe_u32 v72, v77, 23, 8
	v_and_b32_e32 v78, 0x7fffff, v77
	v_sub_nc_u32_e32 v79, 0x78, v72
	v_cmp_gt_u32_e32 vcc_lo, 0x79, v72
	v_or_b32_e32 v88, 0x800000, v78
	v_cndmask_b32_e32 v79, 0, v79, vcc_lo
	v_cmp_eq_u32_e32 vcc_lo, 0, v72
	v_add_nc_u32_e32 v72, 0xffffff89, v72
	v_cndmask_b32_e64 v79, v79, 0x77, vcc_lo
	v_cndmask_b32_e32 v78, v88, v78, vcc_lo
	v_cndmask_b32_e64 v72, v72, 0xffffff8a, vcc_lo
	v_lshl_add_u32 v88, 0x100000, v79, -1
	v_lshrrev_b32_e32 v89, v79, v78
	v_lshlrev_b32_e64 v91, v79, 0x80000
	v_add_nc_u32_e32 v79, v79, v72
	v_and_b32_e32 v78, v88, v78
	v_bfe_u32 v90, v89, 20, 1
	v_cmp_eq_u32_e64 s13, v78, v91
	v_add_nc_u32_e32 v88, -1, v90
	v_cndmask_b32_e64 v78, 0, v88, s13
	v_lshrrev_b32_e32 v88, 23, v89
	s_mov_b32 s13, exec_lo
	v_add_nc_u32_e32 v78, v78, v89
	v_xor_b32_e32 v88, 1, v88
	v_and_b32_e32 v72, 0xfffff, v78
	v_add_nc_u32_e32 v78, v72, v89
                                        ; implicit-def: $vgpr72
	v_cmpx_ne_u32_e64 v79, v88
	s_xor_b32 s13, exec_lo, s13
; %bb.801:                              ;   in Loop: Header=BB4_130 Depth=2
	v_cmp_lt_u32_e32 vcc_lo, 0xffffff, v78
	v_sub_nc_u32_e32 v72, v79, v88
	v_cndmask_b32_e64 v79, 0, 1, vcc_lo
	v_add_co_ci_u32_e64 v72, null, 0, v72, vcc_lo
	v_lshrrev_b32_e32 v78, v79, v78
; %bb.802:                              ;   in Loop: Header=BB4_130 Depth=2
	s_andn2_saveexec_b32 s13, s13
; %bb.803:                              ;   in Loop: Header=BB4_130 Depth=2
	v_bfe_u32 v72, v78, 23, 1
; %bb.804:                              ;   in Loop: Header=BB4_130 Depth=2
	s_or_b32 exec_lo, exec_lo, s13
	v_lshrrev_b32_e32 v78, 20, v78
	v_min_i32_e32 v79, 15, v72
	v_cmp_gt_i32_e32 vcc_lo, 16, v72
	v_and_b32_sdwa v77, v77, v97 dst_sel:DWORD dst_unused:UNUSED_PAD src0_sel:BYTE_3 src1_sel:DWORD
	v_lshlrev_b32_e32 v79, 3, v79
	v_cndmask_b32_e32 v78, 7, v78, vcc_lo
	v_and_b32_e32 v79, 0xf8, v79
	v_and_b32_e32 v88, 7, v78
	v_or_b32_e32 v72, v72, v78
	v_or3_b32 v77, v79, v77, v88
	v_cmp_ne_u32_e32 vcc_lo, 0, v72
	v_cndmask_b32_e32 v72, 0, v77, vcc_lo
.LBB4_805:                              ;   in Loop: Header=BB4_130 Depth=2
	s_or_b32 exec_lo, exec_lo, s41
.LBB4_806:                              ;   in Loop: Header=BB4_130 Depth=2
	s_or_b32 exec_lo, exec_lo, s40
	v_cmp_gt_i16_sdwa s40, v75, v96 src0_sel:BYTE_3 src1_sel:DWORD
	s_mov_b32 s13, 0
	s_and_saveexec_b32 s41, s40
	s_xor_b32 s40, exec_lo, s41
	s_cbranch_execz .LBB4_1332
; %bb.807:                              ;   in Loop: Header=BB4_130 Depth=2
	v_cmp_eq_u16_sdwa s42, v75, v97 src0_sel:BYTE_3 src1_sel:DWORD
	s_mov_b32 s13, -1
	s_and_saveexec_b32 s41, s42
; %bb.808:                              ;   in Loop: Header=BB4_130 Depth=2
	s_xor_b32 s13, exec_lo, -1
; %bb.809:                              ;   in Loop: Header=BB4_130 Depth=2
	s_or_b32 exec_lo, exec_lo, s41
	s_and_b32 s13, s13, exec_lo
	s_or_saveexec_b32 s40, s40
	v_mov_b32_e32 v77, 0x7f800001
	s_xor_b32 exec_lo, exec_lo, s40
	s_cbranch_execnz .LBB4_1333
.LBB4_810:                              ;   in Loop: Header=BB4_130 Depth=2
	s_or_b32 exec_lo, exec_lo, s40
	s_and_saveexec_b32 s40, s13
	s_cbranch_execz .LBB4_812
.LBB4_811:                              ;   in Loop: Header=BB4_130 Depth=2
	v_bfe_u32 v77, v75, 24, 3
	v_bfe_u32 v88, v75, 27, 4
	v_ffbh_u32_e32 v78, v77
	v_cmp_eq_u32_e32 vcc_lo, 0, v88
	v_min_u32_e32 v78, 32, v78
	v_subrev_nc_u32_e32 v79, 28, v78
	v_sub_nc_u32_e32 v78, 29, v78
	v_lshlrev_b32_sdwa v79, v79, v75 dst_sel:DWORD dst_unused:UNUSED_PAD src0_sel:DWORD src1_sel:BYTE_3
	v_cndmask_b32_e32 v78, v88, v78, vcc_lo
	v_and_b32_e32 v75, 0x80000000, v75
	v_and_b32_e32 v79, 7, v79
	v_lshl_add_u32 v78, v78, 23, 0x3b800000
	v_cndmask_b32_e32 v77, v77, v79, vcc_lo
	v_lshlrev_b32_e32 v77, 20, v77
	v_or3_b32 v77, v75, v78, v77
.LBB4_812:                              ;   in Loop: Header=BB4_130 Depth=2
	s_or_b32 exec_lo, exec_lo, s40
	v_cmp_gt_i16_sdwa s40, v16, v96 src0_sel:BYTE_3 src1_sel:DWORD
	s_mov_b32 s13, 0
	s_and_saveexec_b32 s41, s40
	s_xor_b32 s40, exec_lo, s41
	s_cbranch_execz .LBB4_1334
; %bb.813:                              ;   in Loop: Header=BB4_130 Depth=2
	v_cmp_eq_u16_sdwa s42, v16, v97 src0_sel:BYTE_3 src1_sel:DWORD
	s_mov_b32 s13, -1
	s_and_saveexec_b32 s41, s42
; %bb.814:                              ;   in Loop: Header=BB4_130 Depth=2
	s_xor_b32 s13, exec_lo, -1
; %bb.815:                              ;   in Loop: Header=BB4_130 Depth=2
	s_or_b32 exec_lo, exec_lo, s41
	s_and_b32 s13, s13, exec_lo
	s_or_saveexec_b32 s40, s40
	v_mov_b32_e32 v75, 0x7f800001
	s_xor_b32 exec_lo, exec_lo, s40
	s_cbranch_execnz .LBB4_1335
.LBB4_816:                              ;   in Loop: Header=BB4_130 Depth=2
	s_or_b32 exec_lo, exec_lo, s40
	s_and_saveexec_b32 s40, s13
	s_cbranch_execz .LBB4_818
.LBB4_817:                              ;   in Loop: Header=BB4_130 Depth=2
	v_bfe_u32 v75, v16, 24, 3
	v_bfe_u32 v88, v16, 27, 4
	v_ffbh_u32_e32 v78, v75
	v_cmp_eq_u32_e32 vcc_lo, 0, v88
	v_min_u32_e32 v78, 32, v78
	v_subrev_nc_u32_e32 v79, 28, v78
	v_sub_nc_u32_e32 v78, 29, v78
	v_lshlrev_b32_sdwa v79, v79, v16 dst_sel:DWORD dst_unused:UNUSED_PAD src0_sel:DWORD src1_sel:BYTE_3
	v_cndmask_b32_e32 v78, v88, v78, vcc_lo
	v_and_b32_e32 v16, 0x80000000, v16
	v_and_b32_e32 v79, 7, v79
	v_lshl_add_u32 v78, v78, 23, 0x3b800000
	v_cndmask_b32_e32 v75, v75, v79, vcc_lo
	v_lshlrev_b32_e32 v75, 20, v75
	v_or3_b32 v75, v16, v78, v75
.LBB4_818:                              ;   in Loop: Header=BB4_130 Depth=2
	s_or_b32 exec_lo, exec_lo, s40
	v_add_f32_e32 v75, v77, v75
	v_and_b32_e32 v16, 0x7f800000, v75
	v_cmp_ne_u32_e32 vcc_lo, 0x7f800000, v16
	v_mov_b32_e32 v16, 0x8000
	s_and_saveexec_b32 s40, vcc_lo
	s_cbranch_execz .LBB4_826
; %bb.819:                              ;   in Loop: Header=BB4_130 Depth=2
	v_mov_b32_e32 v16, 0
	s_mov_b32 s41, exec_lo
	v_cmpx_ne_u32_e32 0, v75
	s_cbranch_execz .LBB4_825
; %bb.820:                              ;   in Loop: Header=BB4_130 Depth=2
	v_bfe_u32 v16, v75, 23, 8
	v_and_b32_e32 v77, 0x7fffff, v75
	v_sub_nc_u32_e32 v78, 0x78, v16
	v_cmp_gt_u32_e32 vcc_lo, 0x79, v16
	v_or_b32_e32 v79, 0x800000, v77
	v_cndmask_b32_e32 v78, 0, v78, vcc_lo
	v_cmp_eq_u32_e32 vcc_lo, 0, v16
	v_add_nc_u32_e32 v16, 0xffffff89, v16
	v_cndmask_b32_e64 v78, v78, 0x77, vcc_lo
	v_cndmask_b32_e32 v77, v79, v77, vcc_lo
	v_cndmask_b32_e64 v16, v16, 0xffffff8a, vcc_lo
	v_lshl_add_u32 v79, 0x100000, v78, -1
	v_lshrrev_b32_e32 v88, v78, v77
	v_lshlrev_b32_e64 v90, v78, 0x80000
	v_add_nc_u32_e32 v78, v78, v16
	v_and_b32_e32 v77, v79, v77
	v_bfe_u32 v89, v88, 20, 1
	v_cmp_eq_u32_e64 s13, v77, v90
	v_add_nc_u32_e32 v79, -1, v89
	v_cndmask_b32_e64 v77, 0, v79, s13
	v_lshrrev_b32_e32 v79, 23, v88
	s_mov_b32 s13, exec_lo
	v_add_nc_u32_e32 v77, v77, v88
	v_xor_b32_e32 v79, 1, v79
	v_and_b32_e32 v16, 0xfffff, v77
	v_add_nc_u32_e32 v77, v16, v88
                                        ; implicit-def: $vgpr16
	v_cmpx_ne_u32_e64 v78, v79
	s_xor_b32 s13, exec_lo, s13
; %bb.821:                              ;   in Loop: Header=BB4_130 Depth=2
	v_cmp_lt_u32_e32 vcc_lo, 0xffffff, v77
	v_sub_nc_u32_e32 v16, v78, v79
	v_cndmask_b32_e64 v78, 0, 1, vcc_lo
	v_add_co_ci_u32_e64 v16, null, 0, v16, vcc_lo
	v_lshrrev_b32_e32 v77, v78, v77
; %bb.822:                              ;   in Loop: Header=BB4_130 Depth=2
	s_andn2_saveexec_b32 s13, s13
; %bb.823:                              ;   in Loop: Header=BB4_130 Depth=2
	v_bfe_u32 v16, v77, 23, 1
; %bb.824:                              ;   in Loop: Header=BB4_130 Depth=2
	s_or_b32 exec_lo, exec_lo, s13
	v_lshrrev_b32_e32 v77, 20, v77
	v_min_i32_e32 v78, 15, v16
	v_cmp_gt_i32_e32 vcc_lo, 16, v16
	v_and_b32_sdwa v75, v75, v97 dst_sel:DWORD dst_unused:UNUSED_PAD src0_sel:BYTE_3 src1_sel:DWORD
	v_lshlrev_b32_e32 v78, 3, v78
	v_cndmask_b32_e32 v77, 7, v77, vcc_lo
	v_and_b32_e32 v78, 0xf8, v78
	v_and_b32_e32 v79, 7, v77
	v_or_b32_e32 v16, v16, v77
	v_or3_b32 v75, v75, v78, v79
	v_cmp_ne_u32_e32 vcc_lo, 0, v16
	v_lshlrev_b32_e32 v75, 8, v75
	v_cndmask_b32_e32 v16, 0, v75, vcc_lo
.LBB4_825:                              ;   in Loop: Header=BB4_130 Depth=2
	s_or_b32 exec_lo, exec_lo, s41
.LBB4_826:                              ;   in Loop: Header=BB4_130 Depth=2
	s_or_b32 exec_lo, exec_lo, s40
	v_or_b32_e32 v75, v73, v61
	s_mov_b32 s13, 0
	v_cmp_gt_i16_sdwa s40, v75, v96 src0_sel:BYTE_0 src1_sel:DWORD
	s_and_saveexec_b32 s41, s40
	s_xor_b32 s40, exec_lo, s41
	s_cbranch_execz .LBB4_1336
; %bb.827:                              ;   in Loop: Header=BB4_130 Depth=2
	v_cmp_eq_u16_sdwa s42, v75, v97 src0_sel:BYTE_0 src1_sel:DWORD
	s_mov_b32 s13, -1
	s_and_saveexec_b32 s41, s42
; %bb.828:                              ;   in Loop: Header=BB4_130 Depth=2
	s_xor_b32 s13, exec_lo, -1
; %bb.829:                              ;   in Loop: Header=BB4_130 Depth=2
	s_or_b32 exec_lo, exec_lo, s41
	s_and_b32 s13, s13, exec_lo
	s_or_saveexec_b32 s40, s40
	v_mov_b32_e32 v61, 0x7f800001
	s_xor_b32 exec_lo, exec_lo, s40
	s_cbranch_execnz .LBB4_1337
.LBB4_830:                              ;   in Loop: Header=BB4_130 Depth=2
	s_or_b32 exec_lo, exec_lo, s40
	s_and_saveexec_b32 s40, s13
	s_cbranch_execz .LBB4_832
.LBB4_831:                              ;   in Loop: Header=BB4_130 Depth=2
	v_and_b32_e32 v61, 7, v75
	v_bfe_u32 v78, v75, 3, 4
	v_lshlrev_b32_e32 v79, 24, v75
	v_ffbh_u32_e32 v73, v61
	v_cmp_eq_u32_e32 vcc_lo, 0, v78
	v_min_u32_e32 v73, 32, v73
	v_subrev_nc_u32_e32 v77, 28, v73
	v_sub_nc_u32_e32 v73, 29, v73
	v_lshlrev_b32_e32 v77, v77, v75
	v_cndmask_b32_e32 v73, v78, v73, vcc_lo
	v_and_b32_e32 v77, 7, v77
	v_lshl_add_u32 v73, v73, 23, 0x3b800000
	v_cndmask_b32_e32 v61, v61, v77, vcc_lo
	v_and_b32_e32 v77, 0x80000000, v79
	v_lshlrev_b32_e32 v61, 20, v61
	v_or3_b32 v61, v77, v73, v61
.LBB4_832:                              ;   in Loop: Header=BB4_130 Depth=2
	s_or_b32 exec_lo, exec_lo, s40
	v_cmp_gt_i16_sdwa s40, v17, v96 src0_sel:BYTE_0 src1_sel:DWORD
	s_mov_b32 s13, 0
	s_and_saveexec_b32 s41, s40
	s_xor_b32 s40, exec_lo, s41
	s_cbranch_execz .LBB4_1338
; %bb.833:                              ;   in Loop: Header=BB4_130 Depth=2
	v_cmp_eq_u16_sdwa s42, v17, v97 src0_sel:BYTE_0 src1_sel:DWORD
	s_mov_b32 s13, -1
	s_and_saveexec_b32 s41, s42
; %bb.834:                              ;   in Loop: Header=BB4_130 Depth=2
	s_xor_b32 s13, exec_lo, -1
; %bb.835:                              ;   in Loop: Header=BB4_130 Depth=2
	s_or_b32 exec_lo, exec_lo, s41
	s_and_b32 s13, s13, exec_lo
	s_or_saveexec_b32 s40, s40
	v_mov_b32_e32 v73, 0x7f800001
	s_xor_b32 exec_lo, exec_lo, s40
	s_cbranch_execnz .LBB4_1339
.LBB4_836:                              ;   in Loop: Header=BB4_130 Depth=2
	s_or_b32 exec_lo, exec_lo, s40
	s_and_saveexec_b32 s40, s13
	s_cbranch_execz .LBB4_838
.LBB4_837:                              ;   in Loop: Header=BB4_130 Depth=2
	v_and_b32_e32 v73, 7, v17
	v_bfe_u32 v79, v17, 3, 4
	v_lshlrev_b32_e32 v88, 24, v17
	v_ffbh_u32_e32 v77, v73
	v_cmp_eq_u32_e32 vcc_lo, 0, v79
	v_min_u32_e32 v77, 32, v77
	v_subrev_nc_u32_e32 v78, 28, v77
	v_sub_nc_u32_e32 v77, 29, v77
	v_lshlrev_b32_e32 v78, v78, v17
	v_cndmask_b32_e32 v77, v79, v77, vcc_lo
	v_and_b32_e32 v78, 7, v78
	v_lshl_add_u32 v77, v77, 23, 0x3b800000
	v_cndmask_b32_e32 v73, v73, v78, vcc_lo
	v_and_b32_e32 v78, 0x80000000, v88
	v_lshlrev_b32_e32 v73, 20, v73
	v_or3_b32 v73, v78, v77, v73
.LBB4_838:                              ;   in Loop: Header=BB4_130 Depth=2
	s_or_b32 exec_lo, exec_lo, s40
	v_add_f32_e32 v73, v61, v73
	v_and_b32_e32 v61, 0x7f800000, v73
	v_cmp_ne_u32_e32 vcc_lo, 0x7f800000, v61
	v_mov_b32_e32 v61, 0x80
	s_and_saveexec_b32 s40, vcc_lo
	s_cbranch_execz .LBB4_846
; %bb.839:                              ;   in Loop: Header=BB4_130 Depth=2
	v_mov_b32_e32 v61, 0
	s_mov_b32 s41, exec_lo
	v_cmpx_ne_u32_e32 0, v73
	s_cbranch_execz .LBB4_845
; %bb.840:                              ;   in Loop: Header=BB4_130 Depth=2
	v_bfe_u32 v61, v73, 23, 8
	v_and_b32_e32 v77, 0x7fffff, v73
	v_sub_nc_u32_e32 v78, 0x78, v61
	v_cmp_gt_u32_e32 vcc_lo, 0x79, v61
	v_or_b32_e32 v79, 0x800000, v77
	v_cndmask_b32_e32 v78, 0, v78, vcc_lo
	v_cmp_eq_u32_e32 vcc_lo, 0, v61
	v_add_nc_u32_e32 v61, 0xffffff89, v61
	v_cndmask_b32_e64 v78, v78, 0x77, vcc_lo
	v_cndmask_b32_e32 v77, v79, v77, vcc_lo
	v_cndmask_b32_e64 v61, v61, 0xffffff8a, vcc_lo
	v_lshl_add_u32 v79, 0x100000, v78, -1
	v_lshrrev_b32_e32 v88, v78, v77
	v_lshlrev_b32_e64 v90, v78, 0x80000
	v_add_nc_u32_e32 v78, v78, v61
	v_and_b32_e32 v77, v79, v77
	v_bfe_u32 v89, v88, 20, 1
	v_cmp_eq_u32_e64 s13, v77, v90
	v_add_nc_u32_e32 v79, -1, v89
	v_cndmask_b32_e64 v77, 0, v79, s13
	v_lshrrev_b32_e32 v79, 23, v88
	s_mov_b32 s13, exec_lo
	v_add_nc_u32_e32 v77, v77, v88
	v_xor_b32_e32 v79, 1, v79
	v_and_b32_e32 v61, 0xfffff, v77
	v_add_nc_u32_e32 v77, v61, v88
                                        ; implicit-def: $vgpr61
	v_cmpx_ne_u32_e64 v78, v79
	s_xor_b32 s13, exec_lo, s13
; %bb.841:                              ;   in Loop: Header=BB4_130 Depth=2
	v_cmp_lt_u32_e32 vcc_lo, 0xffffff, v77
	v_sub_nc_u32_e32 v61, v78, v79
	v_cndmask_b32_e64 v78, 0, 1, vcc_lo
	v_add_co_ci_u32_e64 v61, null, 0, v61, vcc_lo
	v_lshrrev_b32_e32 v77, v78, v77
; %bb.842:                              ;   in Loop: Header=BB4_130 Depth=2
	s_andn2_saveexec_b32 s13, s13
; %bb.843:                              ;   in Loop: Header=BB4_130 Depth=2
	v_bfe_u32 v61, v77, 23, 1
; %bb.844:                              ;   in Loop: Header=BB4_130 Depth=2
	s_or_b32 exec_lo, exec_lo, s13
	v_lshrrev_b32_e32 v77, 20, v77
	v_min_i32_e32 v78, 15, v61
	v_cmp_gt_i32_e32 vcc_lo, 16, v61
	v_and_b32_sdwa v73, v73, v97 dst_sel:DWORD dst_unused:UNUSED_PAD src0_sel:BYTE_3 src1_sel:DWORD
	v_lshlrev_b32_e32 v78, 3, v78
	v_cndmask_b32_e32 v77, 7, v77, vcc_lo
	v_and_b32_e32 v78, 0xf8, v78
	v_and_b32_e32 v79, 7, v77
	v_or_b32_e32 v61, v61, v77
	v_or3_b32 v73, v78, v73, v79
	v_cmp_ne_u32_e32 vcc_lo, 0, v61
	v_cndmask_b32_e32 v61, 0, v73, vcc_lo
.LBB4_845:                              ;   in Loop: Header=BB4_130 Depth=2
	s_or_b32 exec_lo, exec_lo, s41
.LBB4_846:                              ;   in Loop: Header=BB4_130 Depth=2
	s_or_b32 exec_lo, exec_lo, s40
	v_cmp_gt_i16_sdwa s40, v75, v96 src0_sel:BYTE_1 src1_sel:DWORD
	s_mov_b32 s13, 0
	s_and_saveexec_b32 s41, s40
	s_xor_b32 s40, exec_lo, s41
	s_cbranch_execz .LBB4_1340
; %bb.847:                              ;   in Loop: Header=BB4_130 Depth=2
	v_cmp_eq_u16_sdwa s42, v75, v97 src0_sel:BYTE_1 src1_sel:DWORD
	s_mov_b32 s13, -1
	s_and_saveexec_b32 s41, s42
; %bb.848:                              ;   in Loop: Header=BB4_130 Depth=2
	s_xor_b32 s13, exec_lo, -1
; %bb.849:                              ;   in Loop: Header=BB4_130 Depth=2
	s_or_b32 exec_lo, exec_lo, s41
	s_and_b32 s13, s13, exec_lo
	s_or_saveexec_b32 s40, s40
	v_mov_b32_e32 v73, 0x7f800001
	s_xor_b32 exec_lo, exec_lo, s40
	s_cbranch_execnz .LBB4_1341
.LBB4_850:                              ;   in Loop: Header=BB4_130 Depth=2
	s_or_b32 exec_lo, exec_lo, s40
	s_and_saveexec_b32 s40, s13
	s_cbranch_execz .LBB4_852
.LBB4_851:                              ;   in Loop: Header=BB4_130 Depth=2
	v_and_b32_sdwa v73, v98, v75 dst_sel:DWORD dst_unused:UNUSED_PAD src0_sel:DWORD src1_sel:BYTE_1
	v_and_b32_e32 v77, 7, v73
	v_bfe_u32 v88, v73, 3, 4
	v_ffbh_u32_e32 v78, v77
	v_cmp_eq_u32_e32 vcc_lo, 0, v88
	v_min_u32_e32 v78, 32, v78
	v_subrev_nc_u32_e32 v79, 28, v78
	v_sub_nc_u32_e32 v78, 29, v78
	v_lshlrev_b32_e32 v73, v79, v73
	v_lshlrev_b32_sdwa v79, v99, v75 dst_sel:DWORD dst_unused:UNUSED_PAD src0_sel:DWORD src1_sel:BYTE_1
	v_cndmask_b32_e32 v78, v88, v78, vcc_lo
	v_and_b32_e32 v73, 7, v73
	v_lshl_add_u32 v78, v78, 23, 0x3b800000
	v_cndmask_b32_e32 v73, v77, v73, vcc_lo
	v_and_b32_e32 v77, 0x80000000, v79
	v_lshlrev_b32_e32 v73, 20, v73
	v_or3_b32 v73, v77, v78, v73
.LBB4_852:                              ;   in Loop: Header=BB4_130 Depth=2
	s_or_b32 exec_lo, exec_lo, s40
	v_cmp_gt_i16_sdwa s40, v17, v96 src0_sel:BYTE_1 src1_sel:DWORD
	s_mov_b32 s13, 0
	s_and_saveexec_b32 s41, s40
	s_xor_b32 s40, exec_lo, s41
	s_cbranch_execz .LBB4_1342
; %bb.853:                              ;   in Loop: Header=BB4_130 Depth=2
	v_cmp_eq_u16_sdwa s42, v17, v97 src0_sel:BYTE_1 src1_sel:DWORD
	s_mov_b32 s13, -1
	s_and_saveexec_b32 s41, s42
; %bb.854:                              ;   in Loop: Header=BB4_130 Depth=2
	s_xor_b32 s13, exec_lo, -1
; %bb.855:                              ;   in Loop: Header=BB4_130 Depth=2
	s_or_b32 exec_lo, exec_lo, s41
	s_and_b32 s13, s13, exec_lo
	s_or_saveexec_b32 s40, s40
	v_mov_b32_e32 v77, 0x7f800001
	s_xor_b32 exec_lo, exec_lo, s40
	s_cbranch_execnz .LBB4_1343
.LBB4_856:                              ;   in Loop: Header=BB4_130 Depth=2
	s_or_b32 exec_lo, exec_lo, s40
	s_and_saveexec_b32 s40, s13
	s_cbranch_execz .LBB4_858
.LBB4_857:                              ;   in Loop: Header=BB4_130 Depth=2
	v_and_b32_sdwa v77, v98, v17 dst_sel:DWORD dst_unused:UNUSED_PAD src0_sel:DWORD src1_sel:BYTE_1
	v_and_b32_e32 v78, 7, v77
	v_bfe_u32 v89, v77, 3, 4
	v_ffbh_u32_e32 v79, v78
	v_cmp_eq_u32_e32 vcc_lo, 0, v89
	v_min_u32_e32 v79, 32, v79
	v_subrev_nc_u32_e32 v88, 28, v79
	v_sub_nc_u32_e32 v79, 29, v79
	v_lshlrev_b32_e32 v77, v88, v77
	v_lshlrev_b32_sdwa v88, v99, v17 dst_sel:DWORD dst_unused:UNUSED_PAD src0_sel:DWORD src1_sel:BYTE_1
	v_cndmask_b32_e32 v79, v89, v79, vcc_lo
	v_and_b32_e32 v77, 7, v77
	v_lshl_add_u32 v79, v79, 23, 0x3b800000
	v_cndmask_b32_e32 v77, v78, v77, vcc_lo
	v_and_b32_e32 v78, 0x80000000, v88
	v_lshlrev_b32_e32 v77, 20, v77
	v_or3_b32 v77, v78, v79, v77
.LBB4_858:                              ;   in Loop: Header=BB4_130 Depth=2
	s_or_b32 exec_lo, exec_lo, s40
	v_add_f32_e32 v77, v73, v77
	v_and_b32_e32 v73, 0x7f800000, v77
	v_cmp_ne_u32_e32 vcc_lo, 0x7f800000, v73
	v_mov_b32_e32 v73, 0x8000
	s_and_saveexec_b32 s40, vcc_lo
	s_cbranch_execz .LBB4_866
; %bb.859:                              ;   in Loop: Header=BB4_130 Depth=2
	v_mov_b32_e32 v73, 0
	s_mov_b32 s41, exec_lo
	v_cmpx_ne_u32_e32 0, v77
	s_cbranch_execz .LBB4_865
; %bb.860:                              ;   in Loop: Header=BB4_130 Depth=2
	v_bfe_u32 v73, v77, 23, 8
	v_and_b32_e32 v78, 0x7fffff, v77
	v_sub_nc_u32_e32 v79, 0x78, v73
	v_cmp_gt_u32_e32 vcc_lo, 0x79, v73
	v_or_b32_e32 v88, 0x800000, v78
	v_cndmask_b32_e32 v79, 0, v79, vcc_lo
	v_cmp_eq_u32_e32 vcc_lo, 0, v73
	v_add_nc_u32_e32 v73, 0xffffff89, v73
	v_cndmask_b32_e64 v79, v79, 0x77, vcc_lo
	v_cndmask_b32_e32 v78, v88, v78, vcc_lo
	v_cndmask_b32_e64 v73, v73, 0xffffff8a, vcc_lo
	v_lshl_add_u32 v88, 0x100000, v79, -1
	v_lshrrev_b32_e32 v89, v79, v78
	v_lshlrev_b32_e64 v91, v79, 0x80000
	v_add_nc_u32_e32 v79, v79, v73
	v_and_b32_e32 v78, v88, v78
	v_bfe_u32 v90, v89, 20, 1
	v_cmp_eq_u32_e64 s13, v78, v91
	v_add_nc_u32_e32 v88, -1, v90
	v_cndmask_b32_e64 v78, 0, v88, s13
	v_lshrrev_b32_e32 v88, 23, v89
	s_mov_b32 s13, exec_lo
	v_add_nc_u32_e32 v78, v78, v89
	v_xor_b32_e32 v88, 1, v88
	v_and_b32_e32 v73, 0xfffff, v78
	v_add_nc_u32_e32 v78, v73, v89
                                        ; implicit-def: $vgpr73
	v_cmpx_ne_u32_e64 v79, v88
	s_xor_b32 s13, exec_lo, s13
; %bb.861:                              ;   in Loop: Header=BB4_130 Depth=2
	v_cmp_lt_u32_e32 vcc_lo, 0xffffff, v78
	v_sub_nc_u32_e32 v73, v79, v88
	v_cndmask_b32_e64 v79, 0, 1, vcc_lo
	v_add_co_ci_u32_e64 v73, null, 0, v73, vcc_lo
	v_lshrrev_b32_e32 v78, v79, v78
; %bb.862:                              ;   in Loop: Header=BB4_130 Depth=2
	s_andn2_saveexec_b32 s13, s13
; %bb.863:                              ;   in Loop: Header=BB4_130 Depth=2
	v_bfe_u32 v73, v78, 23, 1
; %bb.864:                              ;   in Loop: Header=BB4_130 Depth=2
	s_or_b32 exec_lo, exec_lo, s13
	v_lshrrev_b32_e32 v78, 20, v78
	v_min_i32_e32 v79, 15, v73
	v_cmp_gt_i32_e32 vcc_lo, 16, v73
	v_and_b32_sdwa v77, v77, v97 dst_sel:DWORD dst_unused:UNUSED_PAD src0_sel:BYTE_3 src1_sel:DWORD
	v_lshlrev_b32_e32 v79, 3, v79
	v_cndmask_b32_e32 v78, 7, v78, vcc_lo
	v_and_b32_e32 v79, 0xf8, v79
	v_and_b32_e32 v88, 7, v78
	v_or_b32_e32 v73, v73, v78
	v_or3_b32 v77, v77, v79, v88
	v_cmp_ne_u32_e32 vcc_lo, 0, v73
	v_lshlrev_b32_e32 v77, 8, v77
	v_cndmask_b32_e32 v73, 0, v77, vcc_lo
.LBB4_865:                              ;   in Loop: Header=BB4_130 Depth=2
	s_or_b32 exec_lo, exec_lo, s41
.LBB4_866:                              ;   in Loop: Header=BB4_130 Depth=2
	s_or_b32 exec_lo, exec_lo, s40
	v_or_b32_e32 v62, v62, v58
	s_mov_b32 s13, 0
	v_cmp_gt_i16_sdwa s40, v62, v96 src0_sel:BYTE_0 src1_sel:DWORD
	s_and_saveexec_b32 s41, s40
	s_xor_b32 s40, exec_lo, s41
	s_cbranch_execz .LBB4_1344
; %bb.867:                              ;   in Loop: Header=BB4_130 Depth=2
	v_cmp_eq_u16_sdwa s42, v62, v97 src0_sel:BYTE_0 src1_sel:DWORD
	s_mov_b32 s13, -1
	s_and_saveexec_b32 s41, s42
; %bb.868:                              ;   in Loop: Header=BB4_130 Depth=2
	s_xor_b32 s13, exec_lo, -1
; %bb.869:                              ;   in Loop: Header=BB4_130 Depth=2
	s_or_b32 exec_lo, exec_lo, s41
	s_and_b32 s13, s13, exec_lo
	s_or_saveexec_b32 s40, s40
	v_mov_b32_e32 v58, 0x7f800001
	s_xor_b32 exec_lo, exec_lo, s40
	s_cbranch_execnz .LBB4_1345
.LBB4_870:                              ;   in Loop: Header=BB4_130 Depth=2
	s_or_b32 exec_lo, exec_lo, s40
	v_lshl_or_b32 v62, v62, 16, v75
	s_and_saveexec_b32 s40, s13
	s_cbranch_execz .LBB4_872
.LBB4_871:                              ;   in Loop: Header=BB4_130 Depth=2
	v_bfe_u32 v58, v62, 16, 3
	v_bfe_u32 v78, v62, 19, 4
	v_lshlrev_b32_e32 v79, 8, v62
	v_ffbh_u32_e32 v75, v58
	v_cmp_eq_u32_e32 vcc_lo, 0, v78
	v_min_u32_e32 v75, 32, v75
	v_subrev_nc_u32_e32 v77, 28, v75
	v_sub_nc_u32_e32 v75, 29, v75
	v_lshlrev_b32_sdwa v77, v77, v62 dst_sel:DWORD dst_unused:UNUSED_PAD src0_sel:DWORD src1_sel:WORD_1
	v_cndmask_b32_e32 v75, v78, v75, vcc_lo
	v_and_b32_e32 v77, 7, v77
	v_lshl_add_u32 v75, v75, 23, 0x3b800000
	v_cndmask_b32_e32 v58, v58, v77, vcc_lo
	v_and_b32_e32 v77, 0x80000000, v79
	v_lshlrev_b32_e32 v58, 20, v58
	v_or3_b32 v58, v77, v75, v58
.LBB4_872:                              ;   in Loop: Header=BB4_130 Depth=2
	s_or_b32 exec_lo, exec_lo, s40
	v_and_b32_sdwa v77, v17, v100 dst_sel:DWORD dst_unused:UNUSED_PAD src0_sel:WORD_1 src1_sel:DWORD
	s_mov_b32 s13, 0
	s_mov_b32 s40, exec_lo
	v_cmpx_lt_i16_e32 0x7f, v77
	s_xor_b32 s40, exec_lo, s40
	s_cbranch_execz .LBB4_1346
; %bb.873:                              ;   in Loop: Header=BB4_130 Depth=2
	s_mov_b32 s13, -1
	s_mov_b32 s41, exec_lo
	v_cmpx_eq_u16_e32 0x80, v77
; %bb.874:                              ;   in Loop: Header=BB4_130 Depth=2
	s_xor_b32 s13, exec_lo, -1
; %bb.875:                              ;   in Loop: Header=BB4_130 Depth=2
	s_or_b32 exec_lo, exec_lo, s41
	s_and_b32 s13, s13, exec_lo
                                        ; implicit-def: $vgpr77
	s_or_saveexec_b32 s40, s40
	v_mov_b32_e32 v75, 0x7f800001
	s_xor_b32 exec_lo, exec_lo, s40
	s_cbranch_execnz .LBB4_1347
.LBB4_876:                              ;   in Loop: Header=BB4_130 Depth=2
	s_or_b32 exec_lo, exec_lo, s40
	s_and_saveexec_b32 s40, s13
	s_cbranch_execz .LBB4_878
.LBB4_877:                              ;   in Loop: Header=BB4_130 Depth=2
	v_bfe_u32 v75, v17, 16, 3
	v_bfe_u32 v79, v17, 19, 4
	v_lshlrev_b32_e32 v88, 8, v17
	v_ffbh_u32_e32 v77, v75
	v_cmp_eq_u32_e32 vcc_lo, 0, v79
	v_min_u32_e32 v77, 32, v77
	v_subrev_nc_u32_e32 v78, 28, v77
	v_sub_nc_u32_e32 v77, 29, v77
	v_lshlrev_b32_sdwa v78, v78, v17 dst_sel:DWORD dst_unused:UNUSED_PAD src0_sel:DWORD src1_sel:WORD_1
	v_cndmask_b32_e32 v77, v79, v77, vcc_lo
	v_and_b32_e32 v78, 7, v78
	v_lshl_add_u32 v77, v77, 23, 0x3b800000
	v_cndmask_b32_e32 v75, v75, v78, vcc_lo
	v_and_b32_e32 v78, 0x80000000, v88
	v_lshlrev_b32_e32 v75, 20, v75
	v_or3_b32 v75, v78, v77, v75
.LBB4_878:                              ;   in Loop: Header=BB4_130 Depth=2
	s_or_b32 exec_lo, exec_lo, s40
	v_add_f32_e32 v75, v58, v75
	v_and_b32_e32 v58, 0x7f800000, v75
	v_cmp_ne_u32_e32 vcc_lo, 0x7f800000, v58
	v_mov_b32_e32 v58, 0x80
	s_and_saveexec_b32 s40, vcc_lo
	s_cbranch_execz .LBB4_886
; %bb.879:                              ;   in Loop: Header=BB4_130 Depth=2
	v_mov_b32_e32 v58, 0
	s_mov_b32 s41, exec_lo
	v_cmpx_ne_u32_e32 0, v75
	s_cbranch_execz .LBB4_885
; %bb.880:                              ;   in Loop: Header=BB4_130 Depth=2
	v_bfe_u32 v58, v75, 23, 8
	v_and_b32_e32 v77, 0x7fffff, v75
	v_sub_nc_u32_e32 v78, 0x78, v58
	v_cmp_gt_u32_e32 vcc_lo, 0x79, v58
	v_or_b32_e32 v79, 0x800000, v77
	v_cndmask_b32_e32 v78, 0, v78, vcc_lo
	v_cmp_eq_u32_e32 vcc_lo, 0, v58
	v_add_nc_u32_e32 v58, 0xffffff89, v58
	v_cndmask_b32_e64 v78, v78, 0x77, vcc_lo
	v_cndmask_b32_e32 v77, v79, v77, vcc_lo
	v_cndmask_b32_e64 v58, v58, 0xffffff8a, vcc_lo
	v_lshl_add_u32 v79, 0x100000, v78, -1
	v_lshrrev_b32_e32 v88, v78, v77
	v_lshlrev_b32_e64 v90, v78, 0x80000
	v_add_nc_u32_e32 v78, v78, v58
	v_and_b32_e32 v77, v79, v77
	v_bfe_u32 v89, v88, 20, 1
	v_cmp_eq_u32_e64 s13, v77, v90
	v_add_nc_u32_e32 v79, -1, v89
	v_cndmask_b32_e64 v77, 0, v79, s13
	v_lshrrev_b32_e32 v79, 23, v88
	s_mov_b32 s13, exec_lo
	v_add_nc_u32_e32 v77, v77, v88
	v_xor_b32_e32 v79, 1, v79
	v_and_b32_e32 v58, 0xfffff, v77
	v_add_nc_u32_e32 v77, v58, v88
                                        ; implicit-def: $vgpr58
	v_cmpx_ne_u32_e64 v78, v79
	s_xor_b32 s13, exec_lo, s13
; %bb.881:                              ;   in Loop: Header=BB4_130 Depth=2
	v_cmp_lt_u32_e32 vcc_lo, 0xffffff, v77
	v_sub_nc_u32_e32 v58, v78, v79
	v_cndmask_b32_e64 v78, 0, 1, vcc_lo
	v_add_co_ci_u32_e64 v58, null, 0, v58, vcc_lo
	v_lshrrev_b32_e32 v77, v78, v77
; %bb.882:                              ;   in Loop: Header=BB4_130 Depth=2
	s_andn2_saveexec_b32 s13, s13
; %bb.883:                              ;   in Loop: Header=BB4_130 Depth=2
	v_bfe_u32 v58, v77, 23, 1
; %bb.884:                              ;   in Loop: Header=BB4_130 Depth=2
	s_or_b32 exec_lo, exec_lo, s13
	v_lshrrev_b32_e32 v77, 20, v77
	v_min_i32_e32 v78, 15, v58
	v_cmp_gt_i32_e32 vcc_lo, 16, v58
	v_and_b32_sdwa v75, v75, v97 dst_sel:DWORD dst_unused:UNUSED_PAD src0_sel:BYTE_3 src1_sel:DWORD
	v_lshlrev_b32_e32 v78, 3, v78
	v_cndmask_b32_e32 v77, 7, v77, vcc_lo
	v_and_b32_e32 v78, 0xf8, v78
	v_and_b32_e32 v79, 7, v77
	v_or_b32_e32 v58, v58, v77
	v_or3_b32 v75, v78, v75, v79
	v_cmp_ne_u32_e32 vcc_lo, 0, v58
	v_cndmask_b32_e32 v58, 0, v75, vcc_lo
.LBB4_885:                              ;   in Loop: Header=BB4_130 Depth=2
	s_or_b32 exec_lo, exec_lo, s41
.LBB4_886:                              ;   in Loop: Header=BB4_130 Depth=2
	s_or_b32 exec_lo, exec_lo, s40
	v_cmp_gt_i16_sdwa s40, v62, v96 src0_sel:BYTE_3 src1_sel:DWORD
	s_mov_b32 s13, 0
	s_and_saveexec_b32 s41, s40
	s_xor_b32 s40, exec_lo, s41
	s_cbranch_execz .LBB4_1348
; %bb.887:                              ;   in Loop: Header=BB4_130 Depth=2
	v_cmp_eq_u16_sdwa s42, v62, v97 src0_sel:BYTE_3 src1_sel:DWORD
	s_mov_b32 s13, -1
	s_and_saveexec_b32 s41, s42
; %bb.888:                              ;   in Loop: Header=BB4_130 Depth=2
	s_xor_b32 s13, exec_lo, -1
; %bb.889:                              ;   in Loop: Header=BB4_130 Depth=2
	s_or_b32 exec_lo, exec_lo, s41
	s_and_b32 s13, s13, exec_lo
	s_or_saveexec_b32 s40, s40
	v_mov_b32_e32 v75, 0x7f800001
	s_xor_b32 exec_lo, exec_lo, s40
	s_cbranch_execnz .LBB4_1349
.LBB4_890:                              ;   in Loop: Header=BB4_130 Depth=2
	s_or_b32 exec_lo, exec_lo, s40
	s_and_saveexec_b32 s40, s13
	s_cbranch_execz .LBB4_892
.LBB4_891:                              ;   in Loop: Header=BB4_130 Depth=2
	v_bfe_u32 v75, v62, 24, 3
	v_bfe_u32 v79, v62, 27, 4
	v_ffbh_u32_e32 v77, v75
	v_cmp_eq_u32_e32 vcc_lo, 0, v79
	v_min_u32_e32 v77, 32, v77
	v_subrev_nc_u32_e32 v78, 28, v77
	v_sub_nc_u32_e32 v77, 29, v77
	v_lshlrev_b32_sdwa v78, v78, v62 dst_sel:DWORD dst_unused:UNUSED_PAD src0_sel:DWORD src1_sel:BYTE_3
	v_cndmask_b32_e32 v77, v79, v77, vcc_lo
	v_and_b32_e32 v62, 0x80000000, v62
	v_and_b32_e32 v78, 7, v78
	v_lshl_add_u32 v77, v77, 23, 0x3b800000
	v_cndmask_b32_e32 v75, v75, v78, vcc_lo
	v_lshlrev_b32_e32 v75, 20, v75
	v_or3_b32 v75, v62, v77, v75
.LBB4_892:                              ;   in Loop: Header=BB4_130 Depth=2
	s_or_b32 exec_lo, exec_lo, s40
	v_cmp_gt_i16_sdwa s40, v17, v96 src0_sel:BYTE_3 src1_sel:DWORD
	s_mov_b32 s13, 0
	s_and_saveexec_b32 s41, s40
	s_xor_b32 s40, exec_lo, s41
	s_cbranch_execz .LBB4_1350
; %bb.893:                              ;   in Loop: Header=BB4_130 Depth=2
	v_cmp_eq_u16_sdwa s42, v17, v97 src0_sel:BYTE_3 src1_sel:DWORD
	s_mov_b32 s13, -1
	s_and_saveexec_b32 s41, s42
; %bb.894:                              ;   in Loop: Header=BB4_130 Depth=2
	s_xor_b32 s13, exec_lo, -1
; %bb.895:                              ;   in Loop: Header=BB4_130 Depth=2
	s_or_b32 exec_lo, exec_lo, s41
	s_and_b32 s13, s13, exec_lo
	s_or_saveexec_b32 s40, s40
	v_mov_b32_e32 v62, 0x7f800001
	s_xor_b32 exec_lo, exec_lo, s40
	s_cbranch_execnz .LBB4_1351
.LBB4_896:                              ;   in Loop: Header=BB4_130 Depth=2
	s_or_b32 exec_lo, exec_lo, s40
	s_and_saveexec_b32 s40, s13
	s_cbranch_execz .LBB4_898
.LBB4_897:                              ;   in Loop: Header=BB4_130 Depth=2
	v_bfe_u32 v62, v17, 24, 3
	v_bfe_u32 v79, v17, 27, 4
	v_ffbh_u32_e32 v77, v62
	v_cmp_eq_u32_e32 vcc_lo, 0, v79
	v_min_u32_e32 v77, 32, v77
	v_subrev_nc_u32_e32 v78, 28, v77
	v_sub_nc_u32_e32 v77, 29, v77
	v_lshlrev_b32_sdwa v78, v78, v17 dst_sel:DWORD dst_unused:UNUSED_PAD src0_sel:DWORD src1_sel:BYTE_3
	v_cndmask_b32_e32 v77, v79, v77, vcc_lo
	v_and_b32_e32 v17, 0x80000000, v17
	v_and_b32_e32 v78, 7, v78
	v_lshl_add_u32 v77, v77, 23, 0x3b800000
	v_cndmask_b32_e32 v62, v62, v78, vcc_lo
	v_lshlrev_b32_e32 v62, 20, v62
	v_or3_b32 v62, v17, v77, v62
.LBB4_898:                              ;   in Loop: Header=BB4_130 Depth=2
	s_or_b32 exec_lo, exec_lo, s40
	v_add_f32_e32 v62, v75, v62
	v_and_b32_e32 v17, 0x7f800000, v62
	v_cmp_ne_u32_e32 vcc_lo, 0x7f800000, v17
	v_mov_b32_e32 v17, 0x8000
	s_and_saveexec_b32 s40, vcc_lo
	s_cbranch_execz .LBB4_906
; %bb.899:                              ;   in Loop: Header=BB4_130 Depth=2
	v_mov_b32_e32 v17, 0
	s_mov_b32 s41, exec_lo
	v_cmpx_ne_u32_e32 0, v62
	s_cbranch_execz .LBB4_905
; %bb.900:                              ;   in Loop: Header=BB4_130 Depth=2
	v_bfe_u32 v17, v62, 23, 8
	v_and_b32_e32 v75, 0x7fffff, v62
	v_sub_nc_u32_e32 v77, 0x78, v17
	v_cmp_gt_u32_e32 vcc_lo, 0x79, v17
	v_or_b32_e32 v78, 0x800000, v75
	v_cndmask_b32_e32 v77, 0, v77, vcc_lo
	v_cmp_eq_u32_e32 vcc_lo, 0, v17
	v_add_nc_u32_e32 v17, 0xffffff89, v17
	v_cndmask_b32_e64 v77, v77, 0x77, vcc_lo
	v_cndmask_b32_e32 v75, v78, v75, vcc_lo
	v_cndmask_b32_e64 v17, v17, 0xffffff8a, vcc_lo
	v_lshl_add_u32 v78, 0x100000, v77, -1
	v_lshrrev_b32_e32 v79, v77, v75
	v_lshlrev_b32_e64 v89, v77, 0x80000
	v_add_nc_u32_e32 v77, v77, v17
	v_and_b32_e32 v75, v78, v75
	v_bfe_u32 v88, v79, 20, 1
	v_cmp_eq_u32_e64 s13, v75, v89
	v_add_nc_u32_e32 v78, -1, v88
	v_cndmask_b32_e64 v75, 0, v78, s13
	v_lshrrev_b32_e32 v78, 23, v79
	s_mov_b32 s13, exec_lo
	v_add_nc_u32_e32 v75, v75, v79
	v_xor_b32_e32 v78, 1, v78
	v_and_b32_e32 v17, 0xfffff, v75
	v_add_nc_u32_e32 v75, v17, v79
                                        ; implicit-def: $vgpr17
	v_cmpx_ne_u32_e64 v77, v78
	s_xor_b32 s13, exec_lo, s13
; %bb.901:                              ;   in Loop: Header=BB4_130 Depth=2
	v_cmp_lt_u32_e32 vcc_lo, 0xffffff, v75
	v_sub_nc_u32_e32 v17, v77, v78
	v_cndmask_b32_e64 v77, 0, 1, vcc_lo
	v_add_co_ci_u32_e64 v17, null, 0, v17, vcc_lo
	v_lshrrev_b32_e32 v75, v77, v75
; %bb.902:                              ;   in Loop: Header=BB4_130 Depth=2
	s_andn2_saveexec_b32 s13, s13
; %bb.903:                              ;   in Loop: Header=BB4_130 Depth=2
	v_bfe_u32 v17, v75, 23, 1
; %bb.904:                              ;   in Loop: Header=BB4_130 Depth=2
	s_or_b32 exec_lo, exec_lo, s13
	v_lshrrev_b32_e32 v75, 20, v75
	v_min_i32_e32 v77, 15, v17
	v_cmp_gt_i32_e32 vcc_lo, 16, v17
	v_and_b32_sdwa v62, v62, v97 dst_sel:DWORD dst_unused:UNUSED_PAD src0_sel:BYTE_3 src1_sel:DWORD
	v_lshlrev_b32_e32 v77, 3, v77
	v_cndmask_b32_e32 v75, 7, v75, vcc_lo
	v_and_b32_e32 v77, 0xf8, v77
	v_and_b32_e32 v78, 7, v75
	v_or_b32_e32 v17, v17, v75
	v_or3_b32 v62, v62, v77, v78
	v_cmp_ne_u32_e32 vcc_lo, 0, v17
	v_lshlrev_b32_e32 v62, 8, v62
	v_cndmask_b32_e32 v17, 0, v62, vcc_lo
.LBB4_905:                              ;   in Loop: Header=BB4_130 Depth=2
	s_or_b32 exec_lo, exec_lo, s41
.LBB4_906:                              ;   in Loop: Header=BB4_130 Depth=2
	s_or_b32 exec_lo, exec_lo, s40
	v_or_b32_e32 v62, v60, v56
	s_mov_b32 s13, 0
	v_cmp_gt_i16_sdwa s40, v62, v96 src0_sel:BYTE_0 src1_sel:DWORD
	s_and_saveexec_b32 s41, s40
	s_xor_b32 s40, exec_lo, s41
	s_cbranch_execz .LBB4_1352
; %bb.907:                              ;   in Loop: Header=BB4_130 Depth=2
	v_cmp_eq_u16_sdwa s42, v62, v97 src0_sel:BYTE_0 src1_sel:DWORD
	s_mov_b32 s13, -1
	s_and_saveexec_b32 s41, s42
; %bb.908:                              ;   in Loop: Header=BB4_130 Depth=2
	s_xor_b32 s13, exec_lo, -1
; %bb.909:                              ;   in Loop: Header=BB4_130 Depth=2
	s_or_b32 exec_lo, exec_lo, s41
	s_and_b32 s13, s13, exec_lo
	s_or_saveexec_b32 s40, s40
	v_mov_b32_e32 v56, 0x7f800001
	s_xor_b32 exec_lo, exec_lo, s40
	s_cbranch_execnz .LBB4_1353
.LBB4_910:                              ;   in Loop: Header=BB4_130 Depth=2
	s_or_b32 exec_lo, exec_lo, s40
	s_and_saveexec_b32 s40, s13
	s_cbranch_execz .LBB4_912
.LBB4_911:                              ;   in Loop: Header=BB4_130 Depth=2
	v_and_b32_e32 v56, 7, v62
	v_bfe_u32 v77, v62, 3, 4
	v_lshlrev_b32_e32 v78, 24, v62
	v_ffbh_u32_e32 v60, v56
	v_cmp_eq_u32_e32 vcc_lo, 0, v77
	v_min_u32_e32 v60, 32, v60
	v_subrev_nc_u32_e32 v75, 28, v60
	v_sub_nc_u32_e32 v60, 29, v60
	v_lshlrev_b32_e32 v75, v75, v62
	v_cndmask_b32_e32 v60, v77, v60, vcc_lo
	v_and_b32_e32 v75, 7, v75
	v_lshl_add_u32 v60, v60, 23, 0x3b800000
	v_cndmask_b32_e32 v56, v56, v75, vcc_lo
	v_and_b32_e32 v75, 0x80000000, v78
	v_lshlrev_b32_e32 v56, 20, v56
	v_or3_b32 v56, v75, v60, v56
.LBB4_912:                              ;   in Loop: Header=BB4_130 Depth=2
	s_or_b32 exec_lo, exec_lo, s40
	s_waitcnt vmcnt(0)
	v_cmp_gt_i16_sdwa s40, v10, v96 src0_sel:BYTE_0 src1_sel:DWORD
	s_mov_b32 s13, 0
	s_and_saveexec_b32 s41, s40
	s_xor_b32 s40, exec_lo, s41
	s_cbranch_execz .LBB4_1354
; %bb.913:                              ;   in Loop: Header=BB4_130 Depth=2
	v_cmp_eq_u16_sdwa s42, v10, v97 src0_sel:BYTE_0 src1_sel:DWORD
	s_mov_b32 s13, -1
	s_and_saveexec_b32 s41, s42
; %bb.914:                              ;   in Loop: Header=BB4_130 Depth=2
	s_xor_b32 s13, exec_lo, -1
; %bb.915:                              ;   in Loop: Header=BB4_130 Depth=2
	s_or_b32 exec_lo, exec_lo, s41
	s_and_b32 s13, s13, exec_lo
	s_or_saveexec_b32 s40, s40
	v_mov_b32_e32 v60, 0x7f800001
	s_xor_b32 exec_lo, exec_lo, s40
	s_cbranch_execnz .LBB4_1355
.LBB4_916:                              ;   in Loop: Header=BB4_130 Depth=2
	s_or_b32 exec_lo, exec_lo, s40
	s_and_saveexec_b32 s40, s13
	s_cbranch_execz .LBB4_918
.LBB4_917:                              ;   in Loop: Header=BB4_130 Depth=2
	v_and_b32_e32 v60, 7, v10
	v_bfe_u32 v78, v10, 3, 4
	v_lshlrev_b32_e32 v79, 24, v10
	v_ffbh_u32_e32 v75, v60
	v_cmp_eq_u32_e32 vcc_lo, 0, v78
	v_min_u32_e32 v75, 32, v75
	v_subrev_nc_u32_e32 v77, 28, v75
	v_sub_nc_u32_e32 v75, 29, v75
	v_lshlrev_b32_e32 v77, v77, v10
	v_cndmask_b32_e32 v75, v78, v75, vcc_lo
	v_and_b32_e32 v77, 7, v77
	v_lshl_add_u32 v75, v75, 23, 0x3b800000
	v_cndmask_b32_e32 v60, v60, v77, vcc_lo
	v_and_b32_e32 v77, 0x80000000, v79
	v_lshlrev_b32_e32 v60, 20, v60
	v_or3_b32 v60, v77, v75, v60
.LBB4_918:                              ;   in Loop: Header=BB4_130 Depth=2
	s_or_b32 exec_lo, exec_lo, s40
	v_add_f32_e32 v60, v56, v60
	v_and_b32_e32 v56, 0x7f800000, v60
	v_cmp_ne_u32_e32 vcc_lo, 0x7f800000, v56
	v_mov_b32_e32 v56, 0x80
	s_and_saveexec_b32 s40, vcc_lo
	s_cbranch_execz .LBB4_926
; %bb.919:                              ;   in Loop: Header=BB4_130 Depth=2
	v_mov_b32_e32 v56, 0
	s_mov_b32 s41, exec_lo
	v_cmpx_ne_u32_e32 0, v60
	s_cbranch_execz .LBB4_925
; %bb.920:                              ;   in Loop: Header=BB4_130 Depth=2
	v_bfe_u32 v56, v60, 23, 8
	v_and_b32_e32 v75, 0x7fffff, v60
	v_sub_nc_u32_e32 v77, 0x78, v56
	v_cmp_gt_u32_e32 vcc_lo, 0x79, v56
	v_or_b32_e32 v78, 0x800000, v75
	v_cndmask_b32_e32 v77, 0, v77, vcc_lo
	v_cmp_eq_u32_e32 vcc_lo, 0, v56
	v_add_nc_u32_e32 v56, 0xffffff89, v56
	v_cndmask_b32_e64 v77, v77, 0x77, vcc_lo
	v_cndmask_b32_e32 v75, v78, v75, vcc_lo
	v_cndmask_b32_e64 v56, v56, 0xffffff8a, vcc_lo
	v_lshl_add_u32 v78, 0x100000, v77, -1
	v_lshrrev_b32_e32 v79, v77, v75
	v_lshlrev_b32_e64 v89, v77, 0x80000
	v_add_nc_u32_e32 v77, v77, v56
	v_and_b32_e32 v75, v78, v75
	v_bfe_u32 v88, v79, 20, 1
	v_cmp_eq_u32_e64 s13, v75, v89
	v_add_nc_u32_e32 v78, -1, v88
	v_cndmask_b32_e64 v75, 0, v78, s13
	v_lshrrev_b32_e32 v78, 23, v79
	s_mov_b32 s13, exec_lo
	v_add_nc_u32_e32 v75, v75, v79
	v_xor_b32_e32 v78, 1, v78
	v_and_b32_e32 v56, 0xfffff, v75
	v_add_nc_u32_e32 v75, v56, v79
                                        ; implicit-def: $vgpr56
	v_cmpx_ne_u32_e64 v77, v78
	s_xor_b32 s13, exec_lo, s13
; %bb.921:                              ;   in Loop: Header=BB4_130 Depth=2
	v_cmp_lt_u32_e32 vcc_lo, 0xffffff, v75
	v_sub_nc_u32_e32 v56, v77, v78
	v_cndmask_b32_e64 v77, 0, 1, vcc_lo
	v_add_co_ci_u32_e64 v56, null, 0, v56, vcc_lo
	v_lshrrev_b32_e32 v75, v77, v75
; %bb.922:                              ;   in Loop: Header=BB4_130 Depth=2
	s_andn2_saveexec_b32 s13, s13
; %bb.923:                              ;   in Loop: Header=BB4_130 Depth=2
	v_bfe_u32 v56, v75, 23, 1
; %bb.924:                              ;   in Loop: Header=BB4_130 Depth=2
	s_or_b32 exec_lo, exec_lo, s13
	v_lshrrev_b32_e32 v75, 20, v75
	v_min_i32_e32 v77, 15, v56
	v_cmp_gt_i32_e32 vcc_lo, 16, v56
	v_and_b32_sdwa v60, v60, v97 dst_sel:DWORD dst_unused:UNUSED_PAD src0_sel:BYTE_3 src1_sel:DWORD
	v_lshlrev_b32_e32 v77, 3, v77
	v_cndmask_b32_e32 v75, 7, v75, vcc_lo
	v_and_b32_e32 v77, 0xf8, v77
	v_and_b32_e32 v78, 7, v75
	v_or_b32_e32 v56, v56, v75
	v_or3_b32 v60, v77, v60, v78
	v_cmp_ne_u32_e32 vcc_lo, 0, v56
	v_cndmask_b32_e32 v56, 0, v60, vcc_lo
.LBB4_925:                              ;   in Loop: Header=BB4_130 Depth=2
	s_or_b32 exec_lo, exec_lo, s41
.LBB4_926:                              ;   in Loop: Header=BB4_130 Depth=2
	s_or_b32 exec_lo, exec_lo, s40
	v_cmp_gt_i16_sdwa s40, v62, v96 src0_sel:BYTE_1 src1_sel:DWORD
	s_mov_b32 s13, 0
	s_and_saveexec_b32 s41, s40
	s_xor_b32 s40, exec_lo, s41
	s_cbranch_execz .LBB4_1356
; %bb.927:                              ;   in Loop: Header=BB4_130 Depth=2
	v_cmp_eq_u16_sdwa s42, v62, v97 src0_sel:BYTE_1 src1_sel:DWORD
	s_mov_b32 s13, -1
	s_and_saveexec_b32 s41, s42
; %bb.928:                              ;   in Loop: Header=BB4_130 Depth=2
	s_xor_b32 s13, exec_lo, -1
; %bb.929:                              ;   in Loop: Header=BB4_130 Depth=2
	s_or_b32 exec_lo, exec_lo, s41
	s_and_b32 s13, s13, exec_lo
	s_or_saveexec_b32 s40, s40
	v_mov_b32_e32 v60, 0x7f800001
	s_xor_b32 exec_lo, exec_lo, s40
	s_cbranch_execnz .LBB4_1357
.LBB4_930:                              ;   in Loop: Header=BB4_130 Depth=2
	s_or_b32 exec_lo, exec_lo, s40
	s_and_saveexec_b32 s40, s13
	s_cbranch_execz .LBB4_932
.LBB4_931:                              ;   in Loop: Header=BB4_130 Depth=2
	v_and_b32_sdwa v60, v98, v62 dst_sel:DWORD dst_unused:UNUSED_PAD src0_sel:DWORD src1_sel:BYTE_1
	v_and_b32_e32 v75, 7, v60
	v_bfe_u32 v79, v60, 3, 4
	v_ffbh_u32_e32 v77, v75
	v_cmp_eq_u32_e32 vcc_lo, 0, v79
	v_min_u32_e32 v77, 32, v77
	v_subrev_nc_u32_e32 v78, 28, v77
	v_sub_nc_u32_e32 v77, 29, v77
	v_lshlrev_b32_e32 v60, v78, v60
	v_lshlrev_b32_sdwa v78, v99, v62 dst_sel:DWORD dst_unused:UNUSED_PAD src0_sel:DWORD src1_sel:BYTE_1
	v_cndmask_b32_e32 v77, v79, v77, vcc_lo
	v_and_b32_e32 v60, 7, v60
	v_lshl_add_u32 v77, v77, 23, 0x3b800000
	v_cndmask_b32_e32 v60, v75, v60, vcc_lo
	v_and_b32_e32 v75, 0x80000000, v78
	v_lshlrev_b32_e32 v60, 20, v60
	v_or3_b32 v60, v75, v77, v60
.LBB4_932:                              ;   in Loop: Header=BB4_130 Depth=2
	s_or_b32 exec_lo, exec_lo, s40
	v_cmp_gt_i16_sdwa s40, v10, v96 src0_sel:BYTE_1 src1_sel:DWORD
	s_mov_b32 s13, 0
	s_and_saveexec_b32 s41, s40
	s_xor_b32 s40, exec_lo, s41
	s_cbranch_execz .LBB4_1358
; %bb.933:                              ;   in Loop: Header=BB4_130 Depth=2
	v_cmp_eq_u16_sdwa s42, v10, v97 src0_sel:BYTE_1 src1_sel:DWORD
	s_mov_b32 s13, -1
	s_and_saveexec_b32 s41, s42
; %bb.934:                              ;   in Loop: Header=BB4_130 Depth=2
	s_xor_b32 s13, exec_lo, -1
; %bb.935:                              ;   in Loop: Header=BB4_130 Depth=2
	s_or_b32 exec_lo, exec_lo, s41
	s_and_b32 s13, s13, exec_lo
	s_or_saveexec_b32 s40, s40
	v_mov_b32_e32 v75, 0x7f800001
	s_xor_b32 exec_lo, exec_lo, s40
	s_cbranch_execnz .LBB4_1359
.LBB4_936:                              ;   in Loop: Header=BB4_130 Depth=2
	s_or_b32 exec_lo, exec_lo, s40
	s_and_saveexec_b32 s40, s13
	s_cbranch_execz .LBB4_938
.LBB4_937:                              ;   in Loop: Header=BB4_130 Depth=2
	v_and_b32_sdwa v75, v98, v10 dst_sel:DWORD dst_unused:UNUSED_PAD src0_sel:DWORD src1_sel:BYTE_1
	v_and_b32_e32 v77, 7, v75
	v_bfe_u32 v88, v75, 3, 4
	v_ffbh_u32_e32 v78, v77
	v_cmp_eq_u32_e32 vcc_lo, 0, v88
	v_min_u32_e32 v78, 32, v78
	v_subrev_nc_u32_e32 v79, 28, v78
	v_sub_nc_u32_e32 v78, 29, v78
	v_lshlrev_b32_e32 v75, v79, v75
	v_lshlrev_b32_sdwa v79, v99, v10 dst_sel:DWORD dst_unused:UNUSED_PAD src0_sel:DWORD src1_sel:BYTE_1
	v_cndmask_b32_e32 v78, v88, v78, vcc_lo
	v_and_b32_e32 v75, 7, v75
	v_lshl_add_u32 v78, v78, 23, 0x3b800000
	v_cndmask_b32_e32 v75, v77, v75, vcc_lo
	v_and_b32_e32 v77, 0x80000000, v79
	v_lshlrev_b32_e32 v75, 20, v75
	v_or3_b32 v75, v77, v78, v75
.LBB4_938:                              ;   in Loop: Header=BB4_130 Depth=2
	s_or_b32 exec_lo, exec_lo, s40
	v_add_f32_e32 v75, v60, v75
	v_and_b32_e32 v60, 0x7f800000, v75
	v_cmp_ne_u32_e32 vcc_lo, 0x7f800000, v60
	v_mov_b32_e32 v60, 0x8000
	s_and_saveexec_b32 s40, vcc_lo
	s_cbranch_execz .LBB4_946
; %bb.939:                              ;   in Loop: Header=BB4_130 Depth=2
	v_mov_b32_e32 v60, 0
	s_mov_b32 s41, exec_lo
	v_cmpx_ne_u32_e32 0, v75
	s_cbranch_execz .LBB4_945
; %bb.940:                              ;   in Loop: Header=BB4_130 Depth=2
	v_bfe_u32 v60, v75, 23, 8
	v_and_b32_e32 v77, 0x7fffff, v75
	v_sub_nc_u32_e32 v78, 0x78, v60
	v_cmp_gt_u32_e32 vcc_lo, 0x79, v60
	v_or_b32_e32 v79, 0x800000, v77
	v_cndmask_b32_e32 v78, 0, v78, vcc_lo
	v_cmp_eq_u32_e32 vcc_lo, 0, v60
	v_add_nc_u32_e32 v60, 0xffffff89, v60
	v_cndmask_b32_e64 v78, v78, 0x77, vcc_lo
	v_cndmask_b32_e32 v77, v79, v77, vcc_lo
	v_cndmask_b32_e64 v60, v60, 0xffffff8a, vcc_lo
	v_lshl_add_u32 v79, 0x100000, v78, -1
	v_lshrrev_b32_e32 v88, v78, v77
	v_lshlrev_b32_e64 v90, v78, 0x80000
	v_add_nc_u32_e32 v78, v78, v60
	v_and_b32_e32 v77, v79, v77
	v_bfe_u32 v89, v88, 20, 1
	v_cmp_eq_u32_e64 s13, v77, v90
	v_add_nc_u32_e32 v79, -1, v89
	v_cndmask_b32_e64 v77, 0, v79, s13
	v_lshrrev_b32_e32 v79, 23, v88
	s_mov_b32 s13, exec_lo
	v_add_nc_u32_e32 v77, v77, v88
	v_xor_b32_e32 v79, 1, v79
	v_and_b32_e32 v60, 0xfffff, v77
	v_add_nc_u32_e32 v77, v60, v88
                                        ; implicit-def: $vgpr60
	v_cmpx_ne_u32_e64 v78, v79
	s_xor_b32 s13, exec_lo, s13
; %bb.941:                              ;   in Loop: Header=BB4_130 Depth=2
	v_cmp_lt_u32_e32 vcc_lo, 0xffffff, v77
	v_sub_nc_u32_e32 v60, v78, v79
	v_cndmask_b32_e64 v78, 0, 1, vcc_lo
	v_add_co_ci_u32_e64 v60, null, 0, v60, vcc_lo
	v_lshrrev_b32_e32 v77, v78, v77
; %bb.942:                              ;   in Loop: Header=BB4_130 Depth=2
	s_andn2_saveexec_b32 s13, s13
; %bb.943:                              ;   in Loop: Header=BB4_130 Depth=2
	v_bfe_u32 v60, v77, 23, 1
; %bb.944:                              ;   in Loop: Header=BB4_130 Depth=2
	s_or_b32 exec_lo, exec_lo, s13
	v_lshrrev_b32_e32 v77, 20, v77
	v_min_i32_e32 v78, 15, v60
	v_cmp_gt_i32_e32 vcc_lo, 16, v60
	v_and_b32_sdwa v75, v75, v97 dst_sel:DWORD dst_unused:UNUSED_PAD src0_sel:BYTE_3 src1_sel:DWORD
	v_lshlrev_b32_e32 v78, 3, v78
	v_cndmask_b32_e32 v77, 7, v77, vcc_lo
	v_and_b32_e32 v78, 0xf8, v78
	v_and_b32_e32 v79, 7, v77
	v_or_b32_e32 v60, v60, v77
	v_or3_b32 v75, v75, v78, v79
	v_cmp_ne_u32_e32 vcc_lo, 0, v60
	v_lshlrev_b32_e32 v75, 8, v75
	v_cndmask_b32_e32 v60, 0, v75, vcc_lo
.LBB4_945:                              ;   in Loop: Header=BB4_130 Depth=2
	s_or_b32 exec_lo, exec_lo, s41
.LBB4_946:                              ;   in Loop: Header=BB4_130 Depth=2
	s_or_b32 exec_lo, exec_lo, s40
	v_or_b32_e32 v57, v57, v45
	s_mov_b32 s13, 0
	v_cmp_gt_i16_sdwa s40, v57, v96 src0_sel:BYTE_0 src1_sel:DWORD
	s_and_saveexec_b32 s41, s40
	s_xor_b32 s40, exec_lo, s41
	s_cbranch_execz .LBB4_1360
; %bb.947:                              ;   in Loop: Header=BB4_130 Depth=2
	v_cmp_eq_u16_sdwa s42, v57, v97 src0_sel:BYTE_0 src1_sel:DWORD
	s_mov_b32 s13, -1
	s_and_saveexec_b32 s41, s42
; %bb.948:                              ;   in Loop: Header=BB4_130 Depth=2
	s_xor_b32 s13, exec_lo, -1
; %bb.949:                              ;   in Loop: Header=BB4_130 Depth=2
	s_or_b32 exec_lo, exec_lo, s41
	s_and_b32 s13, s13, exec_lo
	s_or_saveexec_b32 s40, s40
	v_mov_b32_e32 v45, 0x7f800001
	s_xor_b32 exec_lo, exec_lo, s40
	s_cbranch_execnz .LBB4_1361
.LBB4_950:                              ;   in Loop: Header=BB4_130 Depth=2
	s_or_b32 exec_lo, exec_lo, s40
	v_lshl_or_b32 v57, v57, 16, v62
	s_and_saveexec_b32 s40, s13
	s_cbranch_execz .LBB4_952
.LBB4_951:                              ;   in Loop: Header=BB4_130 Depth=2
	v_bfe_u32 v45, v57, 16, 3
	v_bfe_u32 v77, v57, 19, 4
	v_lshlrev_b32_e32 v78, 8, v57
	v_ffbh_u32_e32 v62, v45
	v_cmp_eq_u32_e32 vcc_lo, 0, v77
	v_min_u32_e32 v62, 32, v62
	v_subrev_nc_u32_e32 v75, 28, v62
	v_sub_nc_u32_e32 v62, 29, v62
	v_lshlrev_b32_sdwa v75, v75, v57 dst_sel:DWORD dst_unused:UNUSED_PAD src0_sel:DWORD src1_sel:WORD_1
	v_cndmask_b32_e32 v62, v77, v62, vcc_lo
	v_and_b32_e32 v75, 7, v75
	v_lshl_add_u32 v62, v62, 23, 0x3b800000
	v_cndmask_b32_e32 v45, v45, v75, vcc_lo
	v_and_b32_e32 v75, 0x80000000, v78
	v_lshlrev_b32_e32 v45, 20, v45
	v_or3_b32 v45, v75, v62, v45
.LBB4_952:                              ;   in Loop: Header=BB4_130 Depth=2
	s_or_b32 exec_lo, exec_lo, s40
	v_and_b32_sdwa v75, v10, v100 dst_sel:DWORD dst_unused:UNUSED_PAD src0_sel:WORD_1 src1_sel:DWORD
	s_mov_b32 s13, 0
	s_mov_b32 s40, exec_lo
	v_cmpx_lt_i16_e32 0x7f, v75
	s_xor_b32 s40, exec_lo, s40
	s_cbranch_execz .LBB4_1362
; %bb.953:                              ;   in Loop: Header=BB4_130 Depth=2
	s_mov_b32 s13, -1
	s_mov_b32 s41, exec_lo
	v_cmpx_eq_u16_e32 0x80, v75
; %bb.954:                              ;   in Loop: Header=BB4_130 Depth=2
	s_xor_b32 s13, exec_lo, -1
; %bb.955:                              ;   in Loop: Header=BB4_130 Depth=2
	s_or_b32 exec_lo, exec_lo, s41
	s_and_b32 s13, s13, exec_lo
                                        ; implicit-def: $vgpr75
	s_or_saveexec_b32 s40, s40
	v_mov_b32_e32 v62, 0x7f800001
	s_xor_b32 exec_lo, exec_lo, s40
	s_cbranch_execnz .LBB4_1363
.LBB4_956:                              ;   in Loop: Header=BB4_130 Depth=2
	s_or_b32 exec_lo, exec_lo, s40
	s_and_saveexec_b32 s40, s13
	s_cbranch_execz .LBB4_958
.LBB4_957:                              ;   in Loop: Header=BB4_130 Depth=2
	v_bfe_u32 v62, v10, 16, 3
	v_bfe_u32 v78, v10, 19, 4
	v_lshlrev_b32_e32 v79, 8, v10
	v_ffbh_u32_e32 v75, v62
	v_cmp_eq_u32_e32 vcc_lo, 0, v78
	v_min_u32_e32 v75, 32, v75
	v_subrev_nc_u32_e32 v77, 28, v75
	v_sub_nc_u32_e32 v75, 29, v75
	v_lshlrev_b32_sdwa v77, v77, v10 dst_sel:DWORD dst_unused:UNUSED_PAD src0_sel:DWORD src1_sel:WORD_1
	v_cndmask_b32_e32 v75, v78, v75, vcc_lo
	v_and_b32_e32 v77, 7, v77
	v_lshl_add_u32 v75, v75, 23, 0x3b800000
	v_cndmask_b32_e32 v62, v62, v77, vcc_lo
	v_and_b32_e32 v77, 0x80000000, v79
	v_lshlrev_b32_e32 v62, 20, v62
	v_or3_b32 v62, v77, v75, v62
.LBB4_958:                              ;   in Loop: Header=BB4_130 Depth=2
	s_or_b32 exec_lo, exec_lo, s40
	v_add_f32_e32 v62, v45, v62
	v_and_b32_e32 v45, 0x7f800000, v62
	v_cmp_ne_u32_e32 vcc_lo, 0x7f800000, v45
	v_mov_b32_e32 v45, 0x80
	s_and_saveexec_b32 s40, vcc_lo
	s_cbranch_execz .LBB4_966
; %bb.959:                              ;   in Loop: Header=BB4_130 Depth=2
	v_mov_b32_e32 v45, 0
	s_mov_b32 s41, exec_lo
	v_cmpx_ne_u32_e32 0, v62
	s_cbranch_execz .LBB4_965
; %bb.960:                              ;   in Loop: Header=BB4_130 Depth=2
	v_bfe_u32 v45, v62, 23, 8
	v_and_b32_e32 v75, 0x7fffff, v62
	v_sub_nc_u32_e32 v77, 0x78, v45
	v_cmp_gt_u32_e32 vcc_lo, 0x79, v45
	v_or_b32_e32 v78, 0x800000, v75
	v_cndmask_b32_e32 v77, 0, v77, vcc_lo
	v_cmp_eq_u32_e32 vcc_lo, 0, v45
	v_add_nc_u32_e32 v45, 0xffffff89, v45
	v_cndmask_b32_e64 v77, v77, 0x77, vcc_lo
	v_cndmask_b32_e32 v75, v78, v75, vcc_lo
	v_cndmask_b32_e64 v45, v45, 0xffffff8a, vcc_lo
	v_lshl_add_u32 v78, 0x100000, v77, -1
	v_lshrrev_b32_e32 v79, v77, v75
	v_lshlrev_b32_e64 v89, v77, 0x80000
	v_add_nc_u32_e32 v77, v77, v45
	v_and_b32_e32 v75, v78, v75
	v_bfe_u32 v88, v79, 20, 1
	v_cmp_eq_u32_e64 s13, v75, v89
	v_add_nc_u32_e32 v78, -1, v88
	v_cndmask_b32_e64 v75, 0, v78, s13
	v_lshrrev_b32_e32 v78, 23, v79
	s_mov_b32 s13, exec_lo
	v_add_nc_u32_e32 v75, v75, v79
	v_xor_b32_e32 v78, 1, v78
	v_and_b32_e32 v45, 0xfffff, v75
	v_add_nc_u32_e32 v75, v45, v79
                                        ; implicit-def: $vgpr45
	v_cmpx_ne_u32_e64 v77, v78
	s_xor_b32 s13, exec_lo, s13
; %bb.961:                              ;   in Loop: Header=BB4_130 Depth=2
	v_cmp_lt_u32_e32 vcc_lo, 0xffffff, v75
	v_sub_nc_u32_e32 v45, v77, v78
	v_cndmask_b32_e64 v77, 0, 1, vcc_lo
	v_add_co_ci_u32_e64 v45, null, 0, v45, vcc_lo
	v_lshrrev_b32_e32 v75, v77, v75
; %bb.962:                              ;   in Loop: Header=BB4_130 Depth=2
	s_andn2_saveexec_b32 s13, s13
; %bb.963:                              ;   in Loop: Header=BB4_130 Depth=2
	v_bfe_u32 v45, v75, 23, 1
; %bb.964:                              ;   in Loop: Header=BB4_130 Depth=2
	s_or_b32 exec_lo, exec_lo, s13
	v_lshrrev_b32_e32 v75, 20, v75
	v_min_i32_e32 v77, 15, v45
	v_cmp_gt_i32_e32 vcc_lo, 16, v45
	v_and_b32_sdwa v62, v62, v97 dst_sel:DWORD dst_unused:UNUSED_PAD src0_sel:BYTE_3 src1_sel:DWORD
	v_lshlrev_b32_e32 v77, 3, v77
	v_cndmask_b32_e32 v75, 7, v75, vcc_lo
	v_and_b32_e32 v77, 0xf8, v77
	v_and_b32_e32 v78, 7, v75
	v_or_b32_e32 v45, v45, v75
	v_or3_b32 v62, v77, v62, v78
	v_cmp_ne_u32_e32 vcc_lo, 0, v45
	v_cndmask_b32_e32 v45, 0, v62, vcc_lo
.LBB4_965:                              ;   in Loop: Header=BB4_130 Depth=2
	s_or_b32 exec_lo, exec_lo, s41
.LBB4_966:                              ;   in Loop: Header=BB4_130 Depth=2
	s_or_b32 exec_lo, exec_lo, s40
	v_cmp_gt_i16_sdwa s40, v57, v96 src0_sel:BYTE_3 src1_sel:DWORD
	s_mov_b32 s13, 0
	s_and_saveexec_b32 s41, s40
	s_xor_b32 s40, exec_lo, s41
	s_cbranch_execz .LBB4_1364
; %bb.967:                              ;   in Loop: Header=BB4_130 Depth=2
	v_cmp_eq_u16_sdwa s42, v57, v97 src0_sel:BYTE_3 src1_sel:DWORD
	s_mov_b32 s13, -1
	s_and_saveexec_b32 s41, s42
; %bb.968:                              ;   in Loop: Header=BB4_130 Depth=2
	s_xor_b32 s13, exec_lo, -1
; %bb.969:                              ;   in Loop: Header=BB4_130 Depth=2
	s_or_b32 exec_lo, exec_lo, s41
	s_and_b32 s13, s13, exec_lo
	s_or_saveexec_b32 s40, s40
	v_mov_b32_e32 v62, 0x7f800001
	s_xor_b32 exec_lo, exec_lo, s40
	s_cbranch_execnz .LBB4_1365
.LBB4_970:                              ;   in Loop: Header=BB4_130 Depth=2
	s_or_b32 exec_lo, exec_lo, s40
	s_and_saveexec_b32 s40, s13
	s_cbranch_execz .LBB4_972
.LBB4_971:                              ;   in Loop: Header=BB4_130 Depth=2
	v_bfe_u32 v62, v57, 24, 3
	v_bfe_u32 v78, v57, 27, 4
	v_ffbh_u32_e32 v75, v62
	v_cmp_eq_u32_e32 vcc_lo, 0, v78
	v_min_u32_e32 v75, 32, v75
	v_subrev_nc_u32_e32 v77, 28, v75
	v_sub_nc_u32_e32 v75, 29, v75
	v_lshlrev_b32_sdwa v77, v77, v57 dst_sel:DWORD dst_unused:UNUSED_PAD src0_sel:DWORD src1_sel:BYTE_3
	v_cndmask_b32_e32 v75, v78, v75, vcc_lo
	v_and_b32_e32 v57, 0x80000000, v57
	v_and_b32_e32 v77, 7, v77
	v_lshl_add_u32 v75, v75, 23, 0x3b800000
	v_cndmask_b32_e32 v62, v62, v77, vcc_lo
	v_lshlrev_b32_e32 v62, 20, v62
	v_or3_b32 v62, v57, v75, v62
.LBB4_972:                              ;   in Loop: Header=BB4_130 Depth=2
	s_or_b32 exec_lo, exec_lo, s40
	v_cmp_gt_i16_sdwa s40, v10, v96 src0_sel:BYTE_3 src1_sel:DWORD
	s_mov_b32 s13, 0
	s_and_saveexec_b32 s41, s40
	s_xor_b32 s40, exec_lo, s41
	s_cbranch_execz .LBB4_1366
; %bb.973:                              ;   in Loop: Header=BB4_130 Depth=2
	v_cmp_eq_u16_sdwa s42, v10, v97 src0_sel:BYTE_3 src1_sel:DWORD
	s_mov_b32 s13, -1
	s_and_saveexec_b32 s41, s42
; %bb.974:                              ;   in Loop: Header=BB4_130 Depth=2
	s_xor_b32 s13, exec_lo, -1
; %bb.975:                              ;   in Loop: Header=BB4_130 Depth=2
	s_or_b32 exec_lo, exec_lo, s41
	s_and_b32 s13, s13, exec_lo
	s_or_saveexec_b32 s40, s40
	v_mov_b32_e32 v57, 0x7f800001
	s_xor_b32 exec_lo, exec_lo, s40
	s_cbranch_execnz .LBB4_1367
.LBB4_976:                              ;   in Loop: Header=BB4_130 Depth=2
	s_or_b32 exec_lo, exec_lo, s40
	s_and_saveexec_b32 s40, s13
	s_cbranch_execz .LBB4_978
.LBB4_977:                              ;   in Loop: Header=BB4_130 Depth=2
	v_bfe_u32 v57, v10, 24, 3
	v_bfe_u32 v78, v10, 27, 4
	v_ffbh_u32_e32 v75, v57
	v_cmp_eq_u32_e32 vcc_lo, 0, v78
	v_min_u32_e32 v75, 32, v75
	v_subrev_nc_u32_e32 v77, 28, v75
	v_sub_nc_u32_e32 v75, 29, v75
	v_lshlrev_b32_sdwa v77, v77, v10 dst_sel:DWORD dst_unused:UNUSED_PAD src0_sel:DWORD src1_sel:BYTE_3
	v_cndmask_b32_e32 v75, v78, v75, vcc_lo
	v_and_b32_e32 v10, 0x80000000, v10
	v_and_b32_e32 v77, 7, v77
	v_lshl_add_u32 v75, v75, 23, 0x3b800000
	v_cndmask_b32_e32 v57, v57, v77, vcc_lo
	v_lshlrev_b32_e32 v57, 20, v57
	v_or3_b32 v57, v10, v75, v57
.LBB4_978:                              ;   in Loop: Header=BB4_130 Depth=2
	s_or_b32 exec_lo, exec_lo, s40
	v_add_f32_e32 v57, v62, v57
	v_and_b32_e32 v10, 0x7f800000, v57
	v_cmp_ne_u32_e32 vcc_lo, 0x7f800000, v10
	v_mov_b32_e32 v10, 0x8000
	s_and_saveexec_b32 s40, vcc_lo
	s_cbranch_execz .LBB4_986
; %bb.979:                              ;   in Loop: Header=BB4_130 Depth=2
	v_mov_b32_e32 v10, 0
	s_mov_b32 s41, exec_lo
	v_cmpx_ne_u32_e32 0, v57
	s_cbranch_execz .LBB4_985
; %bb.980:                              ;   in Loop: Header=BB4_130 Depth=2
	v_bfe_u32 v10, v57, 23, 8
	v_and_b32_e32 v62, 0x7fffff, v57
	v_sub_nc_u32_e32 v75, 0x78, v10
	v_cmp_gt_u32_e32 vcc_lo, 0x79, v10
	v_or_b32_e32 v77, 0x800000, v62
	v_cndmask_b32_e32 v75, 0, v75, vcc_lo
	v_cmp_eq_u32_e32 vcc_lo, 0, v10
	v_add_nc_u32_e32 v10, 0xffffff89, v10
	v_cndmask_b32_e64 v75, v75, 0x77, vcc_lo
	v_cndmask_b32_e32 v62, v77, v62, vcc_lo
	v_cndmask_b32_e64 v10, v10, 0xffffff8a, vcc_lo
	v_lshl_add_u32 v77, 0x100000, v75, -1
	v_lshrrev_b32_e32 v78, v75, v62
	v_lshlrev_b32_e64 v88, v75, 0x80000
	v_add_nc_u32_e32 v75, v75, v10
	v_and_b32_e32 v62, v77, v62
	v_bfe_u32 v79, v78, 20, 1
	v_cmp_eq_u32_e64 s13, v62, v88
	v_add_nc_u32_e32 v77, -1, v79
	v_cndmask_b32_e64 v62, 0, v77, s13
	v_lshrrev_b32_e32 v77, 23, v78
	s_mov_b32 s13, exec_lo
	v_add_nc_u32_e32 v62, v62, v78
	v_xor_b32_e32 v77, 1, v77
	v_and_b32_e32 v10, 0xfffff, v62
	v_add_nc_u32_e32 v62, v10, v78
                                        ; implicit-def: $vgpr10
	v_cmpx_ne_u32_e64 v75, v77
	s_xor_b32 s13, exec_lo, s13
; %bb.981:                              ;   in Loop: Header=BB4_130 Depth=2
	v_cmp_lt_u32_e32 vcc_lo, 0xffffff, v62
	v_sub_nc_u32_e32 v10, v75, v77
	v_cndmask_b32_e64 v75, 0, 1, vcc_lo
	v_add_co_ci_u32_e64 v10, null, 0, v10, vcc_lo
	v_lshrrev_b32_e32 v62, v75, v62
; %bb.982:                              ;   in Loop: Header=BB4_130 Depth=2
	s_andn2_saveexec_b32 s13, s13
; %bb.983:                              ;   in Loop: Header=BB4_130 Depth=2
	v_bfe_u32 v10, v62, 23, 1
; %bb.984:                              ;   in Loop: Header=BB4_130 Depth=2
	s_or_b32 exec_lo, exec_lo, s13
	v_lshrrev_b32_e32 v62, 20, v62
	v_min_i32_e32 v75, 15, v10
	v_cmp_gt_i32_e32 vcc_lo, 16, v10
	v_and_b32_sdwa v57, v57, v97 dst_sel:DWORD dst_unused:UNUSED_PAD src0_sel:BYTE_3 src1_sel:DWORD
	v_lshlrev_b32_e32 v75, 3, v75
	v_cndmask_b32_e32 v62, 7, v62, vcc_lo
	v_and_b32_e32 v75, 0xf8, v75
	v_and_b32_e32 v77, 7, v62
	v_or_b32_e32 v10, v10, v62
	v_or3_b32 v57, v57, v75, v77
	v_cmp_ne_u32_e32 vcc_lo, 0, v10
	v_lshlrev_b32_e32 v57, 8, v57
	v_cndmask_b32_e32 v10, 0, v57, vcc_lo
.LBB4_985:                              ;   in Loop: Header=BB4_130 Depth=2
	s_or_b32 exec_lo, exec_lo, s41
.LBB4_986:                              ;   in Loop: Header=BB4_130 Depth=2
	s_or_b32 exec_lo, exec_lo, s40
	v_or_b32_e32 v57, v46, v43
	s_mov_b32 s13, 0
	v_cmp_gt_i16_sdwa s40, v57, v96 src0_sel:BYTE_0 src1_sel:DWORD
	s_and_saveexec_b32 s41, s40
	s_xor_b32 s40, exec_lo, s41
	s_cbranch_execz .LBB4_1368
; %bb.987:                              ;   in Loop: Header=BB4_130 Depth=2
	v_cmp_eq_u16_sdwa s42, v57, v97 src0_sel:BYTE_0 src1_sel:DWORD
	s_mov_b32 s13, -1
	s_and_saveexec_b32 s41, s42
; %bb.988:                              ;   in Loop: Header=BB4_130 Depth=2
	s_xor_b32 s13, exec_lo, -1
; %bb.989:                              ;   in Loop: Header=BB4_130 Depth=2
	s_or_b32 exec_lo, exec_lo, s41
	s_and_b32 s13, s13, exec_lo
	s_or_saveexec_b32 s40, s40
	v_mov_b32_e32 v43, 0x7f800001
	s_xor_b32 exec_lo, exec_lo, s40
	s_cbranch_execnz .LBB4_1369
.LBB4_990:                              ;   in Loop: Header=BB4_130 Depth=2
	s_or_b32 exec_lo, exec_lo, s40
	s_and_saveexec_b32 s40, s13
	s_cbranch_execz .LBB4_992
.LBB4_991:                              ;   in Loop: Header=BB4_130 Depth=2
	v_and_b32_e32 v43, 7, v57
	v_bfe_u32 v75, v57, 3, 4
	v_lshlrev_b32_e32 v77, 24, v57
	v_ffbh_u32_e32 v46, v43
	v_cmp_eq_u32_e32 vcc_lo, 0, v75
	v_min_u32_e32 v46, 32, v46
	v_subrev_nc_u32_e32 v62, 28, v46
	v_sub_nc_u32_e32 v46, 29, v46
	v_lshlrev_b32_e32 v62, v62, v57
	v_cndmask_b32_e32 v46, v75, v46, vcc_lo
	v_and_b32_e32 v62, 7, v62
	v_lshl_add_u32 v46, v46, 23, 0x3b800000
	v_cndmask_b32_e32 v43, v43, v62, vcc_lo
	v_and_b32_e32 v62, 0x80000000, v77
	v_lshlrev_b32_e32 v43, 20, v43
	v_or3_b32 v43, v62, v46, v43
.LBB4_992:                              ;   in Loop: Header=BB4_130 Depth=2
	s_or_b32 exec_lo, exec_lo, s40
	v_cmp_gt_i16_sdwa s40, v11, v96 src0_sel:BYTE_0 src1_sel:DWORD
	s_mov_b32 s13, 0
	s_and_saveexec_b32 s41, s40
	s_xor_b32 s40, exec_lo, s41
	s_cbranch_execz .LBB4_1370
; %bb.993:                              ;   in Loop: Header=BB4_130 Depth=2
	v_cmp_eq_u16_sdwa s42, v11, v97 src0_sel:BYTE_0 src1_sel:DWORD
	s_mov_b32 s13, -1
	s_and_saveexec_b32 s41, s42
; %bb.994:                              ;   in Loop: Header=BB4_130 Depth=2
	s_xor_b32 s13, exec_lo, -1
; %bb.995:                              ;   in Loop: Header=BB4_130 Depth=2
	s_or_b32 exec_lo, exec_lo, s41
	s_and_b32 s13, s13, exec_lo
	s_or_saveexec_b32 s40, s40
	v_mov_b32_e32 v46, 0x7f800001
	s_xor_b32 exec_lo, exec_lo, s40
	s_cbranch_execnz .LBB4_1371
.LBB4_996:                              ;   in Loop: Header=BB4_130 Depth=2
	s_or_b32 exec_lo, exec_lo, s40
	s_and_saveexec_b32 s40, s13
	s_cbranch_execz .LBB4_998
.LBB4_997:                              ;   in Loop: Header=BB4_130 Depth=2
	v_and_b32_e32 v46, 7, v11
	v_bfe_u32 v77, v11, 3, 4
	v_lshlrev_b32_e32 v78, 24, v11
	v_ffbh_u32_e32 v62, v46
	v_cmp_eq_u32_e32 vcc_lo, 0, v77
	v_min_u32_e32 v62, 32, v62
	v_subrev_nc_u32_e32 v75, 28, v62
	v_sub_nc_u32_e32 v62, 29, v62
	v_lshlrev_b32_e32 v75, v75, v11
	v_cndmask_b32_e32 v62, v77, v62, vcc_lo
	v_and_b32_e32 v75, 7, v75
	v_lshl_add_u32 v62, v62, 23, 0x3b800000
	v_cndmask_b32_e32 v46, v46, v75, vcc_lo
	v_and_b32_e32 v75, 0x80000000, v78
	v_lshlrev_b32_e32 v46, 20, v46
	v_or3_b32 v46, v75, v62, v46
.LBB4_998:                              ;   in Loop: Header=BB4_130 Depth=2
	s_or_b32 exec_lo, exec_lo, s40
	v_add_f32_e32 v46, v43, v46
	v_and_b32_e32 v43, 0x7f800000, v46
	v_cmp_ne_u32_e32 vcc_lo, 0x7f800000, v43
	v_mov_b32_e32 v43, 0x80
	s_and_saveexec_b32 s40, vcc_lo
	s_cbranch_execz .LBB4_1006
; %bb.999:                              ;   in Loop: Header=BB4_130 Depth=2
	v_mov_b32_e32 v43, 0
	s_mov_b32 s41, exec_lo
	v_cmpx_ne_u32_e32 0, v46
	s_cbranch_execz .LBB4_1005
; %bb.1000:                             ;   in Loop: Header=BB4_130 Depth=2
	v_bfe_u32 v43, v46, 23, 8
	v_and_b32_e32 v62, 0x7fffff, v46
	v_sub_nc_u32_e32 v75, 0x78, v43
	v_cmp_gt_u32_e32 vcc_lo, 0x79, v43
	v_or_b32_e32 v77, 0x800000, v62
	v_cndmask_b32_e32 v75, 0, v75, vcc_lo
	v_cmp_eq_u32_e32 vcc_lo, 0, v43
	v_add_nc_u32_e32 v43, 0xffffff89, v43
	v_cndmask_b32_e64 v75, v75, 0x77, vcc_lo
	v_cndmask_b32_e32 v62, v77, v62, vcc_lo
	v_cndmask_b32_e64 v43, v43, 0xffffff8a, vcc_lo
	v_lshl_add_u32 v77, 0x100000, v75, -1
	v_lshrrev_b32_e32 v78, v75, v62
	v_lshlrev_b32_e64 v88, v75, 0x80000
	v_add_nc_u32_e32 v75, v75, v43
	v_and_b32_e32 v62, v77, v62
	v_bfe_u32 v79, v78, 20, 1
	v_cmp_eq_u32_e64 s13, v62, v88
	v_add_nc_u32_e32 v77, -1, v79
	v_cndmask_b32_e64 v62, 0, v77, s13
	v_lshrrev_b32_e32 v77, 23, v78
	s_mov_b32 s13, exec_lo
	v_add_nc_u32_e32 v62, v62, v78
	v_xor_b32_e32 v77, 1, v77
	v_and_b32_e32 v43, 0xfffff, v62
	v_add_nc_u32_e32 v62, v43, v78
                                        ; implicit-def: $vgpr43
	v_cmpx_ne_u32_e64 v75, v77
	s_xor_b32 s13, exec_lo, s13
; %bb.1001:                             ;   in Loop: Header=BB4_130 Depth=2
	v_cmp_lt_u32_e32 vcc_lo, 0xffffff, v62
	v_sub_nc_u32_e32 v43, v75, v77
	v_cndmask_b32_e64 v75, 0, 1, vcc_lo
	v_add_co_ci_u32_e64 v43, null, 0, v43, vcc_lo
	v_lshrrev_b32_e32 v62, v75, v62
; %bb.1002:                             ;   in Loop: Header=BB4_130 Depth=2
	s_andn2_saveexec_b32 s13, s13
; %bb.1003:                             ;   in Loop: Header=BB4_130 Depth=2
	v_bfe_u32 v43, v62, 23, 1
; %bb.1004:                             ;   in Loop: Header=BB4_130 Depth=2
	s_or_b32 exec_lo, exec_lo, s13
	v_lshrrev_b32_e32 v62, 20, v62
	v_min_i32_e32 v75, 15, v43
	v_cmp_gt_i32_e32 vcc_lo, 16, v43
	v_and_b32_sdwa v46, v46, v97 dst_sel:DWORD dst_unused:UNUSED_PAD src0_sel:BYTE_3 src1_sel:DWORD
	v_lshlrev_b32_e32 v75, 3, v75
	v_cndmask_b32_e32 v62, 7, v62, vcc_lo
	v_and_b32_e32 v75, 0xf8, v75
	v_and_b32_e32 v77, 7, v62
	v_or_b32_e32 v43, v43, v62
	v_or3_b32 v46, v75, v46, v77
	v_cmp_ne_u32_e32 vcc_lo, 0, v43
	v_cndmask_b32_e32 v43, 0, v46, vcc_lo
.LBB4_1005:                             ;   in Loop: Header=BB4_130 Depth=2
	s_or_b32 exec_lo, exec_lo, s41
.LBB4_1006:                             ;   in Loop: Header=BB4_130 Depth=2
	s_or_b32 exec_lo, exec_lo, s40
	v_cmp_gt_i16_sdwa s40, v57, v96 src0_sel:BYTE_1 src1_sel:DWORD
	s_mov_b32 s13, 0
	s_and_saveexec_b32 s41, s40
	s_xor_b32 s40, exec_lo, s41
	s_cbranch_execz .LBB4_1372
; %bb.1007:                             ;   in Loop: Header=BB4_130 Depth=2
	v_cmp_eq_u16_sdwa s42, v57, v97 src0_sel:BYTE_1 src1_sel:DWORD
	s_mov_b32 s13, -1
	s_and_saveexec_b32 s41, s42
; %bb.1008:                             ;   in Loop: Header=BB4_130 Depth=2
	s_xor_b32 s13, exec_lo, -1
; %bb.1009:                             ;   in Loop: Header=BB4_130 Depth=2
	s_or_b32 exec_lo, exec_lo, s41
	s_and_b32 s13, s13, exec_lo
	s_or_saveexec_b32 s40, s40
	v_mov_b32_e32 v46, 0x7f800001
	s_xor_b32 exec_lo, exec_lo, s40
	s_cbranch_execnz .LBB4_1373
.LBB4_1010:                             ;   in Loop: Header=BB4_130 Depth=2
	s_or_b32 exec_lo, exec_lo, s40
	s_and_saveexec_b32 s40, s13
	s_cbranch_execz .LBB4_1012
.LBB4_1011:                             ;   in Loop: Header=BB4_130 Depth=2
	v_and_b32_sdwa v46, v98, v57 dst_sel:DWORD dst_unused:UNUSED_PAD src0_sel:DWORD src1_sel:BYTE_1
	v_and_b32_e32 v62, 7, v46
	v_bfe_u32 v78, v46, 3, 4
	v_ffbh_u32_e32 v75, v62
	v_cmp_eq_u32_e32 vcc_lo, 0, v78
	v_min_u32_e32 v75, 32, v75
	v_subrev_nc_u32_e32 v77, 28, v75
	v_sub_nc_u32_e32 v75, 29, v75
	v_lshlrev_b32_e32 v46, v77, v46
	v_lshlrev_b32_sdwa v77, v99, v57 dst_sel:DWORD dst_unused:UNUSED_PAD src0_sel:DWORD src1_sel:BYTE_1
	v_cndmask_b32_e32 v75, v78, v75, vcc_lo
	v_and_b32_e32 v46, 7, v46
	v_lshl_add_u32 v75, v75, 23, 0x3b800000
	v_cndmask_b32_e32 v46, v62, v46, vcc_lo
	v_and_b32_e32 v62, 0x80000000, v77
	v_lshlrev_b32_e32 v46, 20, v46
	v_or3_b32 v46, v62, v75, v46
.LBB4_1012:                             ;   in Loop: Header=BB4_130 Depth=2
	s_or_b32 exec_lo, exec_lo, s40
	v_cmp_gt_i16_sdwa s40, v11, v96 src0_sel:BYTE_1 src1_sel:DWORD
	s_mov_b32 s13, 0
	s_and_saveexec_b32 s41, s40
	s_xor_b32 s40, exec_lo, s41
	s_cbranch_execz .LBB4_1374
; %bb.1013:                             ;   in Loop: Header=BB4_130 Depth=2
	v_cmp_eq_u16_sdwa s42, v11, v97 src0_sel:BYTE_1 src1_sel:DWORD
	s_mov_b32 s13, -1
	s_and_saveexec_b32 s41, s42
; %bb.1014:                             ;   in Loop: Header=BB4_130 Depth=2
	s_xor_b32 s13, exec_lo, -1
; %bb.1015:                             ;   in Loop: Header=BB4_130 Depth=2
	s_or_b32 exec_lo, exec_lo, s41
	s_and_b32 s13, s13, exec_lo
	s_or_saveexec_b32 s40, s40
	v_mov_b32_e32 v62, 0x7f800001
	s_xor_b32 exec_lo, exec_lo, s40
	s_cbranch_execnz .LBB4_1375
.LBB4_1016:                             ;   in Loop: Header=BB4_130 Depth=2
	s_or_b32 exec_lo, exec_lo, s40
	s_and_saveexec_b32 s40, s13
	s_cbranch_execz .LBB4_1018
.LBB4_1017:                             ;   in Loop: Header=BB4_130 Depth=2
	v_and_b32_sdwa v62, v98, v11 dst_sel:DWORD dst_unused:UNUSED_PAD src0_sel:DWORD src1_sel:BYTE_1
	v_and_b32_e32 v75, 7, v62
	v_bfe_u32 v79, v62, 3, 4
	v_ffbh_u32_e32 v77, v75
	v_cmp_eq_u32_e32 vcc_lo, 0, v79
	v_min_u32_e32 v77, 32, v77
	v_subrev_nc_u32_e32 v78, 28, v77
	v_sub_nc_u32_e32 v77, 29, v77
	v_lshlrev_b32_e32 v62, v78, v62
	v_lshlrev_b32_sdwa v78, v99, v11 dst_sel:DWORD dst_unused:UNUSED_PAD src0_sel:DWORD src1_sel:BYTE_1
	v_cndmask_b32_e32 v77, v79, v77, vcc_lo
	v_and_b32_e32 v62, 7, v62
	v_lshl_add_u32 v77, v77, 23, 0x3b800000
	v_cndmask_b32_e32 v62, v75, v62, vcc_lo
	v_and_b32_e32 v75, 0x80000000, v78
	v_lshlrev_b32_e32 v62, 20, v62
	v_or3_b32 v62, v75, v77, v62
.LBB4_1018:                             ;   in Loop: Header=BB4_130 Depth=2
	s_or_b32 exec_lo, exec_lo, s40
	v_add_f32_e32 v62, v46, v62
	v_and_b32_e32 v46, 0x7f800000, v62
	v_cmp_ne_u32_e32 vcc_lo, 0x7f800000, v46
	v_mov_b32_e32 v46, 0x8000
	s_and_saveexec_b32 s40, vcc_lo
	s_cbranch_execz .LBB4_1026
; %bb.1019:                             ;   in Loop: Header=BB4_130 Depth=2
	v_mov_b32_e32 v46, 0
	s_mov_b32 s41, exec_lo
	v_cmpx_ne_u32_e32 0, v62
	s_cbranch_execz .LBB4_1025
; %bb.1020:                             ;   in Loop: Header=BB4_130 Depth=2
	v_bfe_u32 v46, v62, 23, 8
	v_and_b32_e32 v75, 0x7fffff, v62
	v_sub_nc_u32_e32 v77, 0x78, v46
	v_cmp_gt_u32_e32 vcc_lo, 0x79, v46
	v_or_b32_e32 v78, 0x800000, v75
	v_cndmask_b32_e32 v77, 0, v77, vcc_lo
	v_cmp_eq_u32_e32 vcc_lo, 0, v46
	v_add_nc_u32_e32 v46, 0xffffff89, v46
	v_cndmask_b32_e64 v77, v77, 0x77, vcc_lo
	v_cndmask_b32_e32 v75, v78, v75, vcc_lo
	v_cndmask_b32_e64 v46, v46, 0xffffff8a, vcc_lo
	v_lshl_add_u32 v78, 0x100000, v77, -1
	v_lshrrev_b32_e32 v79, v77, v75
	v_lshlrev_b32_e64 v89, v77, 0x80000
	v_add_nc_u32_e32 v77, v77, v46
	v_and_b32_e32 v75, v78, v75
	v_bfe_u32 v88, v79, 20, 1
	v_cmp_eq_u32_e64 s13, v75, v89
	v_add_nc_u32_e32 v78, -1, v88
	v_cndmask_b32_e64 v75, 0, v78, s13
	v_lshrrev_b32_e32 v78, 23, v79
	s_mov_b32 s13, exec_lo
	v_add_nc_u32_e32 v75, v75, v79
	v_xor_b32_e32 v78, 1, v78
	v_and_b32_e32 v46, 0xfffff, v75
	v_add_nc_u32_e32 v75, v46, v79
                                        ; implicit-def: $vgpr46
	v_cmpx_ne_u32_e64 v77, v78
	s_xor_b32 s13, exec_lo, s13
; %bb.1021:                             ;   in Loop: Header=BB4_130 Depth=2
	v_cmp_lt_u32_e32 vcc_lo, 0xffffff, v75
	v_sub_nc_u32_e32 v46, v77, v78
	v_cndmask_b32_e64 v77, 0, 1, vcc_lo
	v_add_co_ci_u32_e64 v46, null, 0, v46, vcc_lo
	v_lshrrev_b32_e32 v75, v77, v75
; %bb.1022:                             ;   in Loop: Header=BB4_130 Depth=2
	s_andn2_saveexec_b32 s13, s13
; %bb.1023:                             ;   in Loop: Header=BB4_130 Depth=2
	v_bfe_u32 v46, v75, 23, 1
; %bb.1024:                             ;   in Loop: Header=BB4_130 Depth=2
	s_or_b32 exec_lo, exec_lo, s13
	v_lshrrev_b32_e32 v75, 20, v75
	v_min_i32_e32 v77, 15, v46
	v_cmp_gt_i32_e32 vcc_lo, 16, v46
	v_and_b32_sdwa v62, v62, v97 dst_sel:DWORD dst_unused:UNUSED_PAD src0_sel:BYTE_3 src1_sel:DWORD
	v_lshlrev_b32_e32 v77, 3, v77
	v_cndmask_b32_e32 v75, 7, v75, vcc_lo
	v_and_b32_e32 v77, 0xf8, v77
	v_and_b32_e32 v78, 7, v75
	v_or_b32_e32 v46, v46, v75
	v_or3_b32 v62, v62, v77, v78
	v_cmp_ne_u32_e32 vcc_lo, 0, v46
	v_lshlrev_b32_e32 v62, 8, v62
	v_cndmask_b32_e32 v46, 0, v62, vcc_lo
.LBB4_1025:                             ;   in Loop: Header=BB4_130 Depth=2
	s_or_b32 exec_lo, exec_lo, s41
.LBB4_1026:                             ;   in Loop: Header=BB4_130 Depth=2
	s_or_b32 exec_lo, exec_lo, s40
	v_or_b32_e32 v44, v44, v41
	s_mov_b32 s13, 0
	v_cmp_gt_i16_sdwa s40, v44, v96 src0_sel:BYTE_0 src1_sel:DWORD
	s_and_saveexec_b32 s41, s40
	s_xor_b32 s40, exec_lo, s41
	s_cbranch_execz .LBB4_1376
; %bb.1027:                             ;   in Loop: Header=BB4_130 Depth=2
	v_cmp_eq_u16_sdwa s42, v44, v97 src0_sel:BYTE_0 src1_sel:DWORD
	s_mov_b32 s13, -1
	s_and_saveexec_b32 s41, s42
; %bb.1028:                             ;   in Loop: Header=BB4_130 Depth=2
	s_xor_b32 s13, exec_lo, -1
; %bb.1029:                             ;   in Loop: Header=BB4_130 Depth=2
	s_or_b32 exec_lo, exec_lo, s41
	s_and_b32 s13, s13, exec_lo
	s_or_saveexec_b32 s40, s40
	v_mov_b32_e32 v41, 0x7f800001
	s_xor_b32 exec_lo, exec_lo, s40
	s_cbranch_execnz .LBB4_1377
.LBB4_1030:                             ;   in Loop: Header=BB4_130 Depth=2
	s_or_b32 exec_lo, exec_lo, s40
	v_lshl_or_b32 v44, v44, 16, v57
	s_and_saveexec_b32 s40, s13
	s_cbranch_execz .LBB4_1032
.LBB4_1031:                             ;   in Loop: Header=BB4_130 Depth=2
	v_bfe_u32 v41, v44, 16, 3
	v_bfe_u32 v75, v44, 19, 4
	v_lshlrev_b32_e32 v77, 8, v44
	v_ffbh_u32_e32 v57, v41
	v_cmp_eq_u32_e32 vcc_lo, 0, v75
	v_min_u32_e32 v57, 32, v57
	v_subrev_nc_u32_e32 v62, 28, v57
	v_sub_nc_u32_e32 v57, 29, v57
	v_lshlrev_b32_sdwa v62, v62, v44 dst_sel:DWORD dst_unused:UNUSED_PAD src0_sel:DWORD src1_sel:WORD_1
	v_cndmask_b32_e32 v57, v75, v57, vcc_lo
	v_and_b32_e32 v62, 7, v62
	v_lshl_add_u32 v57, v57, 23, 0x3b800000
	v_cndmask_b32_e32 v41, v41, v62, vcc_lo
	v_and_b32_e32 v62, 0x80000000, v77
	v_lshlrev_b32_e32 v41, 20, v41
	v_or3_b32 v41, v62, v57, v41
.LBB4_1032:                             ;   in Loop: Header=BB4_130 Depth=2
	s_or_b32 exec_lo, exec_lo, s40
	v_and_b32_sdwa v62, v11, v100 dst_sel:DWORD dst_unused:UNUSED_PAD src0_sel:WORD_1 src1_sel:DWORD
	s_mov_b32 s13, 0
	s_mov_b32 s40, exec_lo
	v_cmpx_lt_i16_e32 0x7f, v62
	s_xor_b32 s40, exec_lo, s40
	s_cbranch_execz .LBB4_1378
; %bb.1033:                             ;   in Loop: Header=BB4_130 Depth=2
	s_mov_b32 s13, -1
	s_mov_b32 s41, exec_lo
	v_cmpx_eq_u16_e32 0x80, v62
; %bb.1034:                             ;   in Loop: Header=BB4_130 Depth=2
	s_xor_b32 s13, exec_lo, -1
; %bb.1035:                             ;   in Loop: Header=BB4_130 Depth=2
	s_or_b32 exec_lo, exec_lo, s41
	s_and_b32 s13, s13, exec_lo
                                        ; implicit-def: $vgpr62
	s_or_saveexec_b32 s40, s40
	v_mov_b32_e32 v57, 0x7f800001
	s_xor_b32 exec_lo, exec_lo, s40
	s_cbranch_execnz .LBB4_1379
.LBB4_1036:                             ;   in Loop: Header=BB4_130 Depth=2
	s_or_b32 exec_lo, exec_lo, s40
	s_and_saveexec_b32 s40, s13
	s_cbranch_execz .LBB4_1038
.LBB4_1037:                             ;   in Loop: Header=BB4_130 Depth=2
	v_bfe_u32 v57, v11, 16, 3
	v_bfe_u32 v77, v11, 19, 4
	v_lshlrev_b32_e32 v78, 8, v11
	v_ffbh_u32_e32 v62, v57
	v_cmp_eq_u32_e32 vcc_lo, 0, v77
	v_min_u32_e32 v62, 32, v62
	v_subrev_nc_u32_e32 v75, 28, v62
	v_sub_nc_u32_e32 v62, 29, v62
	v_lshlrev_b32_sdwa v75, v75, v11 dst_sel:DWORD dst_unused:UNUSED_PAD src0_sel:DWORD src1_sel:WORD_1
	v_cndmask_b32_e32 v62, v77, v62, vcc_lo
	v_and_b32_e32 v75, 7, v75
	v_lshl_add_u32 v62, v62, 23, 0x3b800000
	v_cndmask_b32_e32 v57, v57, v75, vcc_lo
	v_and_b32_e32 v75, 0x80000000, v78
	v_lshlrev_b32_e32 v57, 20, v57
	v_or3_b32 v57, v75, v62, v57
.LBB4_1038:                             ;   in Loop: Header=BB4_130 Depth=2
	s_or_b32 exec_lo, exec_lo, s40
	v_add_f32_e32 v57, v41, v57
	v_and_b32_e32 v41, 0x7f800000, v57
	v_cmp_ne_u32_e32 vcc_lo, 0x7f800000, v41
	v_mov_b32_e32 v41, 0x80
	s_and_saveexec_b32 s40, vcc_lo
	s_cbranch_execz .LBB4_1046
; %bb.1039:                             ;   in Loop: Header=BB4_130 Depth=2
	v_mov_b32_e32 v41, 0
	s_mov_b32 s41, exec_lo
	v_cmpx_ne_u32_e32 0, v57
	s_cbranch_execz .LBB4_1045
; %bb.1040:                             ;   in Loop: Header=BB4_130 Depth=2
	v_bfe_u32 v41, v57, 23, 8
	v_and_b32_e32 v62, 0x7fffff, v57
	v_sub_nc_u32_e32 v75, 0x78, v41
	v_cmp_gt_u32_e32 vcc_lo, 0x79, v41
	v_or_b32_e32 v77, 0x800000, v62
	v_cndmask_b32_e32 v75, 0, v75, vcc_lo
	v_cmp_eq_u32_e32 vcc_lo, 0, v41
	v_add_nc_u32_e32 v41, 0xffffff89, v41
	v_cndmask_b32_e64 v75, v75, 0x77, vcc_lo
	v_cndmask_b32_e32 v62, v77, v62, vcc_lo
	v_cndmask_b32_e64 v41, v41, 0xffffff8a, vcc_lo
	v_lshl_add_u32 v77, 0x100000, v75, -1
	v_lshrrev_b32_e32 v78, v75, v62
	v_lshlrev_b32_e64 v88, v75, 0x80000
	v_add_nc_u32_e32 v75, v75, v41
	v_and_b32_e32 v62, v77, v62
	v_bfe_u32 v79, v78, 20, 1
	v_cmp_eq_u32_e64 s13, v62, v88
	v_add_nc_u32_e32 v77, -1, v79
	v_cndmask_b32_e64 v62, 0, v77, s13
	v_lshrrev_b32_e32 v77, 23, v78
	s_mov_b32 s13, exec_lo
	v_add_nc_u32_e32 v62, v62, v78
	v_xor_b32_e32 v77, 1, v77
	v_and_b32_e32 v41, 0xfffff, v62
	v_add_nc_u32_e32 v62, v41, v78
                                        ; implicit-def: $vgpr41
	v_cmpx_ne_u32_e64 v75, v77
	s_xor_b32 s13, exec_lo, s13
; %bb.1041:                             ;   in Loop: Header=BB4_130 Depth=2
	v_cmp_lt_u32_e32 vcc_lo, 0xffffff, v62
	v_sub_nc_u32_e32 v41, v75, v77
	v_cndmask_b32_e64 v75, 0, 1, vcc_lo
	v_add_co_ci_u32_e64 v41, null, 0, v41, vcc_lo
	v_lshrrev_b32_e32 v62, v75, v62
; %bb.1042:                             ;   in Loop: Header=BB4_130 Depth=2
	s_andn2_saveexec_b32 s13, s13
; %bb.1043:                             ;   in Loop: Header=BB4_130 Depth=2
	v_bfe_u32 v41, v62, 23, 1
; %bb.1044:                             ;   in Loop: Header=BB4_130 Depth=2
	s_or_b32 exec_lo, exec_lo, s13
	v_lshrrev_b32_e32 v62, 20, v62
	v_min_i32_e32 v75, 15, v41
	v_cmp_gt_i32_e32 vcc_lo, 16, v41
	v_and_b32_sdwa v57, v57, v97 dst_sel:DWORD dst_unused:UNUSED_PAD src0_sel:BYTE_3 src1_sel:DWORD
	v_lshlrev_b32_e32 v75, 3, v75
	v_cndmask_b32_e32 v62, 7, v62, vcc_lo
	v_and_b32_e32 v75, 0xf8, v75
	v_and_b32_e32 v77, 7, v62
	v_or_b32_e32 v41, v41, v62
	v_or3_b32 v57, v75, v57, v77
	v_cmp_ne_u32_e32 vcc_lo, 0, v41
	v_cndmask_b32_e32 v41, 0, v57, vcc_lo
.LBB4_1045:                             ;   in Loop: Header=BB4_130 Depth=2
	s_or_b32 exec_lo, exec_lo, s41
.LBB4_1046:                             ;   in Loop: Header=BB4_130 Depth=2
	s_or_b32 exec_lo, exec_lo, s40
	v_cmp_gt_i16_sdwa s40, v44, v96 src0_sel:BYTE_3 src1_sel:DWORD
	s_mov_b32 s13, 0
	s_and_saveexec_b32 s41, s40
	s_xor_b32 s40, exec_lo, s41
	s_cbranch_execz .LBB4_1380
; %bb.1047:                             ;   in Loop: Header=BB4_130 Depth=2
	v_cmp_eq_u16_sdwa s42, v44, v97 src0_sel:BYTE_3 src1_sel:DWORD
	s_mov_b32 s13, -1
	s_and_saveexec_b32 s41, s42
; %bb.1048:                             ;   in Loop: Header=BB4_130 Depth=2
	s_xor_b32 s13, exec_lo, -1
; %bb.1049:                             ;   in Loop: Header=BB4_130 Depth=2
	s_or_b32 exec_lo, exec_lo, s41
	s_and_b32 s13, s13, exec_lo
	s_or_saveexec_b32 s40, s40
	v_mov_b32_e32 v57, 0x7f800001
	s_xor_b32 exec_lo, exec_lo, s40
	s_cbranch_execnz .LBB4_1381
.LBB4_1050:                             ;   in Loop: Header=BB4_130 Depth=2
	s_or_b32 exec_lo, exec_lo, s40
	s_and_saveexec_b32 s40, s13
	s_cbranch_execz .LBB4_1052
.LBB4_1051:                             ;   in Loop: Header=BB4_130 Depth=2
	v_bfe_u32 v57, v44, 24, 3
	v_bfe_u32 v77, v44, 27, 4
	v_ffbh_u32_e32 v62, v57
	v_cmp_eq_u32_e32 vcc_lo, 0, v77
	v_min_u32_e32 v62, 32, v62
	v_subrev_nc_u32_e32 v75, 28, v62
	v_sub_nc_u32_e32 v62, 29, v62
	v_lshlrev_b32_sdwa v75, v75, v44 dst_sel:DWORD dst_unused:UNUSED_PAD src0_sel:DWORD src1_sel:BYTE_3
	v_cndmask_b32_e32 v62, v77, v62, vcc_lo
	v_and_b32_e32 v44, 0x80000000, v44
	v_and_b32_e32 v75, 7, v75
	v_lshl_add_u32 v62, v62, 23, 0x3b800000
	v_cndmask_b32_e32 v57, v57, v75, vcc_lo
	v_lshlrev_b32_e32 v57, 20, v57
	v_or3_b32 v57, v44, v62, v57
.LBB4_1052:                             ;   in Loop: Header=BB4_130 Depth=2
	s_or_b32 exec_lo, exec_lo, s40
	v_cmp_gt_i16_sdwa s40, v11, v96 src0_sel:BYTE_3 src1_sel:DWORD
	s_mov_b32 s13, 0
	s_and_saveexec_b32 s41, s40
	s_xor_b32 s40, exec_lo, s41
	s_cbranch_execz .LBB4_1382
; %bb.1053:                             ;   in Loop: Header=BB4_130 Depth=2
	v_cmp_eq_u16_sdwa s42, v11, v97 src0_sel:BYTE_3 src1_sel:DWORD
	s_mov_b32 s13, -1
	s_and_saveexec_b32 s41, s42
; %bb.1054:                             ;   in Loop: Header=BB4_130 Depth=2
	s_xor_b32 s13, exec_lo, -1
; %bb.1055:                             ;   in Loop: Header=BB4_130 Depth=2
	s_or_b32 exec_lo, exec_lo, s41
	s_and_b32 s13, s13, exec_lo
	s_or_saveexec_b32 s40, s40
	v_mov_b32_e32 v44, 0x7f800001
	s_xor_b32 exec_lo, exec_lo, s40
	s_cbranch_execnz .LBB4_1383
.LBB4_1056:                             ;   in Loop: Header=BB4_130 Depth=2
	s_or_b32 exec_lo, exec_lo, s40
	s_and_saveexec_b32 s40, s13
	s_cbranch_execz .LBB4_1058
.LBB4_1057:                             ;   in Loop: Header=BB4_130 Depth=2
	v_bfe_u32 v44, v11, 24, 3
	v_bfe_u32 v77, v11, 27, 4
	v_ffbh_u32_e32 v62, v44
	v_cmp_eq_u32_e32 vcc_lo, 0, v77
	v_min_u32_e32 v62, 32, v62
	v_subrev_nc_u32_e32 v75, 28, v62
	v_sub_nc_u32_e32 v62, 29, v62
	v_lshlrev_b32_sdwa v75, v75, v11 dst_sel:DWORD dst_unused:UNUSED_PAD src0_sel:DWORD src1_sel:BYTE_3
	v_cndmask_b32_e32 v62, v77, v62, vcc_lo
	v_and_b32_e32 v11, 0x80000000, v11
	v_and_b32_e32 v75, 7, v75
	v_lshl_add_u32 v62, v62, 23, 0x3b800000
	v_cndmask_b32_e32 v44, v44, v75, vcc_lo
	v_lshlrev_b32_e32 v44, 20, v44
	v_or3_b32 v44, v11, v62, v44
.LBB4_1058:                             ;   in Loop: Header=BB4_130 Depth=2
	s_or_b32 exec_lo, exec_lo, s40
	v_add_f32_e32 v44, v57, v44
	v_and_b32_e32 v11, 0x7f800000, v44
	v_cmp_ne_u32_e32 vcc_lo, 0x7f800000, v11
	v_mov_b32_e32 v11, 0x8000
	s_and_saveexec_b32 s40, vcc_lo
	s_cbranch_execz .LBB4_1066
; %bb.1059:                             ;   in Loop: Header=BB4_130 Depth=2
	v_mov_b32_e32 v11, 0
	s_mov_b32 s41, exec_lo
	v_cmpx_ne_u32_e32 0, v44
	s_cbranch_execz .LBB4_1065
; %bb.1060:                             ;   in Loop: Header=BB4_130 Depth=2
	v_bfe_u32 v11, v44, 23, 8
	v_and_b32_e32 v57, 0x7fffff, v44
	v_sub_nc_u32_e32 v62, 0x78, v11
	v_cmp_gt_u32_e32 vcc_lo, 0x79, v11
	v_or_b32_e32 v75, 0x800000, v57
	v_cndmask_b32_e32 v62, 0, v62, vcc_lo
	v_cmp_eq_u32_e32 vcc_lo, 0, v11
	v_add_nc_u32_e32 v11, 0xffffff89, v11
	v_cndmask_b32_e64 v62, v62, 0x77, vcc_lo
	v_cndmask_b32_e32 v57, v75, v57, vcc_lo
	v_cndmask_b32_e64 v11, v11, 0xffffff8a, vcc_lo
	v_lshl_add_u32 v75, 0x100000, v62, -1
	v_lshrrev_b32_e32 v77, v62, v57
	v_lshlrev_b32_e64 v79, v62, 0x80000
	v_add_nc_u32_e32 v62, v62, v11
	v_and_b32_e32 v57, v75, v57
	v_bfe_u32 v78, v77, 20, 1
	v_cmp_eq_u32_e64 s13, v57, v79
	v_add_nc_u32_e32 v75, -1, v78
	v_cndmask_b32_e64 v57, 0, v75, s13
	v_lshrrev_b32_e32 v75, 23, v77
	s_mov_b32 s13, exec_lo
	v_add_nc_u32_e32 v57, v57, v77
	v_xor_b32_e32 v75, 1, v75
	v_and_b32_e32 v11, 0xfffff, v57
	v_add_nc_u32_e32 v57, v11, v77
                                        ; implicit-def: $vgpr11
	v_cmpx_ne_u32_e64 v62, v75
	s_xor_b32 s13, exec_lo, s13
; %bb.1061:                             ;   in Loop: Header=BB4_130 Depth=2
	v_cmp_lt_u32_e32 vcc_lo, 0xffffff, v57
	v_sub_nc_u32_e32 v11, v62, v75
	v_cndmask_b32_e64 v62, 0, 1, vcc_lo
	v_add_co_ci_u32_e64 v11, null, 0, v11, vcc_lo
	v_lshrrev_b32_e32 v57, v62, v57
; %bb.1062:                             ;   in Loop: Header=BB4_130 Depth=2
	s_andn2_saveexec_b32 s13, s13
; %bb.1063:                             ;   in Loop: Header=BB4_130 Depth=2
	v_bfe_u32 v11, v57, 23, 1
; %bb.1064:                             ;   in Loop: Header=BB4_130 Depth=2
	s_or_b32 exec_lo, exec_lo, s13
	v_lshrrev_b32_e32 v57, 20, v57
	v_min_i32_e32 v62, 15, v11
	v_cmp_gt_i32_e32 vcc_lo, 16, v11
	v_and_b32_sdwa v44, v44, v97 dst_sel:DWORD dst_unused:UNUSED_PAD src0_sel:BYTE_3 src1_sel:DWORD
	v_lshlrev_b32_e32 v62, 3, v62
	v_cndmask_b32_e32 v57, 7, v57, vcc_lo
	v_and_b32_e32 v62, 0xf8, v62
	v_and_b32_e32 v75, 7, v57
	v_or_b32_e32 v11, v11, v57
	v_or3_b32 v44, v44, v62, v75
	v_cmp_ne_u32_e32 vcc_lo, 0, v11
	v_lshlrev_b32_e32 v44, 8, v44
	v_cndmask_b32_e32 v11, 0, v44, vcc_lo
.LBB4_1065:                             ;   in Loop: Header=BB4_130 Depth=2
	s_or_b32 exec_lo, exec_lo, s41
.LBB4_1066:                             ;   in Loop: Header=BB4_130 Depth=2
	s_or_b32 exec_lo, exec_lo, s40
	v_or_b32_e32 v44, v42, v118
	s_mov_b32 s13, 0
	v_cmp_gt_i16_sdwa s40, v44, v96 src0_sel:BYTE_0 src1_sel:DWORD
	s_and_saveexec_b32 s41, s40
	s_xor_b32 s40, exec_lo, s41
	s_cbranch_execz .LBB4_1384
; %bb.1067:                             ;   in Loop: Header=BB4_130 Depth=2
	v_cmp_eq_u16_sdwa s42, v44, v97 src0_sel:BYTE_0 src1_sel:DWORD
	s_mov_b32 s13, -1
	s_and_saveexec_b32 s41, s42
; %bb.1068:                             ;   in Loop: Header=BB4_130 Depth=2
	s_xor_b32 s13, exec_lo, -1
; %bb.1069:                             ;   in Loop: Header=BB4_130 Depth=2
	s_or_b32 exec_lo, exec_lo, s41
	s_and_b32 s13, s13, exec_lo
	s_or_saveexec_b32 s40, s40
	v_mov_b32_e32 v118, 0x7f800001
	s_xor_b32 exec_lo, exec_lo, s40
	s_cbranch_execnz .LBB4_1385
.LBB4_1070:                             ;   in Loop: Header=BB4_130 Depth=2
	s_or_b32 exec_lo, exec_lo, s40
	s_and_saveexec_b32 s40, s13
	s_cbranch_execz .LBB4_1072
.LBB4_1071:                             ;   in Loop: Header=BB4_130 Depth=2
	v_and_b32_e32 v118, 7, v44
	v_bfe_u32 v62, v44, 3, 4
	v_lshlrev_b32_e32 v75, 24, v44
	v_ffbh_u32_e32 v42, v118
	v_cmp_eq_u32_e32 vcc_lo, 0, v62
	v_min_u32_e32 v42, 32, v42
	v_subrev_nc_u32_e32 v57, 28, v42
	v_sub_nc_u32_e32 v42, 29, v42
	v_lshlrev_b32_e32 v57, v57, v44
	v_cndmask_b32_e32 v42, v62, v42, vcc_lo
	v_and_b32_e32 v57, 7, v57
	v_lshl_add_u32 v42, v42, 23, 0x3b800000
	v_cndmask_b32_e32 v118, v118, v57, vcc_lo
	v_and_b32_e32 v57, 0x80000000, v75
	v_lshlrev_b32_e32 v118, 20, v118
	v_or3_b32 v118, v57, v42, v118
.LBB4_1072:                             ;   in Loop: Header=BB4_130 Depth=2
	s_or_b32 exec_lo, exec_lo, s40
	v_cmp_gt_i16_sdwa s40, v12, v96 src0_sel:BYTE_0 src1_sel:DWORD
	s_mov_b32 s13, 0
	s_and_saveexec_b32 s41, s40
	s_xor_b32 s40, exec_lo, s41
	s_cbranch_execz .LBB4_1386
; %bb.1073:                             ;   in Loop: Header=BB4_130 Depth=2
	v_cmp_eq_u16_sdwa s42, v12, v97 src0_sel:BYTE_0 src1_sel:DWORD
	s_mov_b32 s13, -1
	s_and_saveexec_b32 s41, s42
; %bb.1074:                             ;   in Loop: Header=BB4_130 Depth=2
	s_xor_b32 s13, exec_lo, -1
; %bb.1075:                             ;   in Loop: Header=BB4_130 Depth=2
	s_or_b32 exec_lo, exec_lo, s41
	s_and_b32 s13, s13, exec_lo
	s_or_saveexec_b32 s40, s40
	v_mov_b32_e32 v42, 0x7f800001
	s_xor_b32 exec_lo, exec_lo, s40
	s_cbranch_execnz .LBB4_1387
.LBB4_1076:                             ;   in Loop: Header=BB4_130 Depth=2
	s_or_b32 exec_lo, exec_lo, s40
	s_and_saveexec_b32 s40, s13
	s_cbranch_execz .LBB4_1078
.LBB4_1077:                             ;   in Loop: Header=BB4_130 Depth=2
	v_and_b32_e32 v42, 7, v12
	v_bfe_u32 v75, v12, 3, 4
	v_lshlrev_b32_e32 v77, 24, v12
	v_ffbh_u32_e32 v57, v42
	v_cmp_eq_u32_e32 vcc_lo, 0, v75
	v_min_u32_e32 v57, 32, v57
	v_subrev_nc_u32_e32 v62, 28, v57
	v_sub_nc_u32_e32 v57, 29, v57
	v_lshlrev_b32_e32 v62, v62, v12
	v_cndmask_b32_e32 v57, v75, v57, vcc_lo
	v_and_b32_e32 v62, 7, v62
	v_lshl_add_u32 v57, v57, 23, 0x3b800000
	v_cndmask_b32_e32 v42, v42, v62, vcc_lo
	v_and_b32_e32 v62, 0x80000000, v77
	v_lshlrev_b32_e32 v42, 20, v42
	v_or3_b32 v42, v62, v57, v42
.LBB4_1078:                             ;   in Loop: Header=BB4_130 Depth=2
	s_or_b32 exec_lo, exec_lo, s40
	v_add_f32_e32 v42, v118, v42
	v_and_b32_e32 v118, 0x7f800000, v42
	v_cmp_ne_u32_e32 vcc_lo, 0x7f800000, v118
	v_mov_b32_e32 v118, 0x80
	s_and_saveexec_b32 s40, vcc_lo
	s_cbranch_execz .LBB4_1086
; %bb.1079:                             ;   in Loop: Header=BB4_130 Depth=2
	v_mov_b32_e32 v118, 0
	s_mov_b32 s41, exec_lo
	v_cmpx_ne_u32_e32 0, v42
	s_cbranch_execz .LBB4_1085
; %bb.1080:                             ;   in Loop: Header=BB4_130 Depth=2
	v_bfe_u32 v118, v42, 23, 8
	v_and_b32_e32 v57, 0x7fffff, v42
	v_sub_nc_u32_e32 v62, 0x78, v118
	v_cmp_gt_u32_e32 vcc_lo, 0x79, v118
	v_or_b32_e32 v75, 0x800000, v57
	v_cndmask_b32_e32 v62, 0, v62, vcc_lo
	v_cmp_eq_u32_e32 vcc_lo, 0, v118
	v_add_nc_u32_e32 v118, 0xffffff89, v118
	v_cndmask_b32_e64 v62, v62, 0x77, vcc_lo
	v_cndmask_b32_e32 v57, v75, v57, vcc_lo
	v_cndmask_b32_e64 v118, v118, 0xffffff8a, vcc_lo
	v_lshl_add_u32 v75, 0x100000, v62, -1
	v_lshrrev_b32_e32 v77, v62, v57
	v_lshlrev_b32_e64 v79, v62, 0x80000
	v_add_nc_u32_e32 v62, v62, v118
	v_and_b32_e32 v57, v75, v57
	v_bfe_u32 v78, v77, 20, 1
	v_cmp_eq_u32_e64 s13, v57, v79
	v_add_nc_u32_e32 v75, -1, v78
	v_cndmask_b32_e64 v57, 0, v75, s13
	v_lshrrev_b32_e32 v75, 23, v77
	s_mov_b32 s13, exec_lo
	v_add_nc_u32_e32 v57, v57, v77
	v_xor_b32_e32 v75, 1, v75
	v_and_b32_e32 v118, 0xfffff, v57
	v_add_nc_u32_e32 v57, v118, v77
                                        ; implicit-def: $vgpr118
	v_cmpx_ne_u32_e64 v62, v75
	s_xor_b32 s13, exec_lo, s13
; %bb.1081:                             ;   in Loop: Header=BB4_130 Depth=2
	v_cmp_lt_u32_e32 vcc_lo, 0xffffff, v57
	v_sub_nc_u32_e32 v118, v62, v75
	v_cndmask_b32_e64 v62, 0, 1, vcc_lo
	v_add_co_ci_u32_e64 v118, null, 0, v118, vcc_lo
	v_lshrrev_b32_e32 v57, v62, v57
; %bb.1082:                             ;   in Loop: Header=BB4_130 Depth=2
	s_andn2_saveexec_b32 s13, s13
; %bb.1083:                             ;   in Loop: Header=BB4_130 Depth=2
	v_bfe_u32 v118, v57, 23, 1
; %bb.1084:                             ;   in Loop: Header=BB4_130 Depth=2
	s_or_b32 exec_lo, exec_lo, s13
	v_lshrrev_b32_e32 v57, 20, v57
	v_min_i32_e32 v62, 15, v118
	v_cmp_gt_i32_e32 vcc_lo, 16, v118
	v_and_b32_sdwa v42, v42, v97 dst_sel:DWORD dst_unused:UNUSED_PAD src0_sel:BYTE_3 src1_sel:DWORD
	v_lshlrev_b32_e32 v62, 3, v62
	v_cndmask_b32_e32 v57, 7, v57, vcc_lo
	v_and_b32_e32 v62, 0xf8, v62
	v_and_b32_e32 v75, 7, v57
	v_or_b32_e32 v118, v118, v57
	v_or3_b32 v42, v62, v42, v75
	v_cmp_ne_u32_e32 vcc_lo, 0, v118
	v_cndmask_b32_e32 v118, 0, v42, vcc_lo
.LBB4_1085:                             ;   in Loop: Header=BB4_130 Depth=2
	s_or_b32 exec_lo, exec_lo, s41
.LBB4_1086:                             ;   in Loop: Header=BB4_130 Depth=2
	s_or_b32 exec_lo, exec_lo, s40
	v_cmp_gt_i16_sdwa s40, v44, v96 src0_sel:BYTE_1 src1_sel:DWORD
	s_mov_b32 s13, 0
	s_and_saveexec_b32 s41, s40
	s_xor_b32 s40, exec_lo, s41
	s_cbranch_execz .LBB4_1388
; %bb.1087:                             ;   in Loop: Header=BB4_130 Depth=2
	v_cmp_eq_u16_sdwa s42, v44, v97 src0_sel:BYTE_1 src1_sel:DWORD
	s_mov_b32 s13, -1
	s_and_saveexec_b32 s41, s42
; %bb.1088:                             ;   in Loop: Header=BB4_130 Depth=2
	s_xor_b32 s13, exec_lo, -1
; %bb.1089:                             ;   in Loop: Header=BB4_130 Depth=2
	s_or_b32 exec_lo, exec_lo, s41
	s_and_b32 s13, s13, exec_lo
	s_or_saveexec_b32 s40, s40
	v_mov_b32_e32 v42, 0x7f800001
	s_xor_b32 exec_lo, exec_lo, s40
	s_cbranch_execnz .LBB4_1389
.LBB4_1090:                             ;   in Loop: Header=BB4_130 Depth=2
	s_or_b32 exec_lo, exec_lo, s40
	s_and_saveexec_b32 s40, s13
	s_cbranch_execz .LBB4_1092
.LBB4_1091:                             ;   in Loop: Header=BB4_130 Depth=2
	v_and_b32_sdwa v42, v98, v44 dst_sel:DWORD dst_unused:UNUSED_PAD src0_sel:DWORD src1_sel:BYTE_1
	v_and_b32_e32 v57, 7, v42
	v_bfe_u32 v77, v42, 3, 4
	v_ffbh_u32_e32 v62, v57
	v_cmp_eq_u32_e32 vcc_lo, 0, v77
	v_min_u32_e32 v62, 32, v62
	v_subrev_nc_u32_e32 v75, 28, v62
	v_sub_nc_u32_e32 v62, 29, v62
	v_lshlrev_b32_e32 v42, v75, v42
	v_lshlrev_b32_sdwa v75, v99, v44 dst_sel:DWORD dst_unused:UNUSED_PAD src0_sel:DWORD src1_sel:BYTE_1
	v_cndmask_b32_e32 v62, v77, v62, vcc_lo
	v_and_b32_e32 v42, 7, v42
	v_lshl_add_u32 v62, v62, 23, 0x3b800000
	v_cndmask_b32_e32 v42, v57, v42, vcc_lo
	v_and_b32_e32 v57, 0x80000000, v75
	v_lshlrev_b32_e32 v42, 20, v42
	v_or3_b32 v42, v57, v62, v42
.LBB4_1092:                             ;   in Loop: Header=BB4_130 Depth=2
	s_or_b32 exec_lo, exec_lo, s40
	v_cmp_gt_i16_sdwa s40, v12, v96 src0_sel:BYTE_1 src1_sel:DWORD
	s_mov_b32 s13, 0
	s_and_saveexec_b32 s41, s40
	s_xor_b32 s40, exec_lo, s41
	s_cbranch_execz .LBB4_1390
; %bb.1093:                             ;   in Loop: Header=BB4_130 Depth=2
	v_cmp_eq_u16_sdwa s42, v12, v97 src0_sel:BYTE_1 src1_sel:DWORD
	s_mov_b32 s13, -1
	s_and_saveexec_b32 s41, s42
; %bb.1094:                             ;   in Loop: Header=BB4_130 Depth=2
	s_xor_b32 s13, exec_lo, -1
; %bb.1095:                             ;   in Loop: Header=BB4_130 Depth=2
	s_or_b32 exec_lo, exec_lo, s41
	s_and_b32 s13, s13, exec_lo
	s_or_saveexec_b32 s40, s40
	v_mov_b32_e32 v57, 0x7f800001
	s_xor_b32 exec_lo, exec_lo, s40
	s_cbranch_execnz .LBB4_1391
.LBB4_1096:                             ;   in Loop: Header=BB4_130 Depth=2
	s_or_b32 exec_lo, exec_lo, s40
	s_and_saveexec_b32 s40, s13
	s_cbranch_execz .LBB4_1098
.LBB4_1097:                             ;   in Loop: Header=BB4_130 Depth=2
	v_and_b32_sdwa v57, v98, v12 dst_sel:DWORD dst_unused:UNUSED_PAD src0_sel:DWORD src1_sel:BYTE_1
	v_and_b32_e32 v62, 7, v57
	v_bfe_u32 v78, v57, 3, 4
	v_ffbh_u32_e32 v75, v62
	v_cmp_eq_u32_e32 vcc_lo, 0, v78
	v_min_u32_e32 v75, 32, v75
	v_subrev_nc_u32_e32 v77, 28, v75
	v_sub_nc_u32_e32 v75, 29, v75
	v_lshlrev_b32_e32 v57, v77, v57
	v_lshlrev_b32_sdwa v77, v99, v12 dst_sel:DWORD dst_unused:UNUSED_PAD src0_sel:DWORD src1_sel:BYTE_1
	v_cndmask_b32_e32 v75, v78, v75, vcc_lo
	v_and_b32_e32 v57, 7, v57
	v_lshl_add_u32 v75, v75, 23, 0x3b800000
	v_cndmask_b32_e32 v57, v62, v57, vcc_lo
	v_and_b32_e32 v62, 0x80000000, v77
	v_lshlrev_b32_e32 v57, 20, v57
	v_or3_b32 v57, v62, v75, v57
.LBB4_1098:                             ;   in Loop: Header=BB4_130 Depth=2
	s_or_b32 exec_lo, exec_lo, s40
	v_add_f32_e32 v57, v42, v57
	v_and_b32_e32 v42, 0x7f800000, v57
	v_cmp_ne_u32_e32 vcc_lo, 0x7f800000, v42
	v_mov_b32_e32 v42, 0x8000
	s_and_saveexec_b32 s40, vcc_lo
	s_cbranch_execz .LBB4_1106
; %bb.1099:                             ;   in Loop: Header=BB4_130 Depth=2
	v_mov_b32_e32 v42, 0
	s_mov_b32 s41, exec_lo
	v_cmpx_ne_u32_e32 0, v57
	s_cbranch_execz .LBB4_1105
; %bb.1100:                             ;   in Loop: Header=BB4_130 Depth=2
	v_bfe_u32 v42, v57, 23, 8
	v_and_b32_e32 v62, 0x7fffff, v57
	v_sub_nc_u32_e32 v75, 0x78, v42
	v_cmp_gt_u32_e32 vcc_lo, 0x79, v42
	v_or_b32_e32 v77, 0x800000, v62
	v_cndmask_b32_e32 v75, 0, v75, vcc_lo
	v_cmp_eq_u32_e32 vcc_lo, 0, v42
	v_add_nc_u32_e32 v42, 0xffffff89, v42
	v_cndmask_b32_e64 v75, v75, 0x77, vcc_lo
	v_cndmask_b32_e32 v62, v77, v62, vcc_lo
	v_cndmask_b32_e64 v42, v42, 0xffffff8a, vcc_lo
	v_lshl_add_u32 v77, 0x100000, v75, -1
	v_lshrrev_b32_e32 v78, v75, v62
	v_lshlrev_b32_e64 v88, v75, 0x80000
	v_add_nc_u32_e32 v75, v75, v42
	v_and_b32_e32 v62, v77, v62
	v_bfe_u32 v79, v78, 20, 1
	v_cmp_eq_u32_e64 s13, v62, v88
	v_add_nc_u32_e32 v77, -1, v79
	v_cndmask_b32_e64 v62, 0, v77, s13
	v_lshrrev_b32_e32 v77, 23, v78
	s_mov_b32 s13, exec_lo
	v_add_nc_u32_e32 v62, v62, v78
	v_xor_b32_e32 v77, 1, v77
	v_and_b32_e32 v42, 0xfffff, v62
	v_add_nc_u32_e32 v62, v42, v78
                                        ; implicit-def: $vgpr42
	v_cmpx_ne_u32_e64 v75, v77
	s_xor_b32 s13, exec_lo, s13
; %bb.1101:                             ;   in Loop: Header=BB4_130 Depth=2
	v_cmp_lt_u32_e32 vcc_lo, 0xffffff, v62
	v_sub_nc_u32_e32 v42, v75, v77
	v_cndmask_b32_e64 v75, 0, 1, vcc_lo
	v_add_co_ci_u32_e64 v42, null, 0, v42, vcc_lo
	v_lshrrev_b32_e32 v62, v75, v62
; %bb.1102:                             ;   in Loop: Header=BB4_130 Depth=2
	s_andn2_saveexec_b32 s13, s13
; %bb.1103:                             ;   in Loop: Header=BB4_130 Depth=2
	v_bfe_u32 v42, v62, 23, 1
; %bb.1104:                             ;   in Loop: Header=BB4_130 Depth=2
	s_or_b32 exec_lo, exec_lo, s13
	v_lshrrev_b32_e32 v62, 20, v62
	v_min_i32_e32 v75, 15, v42
	v_cmp_gt_i32_e32 vcc_lo, 16, v42
	v_and_b32_sdwa v57, v57, v97 dst_sel:DWORD dst_unused:UNUSED_PAD src0_sel:BYTE_3 src1_sel:DWORD
	v_lshlrev_b32_e32 v75, 3, v75
	v_cndmask_b32_e32 v62, 7, v62, vcc_lo
	v_and_b32_e32 v75, 0xf8, v75
	v_and_b32_e32 v77, 7, v62
	v_or_b32_e32 v42, v42, v62
	v_or3_b32 v57, v57, v75, v77
	v_cmp_ne_u32_e32 vcc_lo, 0, v42
	v_lshlrev_b32_e32 v57, 8, v57
	v_cndmask_b32_e32 v42, 0, v57, vcc_lo
.LBB4_1105:                             ;   in Loop: Header=BB4_130 Depth=2
	s_or_b32 exec_lo, exec_lo, s41
.LBB4_1106:                             ;   in Loop: Header=BB4_130 Depth=2
	s_or_b32 exec_lo, exec_lo, s40
	v_or_b32_e32 v40, v40, v116
	s_mov_b32 s13, 0
	v_cmp_gt_i16_sdwa s40, v40, v96 src0_sel:BYTE_0 src1_sel:DWORD
	s_and_saveexec_b32 s41, s40
	s_xor_b32 s40, exec_lo, s41
	s_cbranch_execz .LBB4_1392
; %bb.1107:                             ;   in Loop: Header=BB4_130 Depth=2
	v_cmp_eq_u16_sdwa s42, v40, v97 src0_sel:BYTE_0 src1_sel:DWORD
	s_mov_b32 s13, -1
	s_and_saveexec_b32 s41, s42
; %bb.1108:                             ;   in Loop: Header=BB4_130 Depth=2
	s_xor_b32 s13, exec_lo, -1
; %bb.1109:                             ;   in Loop: Header=BB4_130 Depth=2
	s_or_b32 exec_lo, exec_lo, s41
	s_and_b32 s13, s13, exec_lo
	s_or_saveexec_b32 s40, s40
	v_mov_b32_e32 v116, 0x7f800001
	s_xor_b32 exec_lo, exec_lo, s40
	s_cbranch_execnz .LBB4_1393
.LBB4_1110:                             ;   in Loop: Header=BB4_130 Depth=2
	s_or_b32 exec_lo, exec_lo, s40
	v_lshl_or_b32 v40, v40, 16, v44
	s_and_saveexec_b32 s40, s13
	s_cbranch_execz .LBB4_1112
.LBB4_1111:                             ;   in Loop: Header=BB4_130 Depth=2
	v_bfe_u32 v116, v40, 16, 3
	v_bfe_u32 v62, v40, 19, 4
	v_lshlrev_b32_e32 v75, 8, v40
	v_ffbh_u32_e32 v44, v116
	v_cmp_eq_u32_e32 vcc_lo, 0, v62
	v_min_u32_e32 v44, 32, v44
	v_subrev_nc_u32_e32 v57, 28, v44
	v_sub_nc_u32_e32 v44, 29, v44
	v_lshlrev_b32_sdwa v57, v57, v40 dst_sel:DWORD dst_unused:UNUSED_PAD src0_sel:DWORD src1_sel:WORD_1
	v_cndmask_b32_e32 v44, v62, v44, vcc_lo
	v_and_b32_e32 v57, 7, v57
	v_lshl_add_u32 v44, v44, 23, 0x3b800000
	v_cndmask_b32_e32 v116, v116, v57, vcc_lo
	v_and_b32_e32 v57, 0x80000000, v75
	v_lshlrev_b32_e32 v116, 20, v116
	v_or3_b32 v116, v57, v44, v116
.LBB4_1112:                             ;   in Loop: Header=BB4_130 Depth=2
	s_or_b32 exec_lo, exec_lo, s40
	v_and_b32_sdwa v57, v12, v100 dst_sel:DWORD dst_unused:UNUSED_PAD src0_sel:WORD_1 src1_sel:DWORD
	s_mov_b32 s13, 0
	s_mov_b32 s40, exec_lo
	v_cmpx_lt_i16_e32 0x7f, v57
	s_xor_b32 s40, exec_lo, s40
	s_cbranch_execz .LBB4_1394
; %bb.1113:                             ;   in Loop: Header=BB4_130 Depth=2
	s_mov_b32 s13, -1
	s_mov_b32 s41, exec_lo
	v_cmpx_eq_u16_e32 0x80, v57
; %bb.1114:                             ;   in Loop: Header=BB4_130 Depth=2
	s_xor_b32 s13, exec_lo, -1
; %bb.1115:                             ;   in Loop: Header=BB4_130 Depth=2
	s_or_b32 exec_lo, exec_lo, s41
	s_and_b32 s13, s13, exec_lo
                                        ; implicit-def: $vgpr57
	s_or_saveexec_b32 s40, s40
	v_mov_b32_e32 v44, 0x7f800001
	s_xor_b32 exec_lo, exec_lo, s40
	s_cbranch_execnz .LBB4_1395
.LBB4_1116:                             ;   in Loop: Header=BB4_130 Depth=2
	s_or_b32 exec_lo, exec_lo, s40
	s_and_saveexec_b32 s40, s13
	s_cbranch_execz .LBB4_1118
.LBB4_1117:                             ;   in Loop: Header=BB4_130 Depth=2
	v_bfe_u32 v44, v12, 16, 3
	v_bfe_u32 v75, v12, 19, 4
	v_lshlrev_b32_e32 v77, 8, v12
	v_ffbh_u32_e32 v57, v44
	v_cmp_eq_u32_e32 vcc_lo, 0, v75
	v_min_u32_e32 v57, 32, v57
	v_subrev_nc_u32_e32 v62, 28, v57
	v_sub_nc_u32_e32 v57, 29, v57
	v_lshlrev_b32_sdwa v62, v62, v12 dst_sel:DWORD dst_unused:UNUSED_PAD src0_sel:DWORD src1_sel:WORD_1
	v_cndmask_b32_e32 v57, v75, v57, vcc_lo
	v_and_b32_e32 v62, 7, v62
	v_lshl_add_u32 v57, v57, 23, 0x3b800000
	v_cndmask_b32_e32 v44, v44, v62, vcc_lo
	v_and_b32_e32 v62, 0x80000000, v77
	v_lshlrev_b32_e32 v44, 20, v44
	v_or3_b32 v44, v62, v57, v44
.LBB4_1118:                             ;   in Loop: Header=BB4_130 Depth=2
	s_or_b32 exec_lo, exec_lo, s40
	v_add_f32_e32 v44, v116, v44
	v_and_b32_e32 v116, 0x7f800000, v44
	v_cmp_ne_u32_e32 vcc_lo, 0x7f800000, v116
	v_mov_b32_e32 v116, 0x80
	s_and_saveexec_b32 s40, vcc_lo
	s_cbranch_execz .LBB4_1126
; %bb.1119:                             ;   in Loop: Header=BB4_130 Depth=2
	v_mov_b32_e32 v116, 0
	s_mov_b32 s41, exec_lo
	v_cmpx_ne_u32_e32 0, v44
	s_cbranch_execz .LBB4_1125
; %bb.1120:                             ;   in Loop: Header=BB4_130 Depth=2
	v_bfe_u32 v116, v44, 23, 8
	v_and_b32_e32 v57, 0x7fffff, v44
	v_sub_nc_u32_e32 v62, 0x78, v116
	v_cmp_gt_u32_e32 vcc_lo, 0x79, v116
	v_or_b32_e32 v75, 0x800000, v57
	v_cndmask_b32_e32 v62, 0, v62, vcc_lo
	v_cmp_eq_u32_e32 vcc_lo, 0, v116
	v_add_nc_u32_e32 v116, 0xffffff89, v116
	v_cndmask_b32_e64 v62, v62, 0x77, vcc_lo
	v_cndmask_b32_e32 v57, v75, v57, vcc_lo
	v_cndmask_b32_e64 v116, v116, 0xffffff8a, vcc_lo
	v_lshl_add_u32 v75, 0x100000, v62, -1
	v_lshrrev_b32_e32 v77, v62, v57
	v_lshlrev_b32_e64 v79, v62, 0x80000
	v_add_nc_u32_e32 v62, v62, v116
	v_and_b32_e32 v57, v75, v57
	v_bfe_u32 v78, v77, 20, 1
	v_cmp_eq_u32_e64 s13, v57, v79
	v_add_nc_u32_e32 v75, -1, v78
	v_cndmask_b32_e64 v57, 0, v75, s13
	v_lshrrev_b32_e32 v75, 23, v77
	s_mov_b32 s13, exec_lo
	v_add_nc_u32_e32 v57, v57, v77
	v_xor_b32_e32 v75, 1, v75
	v_and_b32_e32 v116, 0xfffff, v57
	v_add_nc_u32_e32 v57, v116, v77
                                        ; implicit-def: $vgpr116
	v_cmpx_ne_u32_e64 v62, v75
	s_xor_b32 s13, exec_lo, s13
; %bb.1121:                             ;   in Loop: Header=BB4_130 Depth=2
	v_cmp_lt_u32_e32 vcc_lo, 0xffffff, v57
	v_sub_nc_u32_e32 v116, v62, v75
	v_cndmask_b32_e64 v62, 0, 1, vcc_lo
	v_add_co_ci_u32_e64 v116, null, 0, v116, vcc_lo
	v_lshrrev_b32_e32 v57, v62, v57
; %bb.1122:                             ;   in Loop: Header=BB4_130 Depth=2
	s_andn2_saveexec_b32 s13, s13
; %bb.1123:                             ;   in Loop: Header=BB4_130 Depth=2
	v_bfe_u32 v116, v57, 23, 1
; %bb.1124:                             ;   in Loop: Header=BB4_130 Depth=2
	s_or_b32 exec_lo, exec_lo, s13
	v_lshrrev_b32_e32 v57, 20, v57
	v_min_i32_e32 v62, 15, v116
	v_cmp_gt_i32_e32 vcc_lo, 16, v116
	v_and_b32_sdwa v44, v44, v97 dst_sel:DWORD dst_unused:UNUSED_PAD src0_sel:BYTE_3 src1_sel:DWORD
	v_lshlrev_b32_e32 v62, 3, v62
	v_cndmask_b32_e32 v57, 7, v57, vcc_lo
	v_and_b32_e32 v62, 0xf8, v62
	v_and_b32_e32 v75, 7, v57
	v_or_b32_e32 v116, v116, v57
	v_or3_b32 v44, v62, v44, v75
	v_cmp_ne_u32_e32 vcc_lo, 0, v116
	v_cndmask_b32_e32 v116, 0, v44, vcc_lo
.LBB4_1125:                             ;   in Loop: Header=BB4_130 Depth=2
	s_or_b32 exec_lo, exec_lo, s41
.LBB4_1126:                             ;   in Loop: Header=BB4_130 Depth=2
	s_or_b32 exec_lo, exec_lo, s40
	v_cmp_gt_i16_sdwa s40, v40, v96 src0_sel:BYTE_3 src1_sel:DWORD
	s_mov_b32 s13, 0
	s_and_saveexec_b32 s41, s40
	s_xor_b32 s40, exec_lo, s41
	s_cbranch_execz .LBB4_1396
; %bb.1127:                             ;   in Loop: Header=BB4_130 Depth=2
	v_cmp_eq_u16_sdwa s42, v40, v97 src0_sel:BYTE_3 src1_sel:DWORD
	s_mov_b32 s13, -1
	s_and_saveexec_b32 s41, s42
; %bb.1128:                             ;   in Loop: Header=BB4_130 Depth=2
	s_xor_b32 s13, exec_lo, -1
; %bb.1129:                             ;   in Loop: Header=BB4_130 Depth=2
	s_or_b32 exec_lo, exec_lo, s41
	s_and_b32 s13, s13, exec_lo
	s_or_saveexec_b32 s40, s40
	v_mov_b32_e32 v44, 0x7f800001
	s_xor_b32 exec_lo, exec_lo, s40
	s_cbranch_execnz .LBB4_1397
.LBB4_1130:                             ;   in Loop: Header=BB4_130 Depth=2
	s_or_b32 exec_lo, exec_lo, s40
	s_and_saveexec_b32 s40, s13
	s_cbranch_execz .LBB4_1132
.LBB4_1131:                             ;   in Loop: Header=BB4_130 Depth=2
	v_bfe_u32 v44, v40, 24, 3
	v_bfe_u32 v75, v40, 27, 4
	v_ffbh_u32_e32 v57, v44
	v_cmp_eq_u32_e32 vcc_lo, 0, v75
	v_min_u32_e32 v57, 32, v57
	v_subrev_nc_u32_e32 v62, 28, v57
	v_sub_nc_u32_e32 v57, 29, v57
	v_lshlrev_b32_sdwa v62, v62, v40 dst_sel:DWORD dst_unused:UNUSED_PAD src0_sel:DWORD src1_sel:BYTE_3
	v_cndmask_b32_e32 v57, v75, v57, vcc_lo
	v_and_b32_e32 v40, 0x80000000, v40
	v_and_b32_e32 v62, 7, v62
	v_lshl_add_u32 v57, v57, 23, 0x3b800000
	v_cndmask_b32_e32 v44, v44, v62, vcc_lo
	v_lshlrev_b32_e32 v44, 20, v44
	v_or3_b32 v44, v40, v57, v44
.LBB4_1132:                             ;   in Loop: Header=BB4_130 Depth=2
	s_or_b32 exec_lo, exec_lo, s40
	v_cmp_gt_i16_sdwa s40, v12, v96 src0_sel:BYTE_3 src1_sel:DWORD
	s_mov_b32 s13, 0
	s_and_saveexec_b32 s41, s40
	s_xor_b32 s40, exec_lo, s41
	s_cbranch_execz .LBB4_1398
; %bb.1133:                             ;   in Loop: Header=BB4_130 Depth=2
	v_cmp_eq_u16_sdwa s42, v12, v97 src0_sel:BYTE_3 src1_sel:DWORD
	s_mov_b32 s13, -1
	s_and_saveexec_b32 s41, s42
; %bb.1134:                             ;   in Loop: Header=BB4_130 Depth=2
	s_xor_b32 s13, exec_lo, -1
; %bb.1135:                             ;   in Loop: Header=BB4_130 Depth=2
	s_or_b32 exec_lo, exec_lo, s41
	s_and_b32 s13, s13, exec_lo
	s_or_saveexec_b32 s40, s40
	v_mov_b32_e32 v40, 0x7f800001
	s_xor_b32 exec_lo, exec_lo, s40
	s_cbranch_execnz .LBB4_1399
.LBB4_1136:                             ;   in Loop: Header=BB4_130 Depth=2
	s_or_b32 exec_lo, exec_lo, s40
	s_and_saveexec_b32 s40, s13
	s_cbranch_execz .LBB4_1138
.LBB4_1137:                             ;   in Loop: Header=BB4_130 Depth=2
	v_bfe_u32 v40, v12, 24, 3
	v_bfe_u32 v75, v12, 27, 4
	v_ffbh_u32_e32 v57, v40
	v_cmp_eq_u32_e32 vcc_lo, 0, v75
	v_min_u32_e32 v57, 32, v57
	v_subrev_nc_u32_e32 v62, 28, v57
	v_sub_nc_u32_e32 v57, 29, v57
	v_lshlrev_b32_sdwa v62, v62, v12 dst_sel:DWORD dst_unused:UNUSED_PAD src0_sel:DWORD src1_sel:BYTE_3
	v_cndmask_b32_e32 v57, v75, v57, vcc_lo
	v_and_b32_e32 v12, 0x80000000, v12
	v_and_b32_e32 v62, 7, v62
	v_lshl_add_u32 v57, v57, 23, 0x3b800000
	v_cndmask_b32_e32 v40, v40, v62, vcc_lo
	v_lshlrev_b32_e32 v40, 20, v40
	v_or3_b32 v40, v12, v57, v40
.LBB4_1138:                             ;   in Loop: Header=BB4_130 Depth=2
	s_or_b32 exec_lo, exec_lo, s40
	v_add_f32_e32 v40, v44, v40
	v_and_b32_e32 v12, 0x7f800000, v40
	v_cmp_ne_u32_e32 vcc_lo, 0x7f800000, v12
	v_mov_b32_e32 v12, 0x8000
	s_and_saveexec_b32 s40, vcc_lo
	s_cbranch_execz .LBB4_1146
; %bb.1139:                             ;   in Loop: Header=BB4_130 Depth=2
	v_mov_b32_e32 v12, 0
	s_mov_b32 s41, exec_lo
	v_cmpx_ne_u32_e32 0, v40
	s_cbranch_execz .LBB4_1145
; %bb.1140:                             ;   in Loop: Header=BB4_130 Depth=2
	v_bfe_u32 v12, v40, 23, 8
	v_and_b32_e32 v44, 0x7fffff, v40
	v_sub_nc_u32_e32 v57, 0x78, v12
	v_cmp_gt_u32_e32 vcc_lo, 0x79, v12
	v_or_b32_e32 v62, 0x800000, v44
	v_cndmask_b32_e32 v57, 0, v57, vcc_lo
	v_cmp_eq_u32_e32 vcc_lo, 0, v12
	v_add_nc_u32_e32 v12, 0xffffff89, v12
	v_cndmask_b32_e64 v57, v57, 0x77, vcc_lo
	v_cndmask_b32_e32 v44, v62, v44, vcc_lo
	v_cndmask_b32_e64 v12, v12, 0xffffff8a, vcc_lo
	v_lshl_add_u32 v62, 0x100000, v57, -1
	v_lshrrev_b32_e32 v75, v57, v44
	v_lshlrev_b32_e64 v78, v57, 0x80000
	v_add_nc_u32_e32 v57, v57, v12
	v_and_b32_e32 v44, v62, v44
	v_bfe_u32 v77, v75, 20, 1
	v_cmp_eq_u32_e64 s13, v44, v78
	v_add_nc_u32_e32 v62, -1, v77
	v_cndmask_b32_e64 v44, 0, v62, s13
	v_lshrrev_b32_e32 v62, 23, v75
	s_mov_b32 s13, exec_lo
	v_add_nc_u32_e32 v44, v44, v75
	v_xor_b32_e32 v62, 1, v62
	v_and_b32_e32 v12, 0xfffff, v44
	v_add_nc_u32_e32 v44, v12, v75
                                        ; implicit-def: $vgpr12
	v_cmpx_ne_u32_e64 v57, v62
	s_xor_b32 s13, exec_lo, s13
; %bb.1141:                             ;   in Loop: Header=BB4_130 Depth=2
	v_cmp_lt_u32_e32 vcc_lo, 0xffffff, v44
	v_sub_nc_u32_e32 v12, v57, v62
	v_cndmask_b32_e64 v57, 0, 1, vcc_lo
	v_add_co_ci_u32_e64 v12, null, 0, v12, vcc_lo
	v_lshrrev_b32_e32 v44, v57, v44
; %bb.1142:                             ;   in Loop: Header=BB4_130 Depth=2
	s_andn2_saveexec_b32 s13, s13
; %bb.1143:                             ;   in Loop: Header=BB4_130 Depth=2
	v_bfe_u32 v12, v44, 23, 1
; %bb.1144:                             ;   in Loop: Header=BB4_130 Depth=2
	s_or_b32 exec_lo, exec_lo, s13
	v_lshrrev_b32_e32 v44, 20, v44
	v_min_i32_e32 v57, 15, v12
	v_cmp_gt_i32_e32 vcc_lo, 16, v12
	v_and_b32_sdwa v40, v40, v97 dst_sel:DWORD dst_unused:UNUSED_PAD src0_sel:BYTE_3 src1_sel:DWORD
	v_lshlrev_b32_e32 v57, 3, v57
	v_cndmask_b32_e32 v44, 7, v44, vcc_lo
	v_and_b32_e32 v57, 0xf8, v57
	v_and_b32_e32 v62, 7, v44
	v_or_b32_e32 v12, v12, v44
	v_or3_b32 v40, v40, v57, v62
	v_cmp_ne_u32_e32 vcc_lo, 0, v12
	v_lshlrev_b32_e32 v40, 8, v40
	v_cndmask_b32_e32 v12, 0, v40, vcc_lo
.LBB4_1145:                             ;   in Loop: Header=BB4_130 Depth=2
	s_or_b32 exec_lo, exec_lo, s41
.LBB4_1146:                             ;   in Loop: Header=BB4_130 Depth=2
	s_or_b32 exec_lo, exec_lo, s40
	v_or_b32_e32 v117, v117, v113
	s_mov_b32 s13, 0
	v_cmp_gt_i16_sdwa s40, v117, v96 src0_sel:BYTE_0 src1_sel:DWORD
	s_and_saveexec_b32 s41, s40
	s_xor_b32 s40, exec_lo, s41
	s_cbranch_execz .LBB4_1400
; %bb.1147:                             ;   in Loop: Header=BB4_130 Depth=2
	v_cmp_eq_u16_sdwa s42, v117, v97 src0_sel:BYTE_0 src1_sel:DWORD
	s_mov_b32 s13, -1
	s_and_saveexec_b32 s41, s42
; %bb.1148:                             ;   in Loop: Header=BB4_130 Depth=2
	s_xor_b32 s13, exec_lo, -1
; %bb.1149:                             ;   in Loop: Header=BB4_130 Depth=2
	s_or_b32 exec_lo, exec_lo, s41
	s_and_b32 s13, s13, exec_lo
	s_or_saveexec_b32 s40, s40
	v_mov_b32_e32 v113, 0x7f800001
	s_xor_b32 exec_lo, exec_lo, s40
	s_cbranch_execnz .LBB4_1401
.LBB4_1150:                             ;   in Loop: Header=BB4_130 Depth=2
	s_or_b32 exec_lo, exec_lo, s40
	s_and_saveexec_b32 s40, s13
	s_cbranch_execz .LBB4_1152
.LBB4_1151:                             ;   in Loop: Header=BB4_130 Depth=2
	v_and_b32_e32 v113, 7, v117
	v_bfe_u32 v57, v117, 3, 4
	v_lshlrev_b32_e32 v62, 24, v117
	v_ffbh_u32_e32 v40, v113
	v_cmp_eq_u32_e32 vcc_lo, 0, v57
	v_min_u32_e32 v40, 32, v40
	v_subrev_nc_u32_e32 v44, 28, v40
	v_sub_nc_u32_e32 v40, 29, v40
	v_lshlrev_b32_e32 v44, v44, v117
	v_cndmask_b32_e32 v40, v57, v40, vcc_lo
	v_and_b32_e32 v44, 7, v44
	v_lshl_add_u32 v40, v40, 23, 0x3b800000
	v_cndmask_b32_e32 v113, v113, v44, vcc_lo
	v_and_b32_e32 v44, 0x80000000, v62
	v_lshlrev_b32_e32 v113, 20, v113
	v_or3_b32 v113, v44, v40, v113
.LBB4_1152:                             ;   in Loop: Header=BB4_130 Depth=2
	s_or_b32 exec_lo, exec_lo, s40
	v_cmp_gt_i16_sdwa s40, v13, v96 src0_sel:BYTE_0 src1_sel:DWORD
	s_mov_b32 s13, 0
	s_and_saveexec_b32 s41, s40
	s_xor_b32 s40, exec_lo, s41
	s_cbranch_execz .LBB4_1402
; %bb.1153:                             ;   in Loop: Header=BB4_130 Depth=2
	v_cmp_eq_u16_sdwa s42, v13, v97 src0_sel:BYTE_0 src1_sel:DWORD
	s_mov_b32 s13, -1
	s_and_saveexec_b32 s41, s42
; %bb.1154:                             ;   in Loop: Header=BB4_130 Depth=2
	s_xor_b32 s13, exec_lo, -1
; %bb.1155:                             ;   in Loop: Header=BB4_130 Depth=2
	s_or_b32 exec_lo, exec_lo, s41
	s_and_b32 s13, s13, exec_lo
	s_or_saveexec_b32 s40, s40
	v_mov_b32_e32 v40, 0x7f800001
	s_xor_b32 exec_lo, exec_lo, s40
	s_cbranch_execnz .LBB4_1403
.LBB4_1156:                             ;   in Loop: Header=BB4_130 Depth=2
	s_or_b32 exec_lo, exec_lo, s40
	s_and_saveexec_b32 s40, s13
	s_cbranch_execz .LBB4_1158
.LBB4_1157:                             ;   in Loop: Header=BB4_130 Depth=2
	v_and_b32_e32 v40, 7, v13
	v_bfe_u32 v62, v13, 3, 4
	v_lshlrev_b32_e32 v75, 24, v13
	v_ffbh_u32_e32 v44, v40
	v_cmp_eq_u32_e32 vcc_lo, 0, v62
	v_min_u32_e32 v44, 32, v44
	v_subrev_nc_u32_e32 v57, 28, v44
	v_sub_nc_u32_e32 v44, 29, v44
	v_lshlrev_b32_e32 v57, v57, v13
	v_cndmask_b32_e32 v44, v62, v44, vcc_lo
	v_and_b32_e32 v57, 7, v57
	v_lshl_add_u32 v44, v44, 23, 0x3b800000
	v_cndmask_b32_e32 v40, v40, v57, vcc_lo
	v_and_b32_e32 v57, 0x80000000, v75
	v_lshlrev_b32_e32 v40, 20, v40
	v_or3_b32 v40, v57, v44, v40
.LBB4_1158:                             ;   in Loop: Header=BB4_130 Depth=2
	s_or_b32 exec_lo, exec_lo, s40
	v_add_f32_e32 v40, v113, v40
	v_and_b32_e32 v113, 0x7f800000, v40
	v_cmp_ne_u32_e32 vcc_lo, 0x7f800000, v113
	v_mov_b32_e32 v113, 0x80
	s_and_saveexec_b32 s40, vcc_lo
	s_cbranch_execz .LBB4_1166
; %bb.1159:                             ;   in Loop: Header=BB4_130 Depth=2
	v_mov_b32_e32 v113, 0
	s_mov_b32 s41, exec_lo
	v_cmpx_ne_u32_e32 0, v40
	s_cbranch_execz .LBB4_1165
; %bb.1160:                             ;   in Loop: Header=BB4_130 Depth=2
	v_bfe_u32 v113, v40, 23, 8
	v_and_b32_e32 v44, 0x7fffff, v40
	v_sub_nc_u32_e32 v57, 0x78, v113
	v_cmp_gt_u32_e32 vcc_lo, 0x79, v113
	v_or_b32_e32 v62, 0x800000, v44
	v_cndmask_b32_e32 v57, 0, v57, vcc_lo
	v_cmp_eq_u32_e32 vcc_lo, 0, v113
	v_add_nc_u32_e32 v113, 0xffffff89, v113
	v_cndmask_b32_e64 v57, v57, 0x77, vcc_lo
	v_cndmask_b32_e32 v44, v62, v44, vcc_lo
	v_cndmask_b32_e64 v113, v113, 0xffffff8a, vcc_lo
	v_lshl_add_u32 v62, 0x100000, v57, -1
	v_lshrrev_b32_e32 v75, v57, v44
	v_lshlrev_b32_e64 v78, v57, 0x80000
	v_add_nc_u32_e32 v57, v57, v113
	v_and_b32_e32 v44, v62, v44
	v_bfe_u32 v77, v75, 20, 1
	v_cmp_eq_u32_e64 s13, v44, v78
	v_add_nc_u32_e32 v62, -1, v77
	v_cndmask_b32_e64 v44, 0, v62, s13
	v_lshrrev_b32_e32 v62, 23, v75
	s_mov_b32 s13, exec_lo
	v_add_nc_u32_e32 v44, v44, v75
	v_xor_b32_e32 v62, 1, v62
	v_and_b32_e32 v113, 0xfffff, v44
	v_add_nc_u32_e32 v44, v113, v75
                                        ; implicit-def: $vgpr113
	v_cmpx_ne_u32_e64 v57, v62
	s_xor_b32 s13, exec_lo, s13
; %bb.1161:                             ;   in Loop: Header=BB4_130 Depth=2
	v_cmp_lt_u32_e32 vcc_lo, 0xffffff, v44
	v_sub_nc_u32_e32 v113, v57, v62
	v_cndmask_b32_e64 v57, 0, 1, vcc_lo
	v_add_co_ci_u32_e64 v113, null, 0, v113, vcc_lo
	v_lshrrev_b32_e32 v44, v57, v44
; %bb.1162:                             ;   in Loop: Header=BB4_130 Depth=2
	s_andn2_saveexec_b32 s13, s13
; %bb.1163:                             ;   in Loop: Header=BB4_130 Depth=2
	v_bfe_u32 v113, v44, 23, 1
; %bb.1164:                             ;   in Loop: Header=BB4_130 Depth=2
	s_or_b32 exec_lo, exec_lo, s13
	v_lshrrev_b32_e32 v44, 20, v44
	v_min_i32_e32 v57, 15, v113
	v_cmp_gt_i32_e32 vcc_lo, 16, v113
	v_and_b32_sdwa v40, v40, v97 dst_sel:DWORD dst_unused:UNUSED_PAD src0_sel:BYTE_3 src1_sel:DWORD
	v_lshlrev_b32_e32 v57, 3, v57
	v_cndmask_b32_e32 v44, 7, v44, vcc_lo
	v_and_b32_e32 v57, 0xf8, v57
	v_and_b32_e32 v62, 7, v44
	v_or_b32_e32 v113, v113, v44
	v_or3_b32 v40, v57, v40, v62
	v_cmp_ne_u32_e32 vcc_lo, 0, v113
	v_cndmask_b32_e32 v113, 0, v40, vcc_lo
.LBB4_1165:                             ;   in Loop: Header=BB4_130 Depth=2
	s_or_b32 exec_lo, exec_lo, s41
.LBB4_1166:                             ;   in Loop: Header=BB4_130 Depth=2
	s_or_b32 exec_lo, exec_lo, s40
	v_cmp_gt_i16_sdwa s40, v117, v96 src0_sel:BYTE_1 src1_sel:DWORD
	s_mov_b32 s13, 0
	s_and_saveexec_b32 s41, s40
	s_xor_b32 s40, exec_lo, s41
	s_cbranch_execz .LBB4_1404
; %bb.1167:                             ;   in Loop: Header=BB4_130 Depth=2
	v_cmp_eq_u16_sdwa s42, v117, v97 src0_sel:BYTE_1 src1_sel:DWORD
	s_mov_b32 s13, -1
	s_and_saveexec_b32 s41, s42
; %bb.1168:                             ;   in Loop: Header=BB4_130 Depth=2
	s_xor_b32 s13, exec_lo, -1
; %bb.1169:                             ;   in Loop: Header=BB4_130 Depth=2
	s_or_b32 exec_lo, exec_lo, s41
	s_and_b32 s13, s13, exec_lo
	s_or_saveexec_b32 s40, s40
	v_mov_b32_e32 v40, 0x7f800001
	s_xor_b32 exec_lo, exec_lo, s40
	s_cbranch_execnz .LBB4_1405
.LBB4_1170:                             ;   in Loop: Header=BB4_130 Depth=2
	s_or_b32 exec_lo, exec_lo, s40
	s_and_saveexec_b32 s40, s13
	s_cbranch_execz .LBB4_1172
.LBB4_1171:                             ;   in Loop: Header=BB4_130 Depth=2
	v_and_b32_sdwa v40, v98, v117 dst_sel:DWORD dst_unused:UNUSED_PAD src0_sel:DWORD src1_sel:BYTE_1
	v_and_b32_e32 v44, 7, v40
	v_bfe_u32 v75, v40, 3, 4
	v_ffbh_u32_e32 v57, v44
	v_cmp_eq_u32_e32 vcc_lo, 0, v75
	v_min_u32_e32 v57, 32, v57
	v_subrev_nc_u32_e32 v62, 28, v57
	v_sub_nc_u32_e32 v57, 29, v57
	v_lshlrev_b32_e32 v40, v62, v40
	v_lshlrev_b32_sdwa v62, v99, v117 dst_sel:DWORD dst_unused:UNUSED_PAD src0_sel:DWORD src1_sel:BYTE_1
	v_cndmask_b32_e32 v57, v75, v57, vcc_lo
	v_and_b32_e32 v40, 7, v40
	v_lshl_add_u32 v57, v57, 23, 0x3b800000
	v_cndmask_b32_e32 v40, v44, v40, vcc_lo
	v_and_b32_e32 v44, 0x80000000, v62
	v_lshlrev_b32_e32 v40, 20, v40
	v_or3_b32 v40, v44, v57, v40
.LBB4_1172:                             ;   in Loop: Header=BB4_130 Depth=2
	s_or_b32 exec_lo, exec_lo, s40
	v_cmp_gt_i16_sdwa s40, v13, v96 src0_sel:BYTE_1 src1_sel:DWORD
	s_mov_b32 s13, 0
	s_and_saveexec_b32 s41, s40
	s_xor_b32 s40, exec_lo, s41
	s_cbranch_execz .LBB4_1406
; %bb.1173:                             ;   in Loop: Header=BB4_130 Depth=2
	v_cmp_eq_u16_sdwa s42, v13, v97 src0_sel:BYTE_1 src1_sel:DWORD
	s_mov_b32 s13, -1
	s_and_saveexec_b32 s41, s42
; %bb.1174:                             ;   in Loop: Header=BB4_130 Depth=2
	s_xor_b32 s13, exec_lo, -1
; %bb.1175:                             ;   in Loop: Header=BB4_130 Depth=2
	s_or_b32 exec_lo, exec_lo, s41
	s_and_b32 s13, s13, exec_lo
	s_or_saveexec_b32 s40, s40
	v_mov_b32_e32 v44, 0x7f800001
	s_xor_b32 exec_lo, exec_lo, s40
	s_cbranch_execnz .LBB4_1407
.LBB4_1176:                             ;   in Loop: Header=BB4_130 Depth=2
	s_or_b32 exec_lo, exec_lo, s40
	s_and_saveexec_b32 s40, s13
	s_cbranch_execz .LBB4_1178
.LBB4_1177:                             ;   in Loop: Header=BB4_130 Depth=2
	v_and_b32_sdwa v44, v98, v13 dst_sel:DWORD dst_unused:UNUSED_PAD src0_sel:DWORD src1_sel:BYTE_1
	v_and_b32_e32 v57, 7, v44
	v_bfe_u32 v77, v44, 3, 4
	v_ffbh_u32_e32 v62, v57
	v_cmp_eq_u32_e32 vcc_lo, 0, v77
	v_min_u32_e32 v62, 32, v62
	v_subrev_nc_u32_e32 v75, 28, v62
	v_sub_nc_u32_e32 v62, 29, v62
	v_lshlrev_b32_e32 v44, v75, v44
	v_lshlrev_b32_sdwa v75, v99, v13 dst_sel:DWORD dst_unused:UNUSED_PAD src0_sel:DWORD src1_sel:BYTE_1
	v_cndmask_b32_e32 v62, v77, v62, vcc_lo
	v_and_b32_e32 v44, 7, v44
	v_lshl_add_u32 v62, v62, 23, 0x3b800000
	v_cndmask_b32_e32 v44, v57, v44, vcc_lo
	v_and_b32_e32 v57, 0x80000000, v75
	v_lshlrev_b32_e32 v44, 20, v44
	v_or3_b32 v44, v57, v62, v44
.LBB4_1178:                             ;   in Loop: Header=BB4_130 Depth=2
	s_or_b32 exec_lo, exec_lo, s40
	v_add_f32_e32 v44, v40, v44
	v_and_b32_e32 v40, 0x7f800000, v44
	v_cmp_ne_u32_e32 vcc_lo, 0x7f800000, v40
	v_mov_b32_e32 v40, 0x8000
	s_and_saveexec_b32 s40, vcc_lo
	s_cbranch_execz .LBB4_1186
; %bb.1179:                             ;   in Loop: Header=BB4_130 Depth=2
	v_mov_b32_e32 v40, 0
	s_mov_b32 s41, exec_lo
	v_cmpx_ne_u32_e32 0, v44
	s_cbranch_execz .LBB4_1185
; %bb.1180:                             ;   in Loop: Header=BB4_130 Depth=2
	v_bfe_u32 v40, v44, 23, 8
	v_and_b32_e32 v57, 0x7fffff, v44
	v_sub_nc_u32_e32 v62, 0x78, v40
	v_cmp_gt_u32_e32 vcc_lo, 0x79, v40
	v_or_b32_e32 v75, 0x800000, v57
	v_cndmask_b32_e32 v62, 0, v62, vcc_lo
	v_cmp_eq_u32_e32 vcc_lo, 0, v40
	v_add_nc_u32_e32 v40, 0xffffff89, v40
	v_cndmask_b32_e64 v62, v62, 0x77, vcc_lo
	v_cndmask_b32_e32 v57, v75, v57, vcc_lo
	v_cndmask_b32_e64 v40, v40, 0xffffff8a, vcc_lo
	v_lshl_add_u32 v75, 0x100000, v62, -1
	v_lshrrev_b32_e32 v77, v62, v57
	v_lshlrev_b32_e64 v79, v62, 0x80000
	v_add_nc_u32_e32 v62, v62, v40
	v_and_b32_e32 v57, v75, v57
	v_bfe_u32 v78, v77, 20, 1
	v_cmp_eq_u32_e64 s13, v57, v79
	v_add_nc_u32_e32 v75, -1, v78
	v_cndmask_b32_e64 v57, 0, v75, s13
	v_lshrrev_b32_e32 v75, 23, v77
	s_mov_b32 s13, exec_lo
	v_add_nc_u32_e32 v57, v57, v77
	v_xor_b32_e32 v75, 1, v75
	v_and_b32_e32 v40, 0xfffff, v57
	v_add_nc_u32_e32 v57, v40, v77
                                        ; implicit-def: $vgpr40
	v_cmpx_ne_u32_e64 v62, v75
	s_xor_b32 s13, exec_lo, s13
; %bb.1181:                             ;   in Loop: Header=BB4_130 Depth=2
	v_cmp_lt_u32_e32 vcc_lo, 0xffffff, v57
	v_sub_nc_u32_e32 v40, v62, v75
	v_cndmask_b32_e64 v62, 0, 1, vcc_lo
	v_add_co_ci_u32_e64 v40, null, 0, v40, vcc_lo
	v_lshrrev_b32_e32 v57, v62, v57
; %bb.1182:                             ;   in Loop: Header=BB4_130 Depth=2
	s_andn2_saveexec_b32 s13, s13
; %bb.1183:                             ;   in Loop: Header=BB4_130 Depth=2
	v_bfe_u32 v40, v57, 23, 1
; %bb.1184:                             ;   in Loop: Header=BB4_130 Depth=2
	s_or_b32 exec_lo, exec_lo, s13
	v_lshrrev_b32_e32 v57, 20, v57
	v_min_i32_e32 v62, 15, v40
	v_cmp_gt_i32_e32 vcc_lo, 16, v40
	v_and_b32_sdwa v44, v44, v97 dst_sel:DWORD dst_unused:UNUSED_PAD src0_sel:BYTE_3 src1_sel:DWORD
	v_lshlrev_b32_e32 v62, 3, v62
	v_cndmask_b32_e32 v57, 7, v57, vcc_lo
	v_and_b32_e32 v62, 0xf8, v62
	v_and_b32_e32 v75, 7, v57
	v_or_b32_e32 v40, v40, v57
	v_or3_b32 v44, v44, v62, v75
	v_cmp_ne_u32_e32 vcc_lo, 0, v40
	v_lshlrev_b32_e32 v44, 8, v44
	v_cndmask_b32_e32 v40, 0, v44, vcc_lo
.LBB4_1185:                             ;   in Loop: Header=BB4_130 Depth=2
	s_or_b32 exec_lo, exec_lo, s41
.LBB4_1186:                             ;   in Loop: Header=BB4_130 Depth=2
	s_or_b32 exec_lo, exec_lo, s40
	v_or_b32_e32 v114, v114, v112
	s_mov_b32 s13, 0
	v_cmp_gt_i16_sdwa s40, v114, v96 src0_sel:BYTE_0 src1_sel:DWORD
	s_and_saveexec_b32 s41, s40
	s_xor_b32 s40, exec_lo, s41
	s_cbranch_execz .LBB4_1408
; %bb.1187:                             ;   in Loop: Header=BB4_130 Depth=2
	v_cmp_eq_u16_sdwa s42, v114, v97 src0_sel:BYTE_0 src1_sel:DWORD
	s_mov_b32 s13, -1
	s_and_saveexec_b32 s41, s42
; %bb.1188:                             ;   in Loop: Header=BB4_130 Depth=2
	s_xor_b32 s13, exec_lo, -1
; %bb.1189:                             ;   in Loop: Header=BB4_130 Depth=2
	s_or_b32 exec_lo, exec_lo, s41
	s_and_b32 s13, s13, exec_lo
	s_or_saveexec_b32 s40, s40
	v_mov_b32_e32 v112, 0x7f800001
	s_xor_b32 exec_lo, exec_lo, s40
	s_cbranch_execnz .LBB4_1409
.LBB4_1190:                             ;   in Loop: Header=BB4_130 Depth=2
	s_or_b32 exec_lo, exec_lo, s40
	v_lshl_or_b32 v114, v114, 16, v117
	s_and_saveexec_b32 s40, s13
	s_cbranch_execz .LBB4_1192
.LBB4_1191:                             ;   in Loop: Header=BB4_130 Depth=2
	v_bfe_u32 v112, v114, 16, 3
	v_bfe_u32 v57, v114, 19, 4
	v_lshlrev_b32_e32 v62, 8, v114
	v_ffbh_u32_e32 v117, v112
	v_cmp_eq_u32_e32 vcc_lo, 0, v57
	v_min_u32_e32 v117, 32, v117
	v_subrev_nc_u32_e32 v44, 28, v117
	v_sub_nc_u32_e32 v117, 29, v117
	v_lshlrev_b32_sdwa v44, v44, v114 dst_sel:DWORD dst_unused:UNUSED_PAD src0_sel:DWORD src1_sel:WORD_1
	v_cndmask_b32_e32 v117, v57, v117, vcc_lo
	v_and_b32_e32 v44, 7, v44
	v_lshl_add_u32 v117, v117, 23, 0x3b800000
	v_cndmask_b32_e32 v112, v112, v44, vcc_lo
	v_and_b32_e32 v44, 0x80000000, v62
	v_lshlrev_b32_e32 v112, 20, v112
	v_or3_b32 v112, v44, v117, v112
.LBB4_1192:                             ;   in Loop: Header=BB4_130 Depth=2
	s_or_b32 exec_lo, exec_lo, s40
	v_and_b32_sdwa v44, v13, v100 dst_sel:DWORD dst_unused:UNUSED_PAD src0_sel:WORD_1 src1_sel:DWORD
	s_mov_b32 s13, 0
	s_mov_b32 s40, exec_lo
	v_cmpx_lt_i16_e32 0x7f, v44
	s_xor_b32 s40, exec_lo, s40
	s_cbranch_execz .LBB4_1410
; %bb.1193:                             ;   in Loop: Header=BB4_130 Depth=2
	s_mov_b32 s13, -1
	s_mov_b32 s41, exec_lo
	v_cmpx_eq_u16_e32 0x80, v44
; %bb.1194:                             ;   in Loop: Header=BB4_130 Depth=2
	s_xor_b32 s13, exec_lo, -1
; %bb.1195:                             ;   in Loop: Header=BB4_130 Depth=2
	s_or_b32 exec_lo, exec_lo, s41
	s_and_b32 s13, s13, exec_lo
                                        ; implicit-def: $vgpr44
	s_or_saveexec_b32 s40, s40
	v_mov_b32_e32 v117, 0x7f800001
	s_xor_b32 exec_lo, exec_lo, s40
	s_cbranch_execnz .LBB4_1411
.LBB4_1196:                             ;   in Loop: Header=BB4_130 Depth=2
	s_or_b32 exec_lo, exec_lo, s40
	s_and_saveexec_b32 s40, s13
	s_cbranch_execz .LBB4_1198
.LBB4_1197:                             ;   in Loop: Header=BB4_130 Depth=2
	v_bfe_u32 v117, v13, 16, 3
	v_bfe_u32 v62, v13, 19, 4
	v_lshlrev_b32_e32 v75, 8, v13
	v_ffbh_u32_e32 v44, v117
	v_cmp_eq_u32_e32 vcc_lo, 0, v62
	v_min_u32_e32 v44, 32, v44
	v_subrev_nc_u32_e32 v57, 28, v44
	v_sub_nc_u32_e32 v44, 29, v44
	v_lshlrev_b32_sdwa v57, v57, v13 dst_sel:DWORD dst_unused:UNUSED_PAD src0_sel:DWORD src1_sel:WORD_1
	v_cndmask_b32_e32 v44, v62, v44, vcc_lo
	v_and_b32_e32 v57, 7, v57
	v_lshl_add_u32 v44, v44, 23, 0x3b800000
	v_cndmask_b32_e32 v117, v117, v57, vcc_lo
	v_and_b32_e32 v57, 0x80000000, v75
	v_lshlrev_b32_e32 v117, 20, v117
	v_or3_b32 v117, v57, v44, v117
.LBB4_1198:                             ;   in Loop: Header=BB4_130 Depth=2
	s_or_b32 exec_lo, exec_lo, s40
	v_add_f32_e32 v117, v112, v117
	v_and_b32_e32 v112, 0x7f800000, v117
	v_cmp_ne_u32_e32 vcc_lo, 0x7f800000, v112
	v_mov_b32_e32 v112, 0x80
	s_and_saveexec_b32 s40, vcc_lo
	s_cbranch_execz .LBB4_1206
; %bb.1199:                             ;   in Loop: Header=BB4_130 Depth=2
	v_mov_b32_e32 v112, 0
	s_mov_b32 s41, exec_lo
	v_cmpx_ne_u32_e32 0, v117
	s_cbranch_execz .LBB4_1205
; %bb.1200:                             ;   in Loop: Header=BB4_130 Depth=2
	v_bfe_u32 v112, v117, 23, 8
	v_and_b32_e32 v44, 0x7fffff, v117
	v_sub_nc_u32_e32 v57, 0x78, v112
	v_cmp_gt_u32_e32 vcc_lo, 0x79, v112
	v_or_b32_e32 v62, 0x800000, v44
	v_cndmask_b32_e32 v57, 0, v57, vcc_lo
	v_cmp_eq_u32_e32 vcc_lo, 0, v112
	v_add_nc_u32_e32 v112, 0xffffff89, v112
	v_cndmask_b32_e64 v57, v57, 0x77, vcc_lo
	v_cndmask_b32_e32 v44, v62, v44, vcc_lo
	v_cndmask_b32_e64 v112, v112, 0xffffff8a, vcc_lo
	v_lshl_add_u32 v62, 0x100000, v57, -1
	v_lshrrev_b32_e32 v75, v57, v44
	v_lshlrev_b32_e64 v78, v57, 0x80000
	v_add_nc_u32_e32 v57, v57, v112
	v_and_b32_e32 v44, v62, v44
	v_bfe_u32 v77, v75, 20, 1
	v_cmp_eq_u32_e64 s13, v44, v78
	v_add_nc_u32_e32 v62, -1, v77
	v_cndmask_b32_e64 v44, 0, v62, s13
	v_lshrrev_b32_e32 v62, 23, v75
	s_mov_b32 s13, exec_lo
	v_add_nc_u32_e32 v44, v44, v75
	v_xor_b32_e32 v62, 1, v62
	v_and_b32_e32 v112, 0xfffff, v44
	v_add_nc_u32_e32 v44, v112, v75
                                        ; implicit-def: $vgpr112
	v_cmpx_ne_u32_e64 v57, v62
	s_xor_b32 s13, exec_lo, s13
; %bb.1201:                             ;   in Loop: Header=BB4_130 Depth=2
	v_cmp_lt_u32_e32 vcc_lo, 0xffffff, v44
	v_sub_nc_u32_e32 v112, v57, v62
	v_cndmask_b32_e64 v57, 0, 1, vcc_lo
	v_add_co_ci_u32_e64 v112, null, 0, v112, vcc_lo
	v_lshrrev_b32_e32 v44, v57, v44
; %bb.1202:                             ;   in Loop: Header=BB4_130 Depth=2
	s_andn2_saveexec_b32 s13, s13
; %bb.1203:                             ;   in Loop: Header=BB4_130 Depth=2
	v_bfe_u32 v112, v44, 23, 1
; %bb.1204:                             ;   in Loop: Header=BB4_130 Depth=2
	s_or_b32 exec_lo, exec_lo, s13
	v_lshrrev_b32_e32 v44, 20, v44
	v_min_i32_e32 v57, 15, v112
	v_cmp_gt_i32_e32 vcc_lo, 16, v112
	v_and_b32_sdwa v117, v117, v97 dst_sel:DWORD dst_unused:UNUSED_PAD src0_sel:BYTE_3 src1_sel:DWORD
	v_lshlrev_b32_e32 v57, 3, v57
	v_cndmask_b32_e32 v44, 7, v44, vcc_lo
	v_and_b32_e32 v57, 0xf8, v57
	v_and_b32_e32 v62, 7, v44
	v_or_b32_e32 v112, v112, v44
	v_or3_b32 v117, v57, v117, v62
	v_cmp_ne_u32_e32 vcc_lo, 0, v112
	v_cndmask_b32_e32 v112, 0, v117, vcc_lo
.LBB4_1205:                             ;   in Loop: Header=BB4_130 Depth=2
	s_or_b32 exec_lo, exec_lo, s41
.LBB4_1206:                             ;   in Loop: Header=BB4_130 Depth=2
	s_or_b32 exec_lo, exec_lo, s40
	v_cmp_gt_i16_sdwa s40, v114, v96 src0_sel:BYTE_3 src1_sel:DWORD
	s_mov_b32 s13, 0
	s_and_saveexec_b32 s41, s40
	s_xor_b32 s40, exec_lo, s41
	s_cbranch_execz .LBB4_1412
; %bb.1207:                             ;   in Loop: Header=BB4_130 Depth=2
	v_cmp_eq_u16_sdwa s42, v114, v97 src0_sel:BYTE_3 src1_sel:DWORD
	s_mov_b32 s13, -1
	s_and_saveexec_b32 s41, s42
; %bb.1208:                             ;   in Loop: Header=BB4_130 Depth=2
	s_xor_b32 s13, exec_lo, -1
; %bb.1209:                             ;   in Loop: Header=BB4_130 Depth=2
	s_or_b32 exec_lo, exec_lo, s41
	s_and_b32 s13, s13, exec_lo
	s_or_saveexec_b32 s40, s40
	v_mov_b32_e32 v117, 0x7f800001
	s_xor_b32 exec_lo, exec_lo, s40
	s_cbranch_execnz .LBB4_1413
.LBB4_1210:                             ;   in Loop: Header=BB4_130 Depth=2
	s_or_b32 exec_lo, exec_lo, s40
	s_and_saveexec_b32 s40, s13
	s_cbranch_execz .LBB4_1212
.LBB4_1211:                             ;   in Loop: Header=BB4_130 Depth=2
	v_bfe_u32 v117, v114, 24, 3
	v_bfe_u32 v62, v114, 27, 4
	v_ffbh_u32_e32 v44, v117
	v_cmp_eq_u32_e32 vcc_lo, 0, v62
	v_min_u32_e32 v44, 32, v44
	v_subrev_nc_u32_e32 v57, 28, v44
	v_sub_nc_u32_e32 v44, 29, v44
	v_lshlrev_b32_sdwa v57, v57, v114 dst_sel:DWORD dst_unused:UNUSED_PAD src0_sel:DWORD src1_sel:BYTE_3
	v_cndmask_b32_e32 v44, v62, v44, vcc_lo
	v_and_b32_e32 v114, 0x80000000, v114
	v_and_b32_e32 v57, 7, v57
	v_lshl_add_u32 v44, v44, 23, 0x3b800000
	v_cndmask_b32_e32 v117, v117, v57, vcc_lo
	v_lshlrev_b32_e32 v117, 20, v117
	v_or3_b32 v117, v114, v44, v117
.LBB4_1212:                             ;   in Loop: Header=BB4_130 Depth=2
	s_or_b32 exec_lo, exec_lo, s40
	v_cmp_gt_i16_sdwa s40, v13, v96 src0_sel:BYTE_3 src1_sel:DWORD
	s_mov_b32 s13, 0
	s_and_saveexec_b32 s41, s40
	s_xor_b32 s40, exec_lo, s41
	s_cbranch_execz .LBB4_1414
; %bb.1213:                             ;   in Loop: Header=BB4_130 Depth=2
	v_cmp_eq_u16_sdwa s42, v13, v97 src0_sel:BYTE_3 src1_sel:DWORD
	s_mov_b32 s13, -1
	s_and_saveexec_b32 s41, s42
; %bb.1214:                             ;   in Loop: Header=BB4_130 Depth=2
	s_xor_b32 s13, exec_lo, -1
; %bb.1215:                             ;   in Loop: Header=BB4_130 Depth=2
	s_or_b32 exec_lo, exec_lo, s41
	s_and_b32 s13, s13, exec_lo
	s_or_saveexec_b32 s40, s40
	v_mov_b32_e32 v114, 0x7f800001
	s_xor_b32 exec_lo, exec_lo, s40
	s_cbranch_execnz .LBB4_1415
.LBB4_1216:                             ;   in Loop: Header=BB4_130 Depth=2
	s_or_b32 exec_lo, exec_lo, s40
	s_and_saveexec_b32 s40, s13
	s_cbranch_execz .LBB4_1218
.LBB4_1217:                             ;   in Loop: Header=BB4_130 Depth=2
	v_bfe_u32 v114, v13, 24, 3
	v_bfe_u32 v62, v13, 27, 4
	v_ffbh_u32_e32 v44, v114
	v_cmp_eq_u32_e32 vcc_lo, 0, v62
	v_min_u32_e32 v44, 32, v44
	v_subrev_nc_u32_e32 v57, 28, v44
	v_sub_nc_u32_e32 v44, 29, v44
	v_lshlrev_b32_sdwa v57, v57, v13 dst_sel:DWORD dst_unused:UNUSED_PAD src0_sel:DWORD src1_sel:BYTE_3
	v_cndmask_b32_e32 v44, v62, v44, vcc_lo
	v_and_b32_e32 v13, 0x80000000, v13
	v_and_b32_e32 v57, 7, v57
	v_lshl_add_u32 v44, v44, 23, 0x3b800000
	v_cndmask_b32_e32 v114, v114, v57, vcc_lo
	v_lshlrev_b32_e32 v114, 20, v114
	v_or3_b32 v114, v13, v44, v114
.LBB4_1218:                             ;   in Loop: Header=BB4_130 Depth=2
	s_or_b32 exec_lo, exec_lo, s40
	v_add_f32_e32 v13, v117, v114
	v_and_b32_e32 v114, 0x7f800000, v13
	v_cmp_ne_u32_e32 vcc_lo, 0x7f800000, v114
	v_mov_b32_e32 v114, 0x8000
	s_and_saveexec_b32 s40, vcc_lo
	s_cbranch_execz .LBB4_129
; %bb.1219:                             ;   in Loop: Header=BB4_130 Depth=2
	v_mov_b32_e32 v114, 0
	s_mov_b32 s41, exec_lo
	v_cmpx_ne_u32_e32 0, v13
	s_cbranch_execz .LBB4_128
; %bb.1220:                             ;   in Loop: Header=BB4_130 Depth=2
	v_bfe_u32 v114, v13, 23, 8
	v_and_b32_e32 v117, 0x7fffff, v13
	v_sub_nc_u32_e32 v44, 0x78, v114
	v_cmp_gt_u32_e32 vcc_lo, 0x79, v114
	v_or_b32_e32 v57, 0x800000, v117
	v_cndmask_b32_e32 v44, 0, v44, vcc_lo
	v_cmp_eq_u32_e32 vcc_lo, 0, v114
	v_add_nc_u32_e32 v114, 0xffffff89, v114
	v_cndmask_b32_e64 v44, v44, 0x77, vcc_lo
	v_cndmask_b32_e32 v117, v57, v117, vcc_lo
	v_cndmask_b32_e64 v114, v114, 0xffffff8a, vcc_lo
	v_lshl_add_u32 v57, 0x100000, v44, -1
	v_lshrrev_b32_e32 v62, v44, v117
	v_lshlrev_b32_e64 v77, v44, 0x80000
	v_add_nc_u32_e32 v44, v44, v114
	v_and_b32_e32 v117, v57, v117
	v_bfe_u32 v75, v62, 20, 1
	v_cmp_eq_u32_e64 s13, v117, v77
	v_add_nc_u32_e32 v57, -1, v75
	v_cndmask_b32_e64 v117, 0, v57, s13
	v_lshrrev_b32_e32 v57, 23, v62
	s_mov_b32 s13, exec_lo
	v_add_nc_u32_e32 v117, v117, v62
	v_xor_b32_e32 v57, 1, v57
	v_and_b32_e32 v114, 0xfffff, v117
	v_add_nc_u32_e32 v117, v114, v62
                                        ; implicit-def: $vgpr114
	v_cmpx_ne_u32_e64 v44, v57
	s_xor_b32 s13, exec_lo, s13
; %bb.1221:                             ;   in Loop: Header=BB4_130 Depth=2
	v_cmp_lt_u32_e32 vcc_lo, 0xffffff, v117
	v_sub_nc_u32_e32 v114, v44, v57
	v_cndmask_b32_e64 v44, 0, 1, vcc_lo
	v_add_co_ci_u32_e64 v114, null, 0, v114, vcc_lo
	v_lshrrev_b32_e32 v117, v44, v117
; %bb.1222:                             ;   in Loop: Header=BB4_130 Depth=2
	s_andn2_saveexec_b32 s13, s13
	s_cbranch_execz .LBB4_127
; %bb.1223:                             ;   in Loop: Header=BB4_130 Depth=2
	v_bfe_u32 v114, v117, 23, 1
	s_branch .LBB4_127
.LBB4_1224:                             ;   in Loop: Header=BB4_130 Depth=2
	s_or_saveexec_b32 s41, s41
	v_mov_b32_e32 v14, 0x7f800001
	s_xor_b32 exec_lo, exec_lo, s41
	s_cbranch_execz .LBB4_142
.LBB4_1225:                             ;   in Loop: Header=BB4_130 Depth=2
	v_cmp_ne_u16_sdwa s42, v10, v36 src0_sel:BYTE_0 src1_sel:DWORD
	v_mov_b32_e32 v14, 0
	s_andn2_b32 s13, s13, exec_lo
	s_and_b32 s42, s42, exec_lo
	s_or_b32 s13, s13, s42
	s_or_b32 exec_lo, exec_lo, s41
	s_and_saveexec_b32 s41, s13
	s_cbranch_execnz .LBB4_143
	s_branch .LBB4_144
.LBB4_1226:                             ;   in Loop: Header=BB4_130 Depth=2
	s_or_saveexec_b32 s41, s41
	v_mov_b32_e32 v14, 0x7f800001
	s_xor_b32 exec_lo, exec_lo, s41
	s_cbranch_execz .LBB4_156
.LBB4_1227:                             ;   in Loop: Header=BB4_130 Depth=2
	v_cmp_ne_u16_sdwa s42, v10, v36 src0_sel:BYTE_1 src1_sel:DWORD
	v_mov_b32_e32 v14, 0
	s_andn2_b32 s13, s13, exec_lo
	s_and_b32 s42, s42, exec_lo
	s_or_b32 s13, s13, s42
	s_or_b32 exec_lo, exec_lo, s41
	s_and_saveexec_b32 s41, s13
	s_cbranch_execnz .LBB4_157
	s_branch .LBB4_158
.LBB4_1228:                             ;   in Loop: Header=BB4_130 Depth=2
	s_or_saveexec_b32 s41, s41
	v_mov_b32_e32 v14, 0x7f800001
	s_xor_b32 exec_lo, exec_lo, s41
	s_cbranch_execz .LBB4_170
.LBB4_1229:                             ;   in Loop: Header=BB4_130 Depth=2
	v_cmp_ne_u16_e32 vcc_lo, 0, v15
	v_mov_b32_e32 v14, 0
	s_andn2_b32 s13, s13, exec_lo
	s_and_b32 s42, vcc_lo, exec_lo
	s_or_b32 s13, s13, s42
	s_or_b32 exec_lo, exec_lo, s41
	s_and_saveexec_b32 s41, s13
	s_cbranch_execnz .LBB4_171
	s_branch .LBB4_172
.LBB4_1230:                             ;   in Loop: Header=BB4_130 Depth=2
	s_or_saveexec_b32 s41, s41
	v_mov_b32_e32 v14, 0x7f800001
	s_xor_b32 exec_lo, exec_lo, s41
	s_cbranch_execz .LBB4_184
.LBB4_1231:                             ;   in Loop: Header=BB4_130 Depth=2
	v_cmp_ne_u16_sdwa s42, v10, v36 src0_sel:BYTE_3 src1_sel:DWORD
	v_mov_b32_e32 v14, 0
	s_andn2_b32 s13, s13, exec_lo
	s_and_b32 s42, s42, exec_lo
	s_or_b32 s13, s13, s42
	s_or_b32 exec_lo, exec_lo, s41
	s_and_saveexec_b32 s41, s13
	s_cbranch_execnz .LBB4_185
	s_branch .LBB4_186
.LBB4_1232:                             ;   in Loop: Header=BB4_130 Depth=2
	s_or_saveexec_b32 s41, s41
	v_mov_b32_e32 v10, 0x7f800001
	s_xor_b32 exec_lo, exec_lo, s41
	s_cbranch_execz .LBB4_198
.LBB4_1233:                             ;   in Loop: Header=BB4_130 Depth=2
	v_cmp_ne_u16_sdwa s42, v11, v36 src0_sel:BYTE_0 src1_sel:DWORD
	v_mov_b32_e32 v10, 0
	s_andn2_b32 s13, s13, exec_lo
	s_and_b32 s42, s42, exec_lo
	s_or_b32 s13, s13, s42
	s_or_b32 exec_lo, exec_lo, s41
	s_and_saveexec_b32 s41, s13
	s_cbranch_execnz .LBB4_199
	s_branch .LBB4_200
.LBB4_1234:                             ;   in Loop: Header=BB4_130 Depth=2
	s_or_saveexec_b32 s41, s41
	v_mov_b32_e32 v10, 0x7f800001
	s_xor_b32 exec_lo, exec_lo, s41
	s_cbranch_execz .LBB4_212
.LBB4_1235:                             ;   in Loop: Header=BB4_130 Depth=2
	v_cmp_ne_u16_sdwa s42, v11, v36 src0_sel:BYTE_1 src1_sel:DWORD
	v_mov_b32_e32 v10, 0
	s_andn2_b32 s13, s13, exec_lo
	s_and_b32 s42, s42, exec_lo
	s_or_b32 s13, s13, s42
	s_or_b32 exec_lo, exec_lo, s41
	s_and_saveexec_b32 s41, s13
	s_cbranch_execnz .LBB4_213
	s_branch .LBB4_214
.LBB4_1236:                             ;   in Loop: Header=BB4_130 Depth=2
	s_or_saveexec_b32 s41, s41
	v_mov_b32_e32 v10, 0x7f800001
	s_xor_b32 exec_lo, exec_lo, s41
	s_cbranch_execz .LBB4_226
.LBB4_1237:                             ;   in Loop: Header=BB4_130 Depth=2
	v_cmp_ne_u16_e32 vcc_lo, 0, v14
	v_mov_b32_e32 v10, 0
	s_andn2_b32 s13, s13, exec_lo
	s_and_b32 s42, vcc_lo, exec_lo
	s_or_b32 s13, s13, s42
	s_or_b32 exec_lo, exec_lo, s41
	s_and_saveexec_b32 s41, s13
	s_cbranch_execnz .LBB4_227
	s_branch .LBB4_228
.LBB4_1238:                             ;   in Loop: Header=BB4_130 Depth=2
	s_or_saveexec_b32 s41, s41
	v_mov_b32_e32 v10, 0x7f800001
	s_xor_b32 exec_lo, exec_lo, s41
	s_cbranch_execz .LBB4_240
.LBB4_1239:                             ;   in Loop: Header=BB4_130 Depth=2
	v_cmp_ne_u16_sdwa s42, v11, v36 src0_sel:BYTE_3 src1_sel:DWORD
	v_mov_b32_e32 v10, 0
	s_andn2_b32 s13, s13, exec_lo
	s_and_b32 s42, s42, exec_lo
	s_or_b32 s13, s13, s42
	s_or_b32 exec_lo, exec_lo, s41
	s_and_saveexec_b32 s41, s13
	s_cbranch_execnz .LBB4_241
	s_branch .LBB4_242
.LBB4_1240:                             ;   in Loop: Header=BB4_130 Depth=2
	s_or_saveexec_b32 s41, s41
	v_mov_b32_e32 v10, 0x7f800001
	s_xor_b32 exec_lo, exec_lo, s41
	s_cbranch_execz .LBB4_254
.LBB4_1241:                             ;   in Loop: Header=BB4_130 Depth=2
	v_cmp_ne_u16_sdwa s42, v12, v36 src0_sel:BYTE_0 src1_sel:DWORD
	v_mov_b32_e32 v10, 0
	s_andn2_b32 s13, s13, exec_lo
	s_and_b32 s42, s42, exec_lo
	s_or_b32 s13, s13, s42
	s_or_b32 exec_lo, exec_lo, s41
	s_and_saveexec_b32 s41, s13
	s_cbranch_execnz .LBB4_255
	s_branch .LBB4_256
.LBB4_1242:                             ;   in Loop: Header=BB4_130 Depth=2
	s_or_saveexec_b32 s41, s41
	v_mov_b32_e32 v10, 0x7f800001
	s_xor_b32 exec_lo, exec_lo, s41
	s_cbranch_execz .LBB4_268
.LBB4_1243:                             ;   in Loop: Header=BB4_130 Depth=2
	v_cmp_ne_u16_sdwa s42, v12, v36 src0_sel:BYTE_1 src1_sel:DWORD
	v_mov_b32_e32 v10, 0
	s_andn2_b32 s13, s13, exec_lo
	s_and_b32 s42, s42, exec_lo
	s_or_b32 s13, s13, s42
	s_or_b32 exec_lo, exec_lo, s41
	s_and_saveexec_b32 s41, s13
	s_cbranch_execnz .LBB4_269
	s_branch .LBB4_270
.LBB4_1244:                             ;   in Loop: Header=BB4_130 Depth=2
	s_or_saveexec_b32 s41, s41
	v_mov_b32_e32 v10, 0x7f800001
	s_xor_b32 exec_lo, exec_lo, s41
	s_cbranch_execz .LBB4_282
.LBB4_1245:                             ;   in Loop: Header=BB4_130 Depth=2
	v_cmp_ne_u16_e32 vcc_lo, 0, v11
	v_mov_b32_e32 v10, 0
	s_andn2_b32 s13, s13, exec_lo
	s_and_b32 s42, vcc_lo, exec_lo
	s_or_b32 s13, s13, s42
	s_or_b32 exec_lo, exec_lo, s41
	s_and_saveexec_b32 s41, s13
	s_cbranch_execnz .LBB4_283
	s_branch .LBB4_284
.LBB4_1246:                             ;   in Loop: Header=BB4_130 Depth=2
	s_or_saveexec_b32 s41, s41
	v_mov_b32_e32 v10, 0x7f800001
	s_xor_b32 exec_lo, exec_lo, s41
	s_cbranch_execz .LBB4_296
.LBB4_1247:                             ;   in Loop: Header=BB4_130 Depth=2
	v_cmp_ne_u16_sdwa s42, v12, v36 src0_sel:BYTE_3 src1_sel:DWORD
	v_mov_b32_e32 v10, 0
	s_andn2_b32 s13, s13, exec_lo
	s_and_b32 s42, s42, exec_lo
	s_or_b32 s13, s13, s42
	s_or_b32 exec_lo, exec_lo, s41
	s_and_saveexec_b32 s41, s13
	s_cbranch_execnz .LBB4_297
	s_branch .LBB4_298
.LBB4_1248:                             ;   in Loop: Header=BB4_130 Depth=2
	s_or_saveexec_b32 s41, s41
	v_mov_b32_e32 v10, 0x7f800001
	s_xor_b32 exec_lo, exec_lo, s41
	s_cbranch_execz .LBB4_310
.LBB4_1249:                             ;   in Loop: Header=BB4_130 Depth=2
	v_cmp_ne_u16_sdwa s42, v13, v36 src0_sel:BYTE_0 src1_sel:DWORD
	v_mov_b32_e32 v10, 0
	s_andn2_b32 s13, s13, exec_lo
	s_and_b32 s42, s42, exec_lo
	s_or_b32 s13, s13, s42
	s_or_b32 exec_lo, exec_lo, s41
	s_and_saveexec_b32 s41, s13
	s_cbranch_execnz .LBB4_311
	s_branch .LBB4_312
.LBB4_1250:                             ;   in Loop: Header=BB4_130 Depth=2
	s_or_saveexec_b32 s41, s41
	v_mov_b32_e32 v10, 0x7f800001
	s_xor_b32 exec_lo, exec_lo, s41
	s_cbranch_execz .LBB4_324
.LBB4_1251:                             ;   in Loop: Header=BB4_130 Depth=2
	v_cmp_ne_u16_sdwa s42, v13, v36 src0_sel:BYTE_1 src1_sel:DWORD
	v_mov_b32_e32 v10, 0
	s_andn2_b32 s13, s13, exec_lo
	s_and_b32 s42, s42, exec_lo
	s_or_b32 s13, s13, s42
	s_or_b32 exec_lo, exec_lo, s41
	s_and_saveexec_b32 s41, s13
	s_cbranch_execnz .LBB4_325
	s_branch .LBB4_326
.LBB4_1252:                             ;   in Loop: Header=BB4_130 Depth=2
	s_or_saveexec_b32 s41, s41
	v_mov_b32_e32 v10, 0x7f800001
	s_xor_b32 exec_lo, exec_lo, s41
	s_cbranch_execz .LBB4_338
.LBB4_1253:                             ;   in Loop: Header=BB4_130 Depth=2
	v_cmp_ne_u16_e32 vcc_lo, 0, v11
	v_mov_b32_e32 v10, 0
	s_andn2_b32 s13, s13, exec_lo
	s_and_b32 s42, vcc_lo, exec_lo
	s_or_b32 s13, s13, s42
	s_or_b32 exec_lo, exec_lo, s41
	s_and_saveexec_b32 s41, s13
	s_cbranch_execnz .LBB4_339
	s_branch .LBB4_340
.LBB4_1254:                             ;   in Loop: Header=BB4_130 Depth=2
	s_or_saveexec_b32 s41, s41
	v_mov_b32_e32 v10, 0x7f800001
	s_xor_b32 exec_lo, exec_lo, s41
	s_cbranch_execz .LBB4_352
.LBB4_1255:                             ;   in Loop: Header=BB4_130 Depth=2
	v_cmp_ne_u16_sdwa s42, v13, v36 src0_sel:BYTE_3 src1_sel:DWORD
	v_mov_b32_e32 v10, 0
	s_andn2_b32 s13, s13, exec_lo
	s_and_b32 s42, s42, exec_lo
	s_or_b32 s13, s13, s42
	s_or_b32 exec_lo, exec_lo, s41
	s_and_saveexec_b32 s41, s13
	s_cbranch_execnz .LBB4_353
	s_branch .LBB4_354
.LBB4_1256:                             ;   in Loop: Header=BB4_130 Depth=2
	s_or_saveexec_b32 s41, s41
	v_mov_b32_e32 v14, 0x7f800001
	s_xor_b32 exec_lo, exec_lo, s41
	s_cbranch_execz .LBB4_366
.LBB4_1257:                             ;   in Loop: Header=BB4_130 Depth=2
	v_cmp_ne_u16_sdwa s42, v10, v36 src0_sel:BYTE_0 src1_sel:DWORD
	v_mov_b32_e32 v14, 0
	s_andn2_b32 s13, s13, exec_lo
	s_and_b32 s42, s42, exec_lo
	s_or_b32 s13, s13, s42
	s_or_b32 exec_lo, exec_lo, s41
	s_and_saveexec_b32 s41, s13
	s_cbranch_execnz .LBB4_367
	s_branch .LBB4_368
.LBB4_1258:                             ;   in Loop: Header=BB4_130 Depth=2
	s_or_saveexec_b32 s41, s41
	v_mov_b32_e32 v14, 0x7f800001
	s_xor_b32 exec_lo, exec_lo, s41
	s_cbranch_execz .LBB4_380
.LBB4_1259:                             ;   in Loop: Header=BB4_130 Depth=2
	v_cmp_ne_u16_sdwa s42, v10, v36 src0_sel:BYTE_1 src1_sel:DWORD
	v_mov_b32_e32 v14, 0
	s_andn2_b32 s13, s13, exec_lo
	s_and_b32 s42, s42, exec_lo
	s_or_b32 s13, s13, s42
	s_or_b32 exec_lo, exec_lo, s41
	s_and_saveexec_b32 s41, s13
	s_cbranch_execnz .LBB4_381
	s_branch .LBB4_382
.LBB4_1260:                             ;   in Loop: Header=BB4_130 Depth=2
	s_or_saveexec_b32 s41, s41
	v_mov_b32_e32 v14, 0x7f800001
	s_xor_b32 exec_lo, exec_lo, s41
	s_cbranch_execz .LBB4_394
.LBB4_1261:                             ;   in Loop: Header=BB4_130 Depth=2
	v_cmp_ne_u16_e32 vcc_lo, 0, v15
	v_mov_b32_e32 v14, 0
	s_andn2_b32 s13, s13, exec_lo
	s_and_b32 s42, vcc_lo, exec_lo
	s_or_b32 s13, s13, s42
	s_or_b32 exec_lo, exec_lo, s41
	s_and_saveexec_b32 s41, s13
	s_cbranch_execnz .LBB4_395
	s_branch .LBB4_396
.LBB4_1262:                             ;   in Loop: Header=BB4_130 Depth=2
	s_or_saveexec_b32 s41, s41
	v_mov_b32_e32 v14, 0x7f800001
	s_xor_b32 exec_lo, exec_lo, s41
	s_cbranch_execz .LBB4_408
.LBB4_1263:                             ;   in Loop: Header=BB4_130 Depth=2
	v_cmp_ne_u16_sdwa s42, v10, v36 src0_sel:BYTE_3 src1_sel:DWORD
	v_mov_b32_e32 v14, 0
	s_andn2_b32 s13, s13, exec_lo
	s_and_b32 s42, s42, exec_lo
	s_or_b32 s13, s13, s42
	s_or_b32 exec_lo, exec_lo, s41
	s_and_saveexec_b32 s41, s13
	s_cbranch_execnz .LBB4_409
	s_branch .LBB4_410
.LBB4_1264:                             ;   in Loop: Header=BB4_130 Depth=2
	s_or_saveexec_b32 s41, s41
	v_mov_b32_e32 v10, 0x7f800001
	s_xor_b32 exec_lo, exec_lo, s41
	s_cbranch_execz .LBB4_422
.LBB4_1265:                             ;   in Loop: Header=BB4_130 Depth=2
	v_cmp_ne_u16_sdwa s42, v11, v36 src0_sel:BYTE_0 src1_sel:DWORD
	v_mov_b32_e32 v10, 0
	s_andn2_b32 s13, s13, exec_lo
	s_and_b32 s42, s42, exec_lo
	s_or_b32 s13, s13, s42
	s_or_b32 exec_lo, exec_lo, s41
	s_and_saveexec_b32 s41, s13
	s_cbranch_execnz .LBB4_423
	s_branch .LBB4_424
.LBB4_1266:                             ;   in Loop: Header=BB4_130 Depth=2
	s_or_saveexec_b32 s41, s41
	v_mov_b32_e32 v10, 0x7f800001
	s_xor_b32 exec_lo, exec_lo, s41
	s_cbranch_execz .LBB4_436
.LBB4_1267:                             ;   in Loop: Header=BB4_130 Depth=2
	v_cmp_ne_u16_sdwa s42, v11, v36 src0_sel:BYTE_1 src1_sel:DWORD
	v_mov_b32_e32 v10, 0
	s_andn2_b32 s13, s13, exec_lo
	s_and_b32 s42, s42, exec_lo
	s_or_b32 s13, s13, s42
	s_or_b32 exec_lo, exec_lo, s41
	s_and_saveexec_b32 s41, s13
	s_cbranch_execnz .LBB4_437
	s_branch .LBB4_438
.LBB4_1268:                             ;   in Loop: Header=BB4_130 Depth=2
	s_or_saveexec_b32 s41, s41
	v_mov_b32_e32 v10, 0x7f800001
	s_xor_b32 exec_lo, exec_lo, s41
	s_cbranch_execz .LBB4_450
.LBB4_1269:                             ;   in Loop: Header=BB4_130 Depth=2
	v_cmp_ne_u16_e32 vcc_lo, 0, v14
	v_mov_b32_e32 v10, 0
	s_andn2_b32 s13, s13, exec_lo
	s_and_b32 s42, vcc_lo, exec_lo
	s_or_b32 s13, s13, s42
	s_or_b32 exec_lo, exec_lo, s41
	s_and_saveexec_b32 s41, s13
	s_cbranch_execnz .LBB4_451
	s_branch .LBB4_452
.LBB4_1270:                             ;   in Loop: Header=BB4_130 Depth=2
	s_or_saveexec_b32 s41, s41
	v_mov_b32_e32 v10, 0x7f800001
	s_xor_b32 exec_lo, exec_lo, s41
	s_cbranch_execz .LBB4_464
.LBB4_1271:                             ;   in Loop: Header=BB4_130 Depth=2
	v_cmp_ne_u16_sdwa s42, v11, v36 src0_sel:BYTE_3 src1_sel:DWORD
	v_mov_b32_e32 v10, 0
	s_andn2_b32 s13, s13, exec_lo
	s_and_b32 s42, s42, exec_lo
	s_or_b32 s13, s13, s42
	s_or_b32 exec_lo, exec_lo, s41
	s_and_saveexec_b32 s41, s13
	s_cbranch_execnz .LBB4_465
	s_branch .LBB4_466
.LBB4_1272:                             ;   in Loop: Header=BB4_130 Depth=2
	s_or_saveexec_b32 s41, s41
	v_mov_b32_e32 v10, 0x7f800001
	s_xor_b32 exec_lo, exec_lo, s41
	s_cbranch_execz .LBB4_478
.LBB4_1273:                             ;   in Loop: Header=BB4_130 Depth=2
	v_cmp_ne_u16_sdwa s42, v12, v36 src0_sel:BYTE_0 src1_sel:DWORD
	v_mov_b32_e32 v10, 0
	s_andn2_b32 s13, s13, exec_lo
	s_and_b32 s42, s42, exec_lo
	s_or_b32 s13, s13, s42
	s_or_b32 exec_lo, exec_lo, s41
	s_and_saveexec_b32 s41, s13
	s_cbranch_execnz .LBB4_479
	s_branch .LBB4_480
.LBB4_1274:                             ;   in Loop: Header=BB4_130 Depth=2
	s_or_saveexec_b32 s41, s41
	v_mov_b32_e32 v10, 0x7f800001
	s_xor_b32 exec_lo, exec_lo, s41
	s_cbranch_execz .LBB4_492
.LBB4_1275:                             ;   in Loop: Header=BB4_130 Depth=2
	v_cmp_ne_u16_sdwa s42, v12, v36 src0_sel:BYTE_1 src1_sel:DWORD
	v_mov_b32_e32 v10, 0
	s_andn2_b32 s13, s13, exec_lo
	s_and_b32 s42, s42, exec_lo
	s_or_b32 s13, s13, s42
	s_or_b32 exec_lo, exec_lo, s41
	s_and_saveexec_b32 s41, s13
	s_cbranch_execnz .LBB4_493
	s_branch .LBB4_494
.LBB4_1276:                             ;   in Loop: Header=BB4_130 Depth=2
	s_or_saveexec_b32 s41, s41
	v_mov_b32_e32 v10, 0x7f800001
	s_xor_b32 exec_lo, exec_lo, s41
	s_cbranch_execz .LBB4_506
.LBB4_1277:                             ;   in Loop: Header=BB4_130 Depth=2
	v_cmp_ne_u16_e32 vcc_lo, 0, v11
	v_mov_b32_e32 v10, 0
	s_andn2_b32 s13, s13, exec_lo
	s_and_b32 s42, vcc_lo, exec_lo
	s_or_b32 s13, s13, s42
	s_or_b32 exec_lo, exec_lo, s41
	s_and_saveexec_b32 s41, s13
	s_cbranch_execnz .LBB4_507
	s_branch .LBB4_508
.LBB4_1278:                             ;   in Loop: Header=BB4_130 Depth=2
	s_or_saveexec_b32 s41, s41
	v_mov_b32_e32 v10, 0x7f800001
	s_xor_b32 exec_lo, exec_lo, s41
	s_cbranch_execz .LBB4_520
.LBB4_1279:                             ;   in Loop: Header=BB4_130 Depth=2
	v_cmp_ne_u16_sdwa s42, v12, v36 src0_sel:BYTE_3 src1_sel:DWORD
	v_mov_b32_e32 v10, 0
	s_andn2_b32 s13, s13, exec_lo
	s_and_b32 s42, s42, exec_lo
	s_or_b32 s13, s13, s42
	s_or_b32 exec_lo, exec_lo, s41
	s_and_saveexec_b32 s41, s13
	s_cbranch_execnz .LBB4_521
	s_branch .LBB4_522
.LBB4_1280:                             ;   in Loop: Header=BB4_130 Depth=2
	s_or_saveexec_b32 s41, s41
	v_mov_b32_e32 v10, 0x7f800001
	s_xor_b32 exec_lo, exec_lo, s41
	s_cbranch_execz .LBB4_534
.LBB4_1281:                             ;   in Loop: Header=BB4_130 Depth=2
	v_cmp_ne_u16_sdwa s42, v13, v36 src0_sel:BYTE_0 src1_sel:DWORD
	v_mov_b32_e32 v10, 0
	s_andn2_b32 s13, s13, exec_lo
	s_and_b32 s42, s42, exec_lo
	s_or_b32 s13, s13, s42
	s_or_b32 exec_lo, exec_lo, s41
	s_and_saveexec_b32 s41, s13
	s_cbranch_execnz .LBB4_535
	s_branch .LBB4_536
.LBB4_1282:                             ;   in Loop: Header=BB4_130 Depth=2
	s_or_saveexec_b32 s41, s41
	v_mov_b32_e32 v10, 0x7f800001
	s_xor_b32 exec_lo, exec_lo, s41
	s_cbranch_execz .LBB4_548
.LBB4_1283:                             ;   in Loop: Header=BB4_130 Depth=2
	v_cmp_ne_u16_sdwa s42, v13, v36 src0_sel:BYTE_1 src1_sel:DWORD
	v_mov_b32_e32 v10, 0
	s_andn2_b32 s13, s13, exec_lo
	s_and_b32 s42, s42, exec_lo
	s_or_b32 s13, s13, s42
	s_or_b32 exec_lo, exec_lo, s41
	s_and_saveexec_b32 s41, s13
	s_cbranch_execnz .LBB4_549
	s_branch .LBB4_550
.LBB4_1284:                             ;   in Loop: Header=BB4_130 Depth=2
	s_or_saveexec_b32 s41, s41
	v_mov_b32_e32 v10, 0x7f800001
	s_xor_b32 exec_lo, exec_lo, s41
	s_cbranch_execz .LBB4_562
.LBB4_1285:                             ;   in Loop: Header=BB4_130 Depth=2
	v_cmp_ne_u16_e32 vcc_lo, 0, v11
	v_mov_b32_e32 v10, 0
	s_andn2_b32 s13, s13, exec_lo
	s_and_b32 s42, vcc_lo, exec_lo
	s_or_b32 s13, s13, s42
	s_or_b32 exec_lo, exec_lo, s41
	s_and_saveexec_b32 s41, s13
	s_cbranch_execnz .LBB4_563
	s_branch .LBB4_564
.LBB4_1286:                             ;   in Loop: Header=BB4_130 Depth=2
	s_or_saveexec_b32 s41, s41
	v_mov_b32_e32 v10, 0x7f800001
	s_xor_b32 exec_lo, exec_lo, s41
	s_cbranch_execz .LBB4_576
.LBB4_1287:                             ;   in Loop: Header=BB4_130 Depth=2
	v_cmp_ne_u16_sdwa s42, v13, v36 src0_sel:BYTE_3 src1_sel:DWORD
	v_mov_b32_e32 v10, 0
	s_andn2_b32 s13, s13, exec_lo
	s_and_b32 s42, s42, exec_lo
	s_or_b32 s13, s13, s42
	s_or_b32 exec_lo, exec_lo, s41
	s_and_saveexec_b32 s41, s13
	s_cbranch_execnz .LBB4_577
	s_branch .LBB4_578
.LBB4_1288:                             ;   in Loop: Header=BB4_130 Depth=2
	s_or_saveexec_b32 s40, s40
	v_mov_b32_e32 v103, 0x7f800001
	s_xor_b32 exec_lo, exec_lo, s40
	s_cbranch_execz .LBB4_590
.LBB4_1289:                             ;   in Loop: Header=BB4_130 Depth=2
	v_cmp_ne_u16_sdwa s41, v79, v36 src0_sel:BYTE_0 src1_sel:DWORD
	v_mov_b32_e32 v103, 0
	s_andn2_b32 s13, s13, exec_lo
	s_and_b32 s41, s41, exec_lo
	s_or_b32 s13, s13, s41
	s_or_b32 exec_lo, exec_lo, s40
	s_and_saveexec_b32 s40, s13
	s_cbranch_execnz .LBB4_591
	s_branch .LBB4_592
.LBB4_1290:                             ;   in Loop: Header=BB4_130 Depth=2
	s_or_saveexec_b32 s40, s40
	v_mov_b32_e32 v115, 0x7f800001
	s_xor_b32 exec_lo, exec_lo, s40
	s_cbranch_execz .LBB4_596
.LBB4_1291:                             ;   in Loop: Header=BB4_130 Depth=2
	v_cmp_ne_u16_sdwa s41, v14, v36 src0_sel:BYTE_0 src1_sel:DWORD
	v_mov_b32_e32 v115, 0
	s_andn2_b32 s13, s13, exec_lo
	s_and_b32 s41, s41, exec_lo
	s_or_b32 s13, s13, s41
	s_or_b32 exec_lo, exec_lo, s40
	s_and_saveexec_b32 s40, s13
	s_cbranch_execnz .LBB4_597
	s_branch .LBB4_598
.LBB4_1292:                             ;   in Loop: Header=BB4_130 Depth=2
	s_or_saveexec_b32 s40, s40
	v_mov_b32_e32 v115, 0x7f800001
	s_xor_b32 exec_lo, exec_lo, s40
	s_cbranch_execz .LBB4_610
.LBB4_1293:                             ;   in Loop: Header=BB4_130 Depth=2
	v_cmp_ne_u16_sdwa s41, v79, v36 src0_sel:BYTE_1 src1_sel:DWORD
	v_mov_b32_e32 v115, 0
	s_andn2_b32 s13, s13, exec_lo
	s_and_b32 s41, s41, exec_lo
	s_or_b32 s13, s13, s41
	s_or_b32 exec_lo, exec_lo, s40
	s_and_saveexec_b32 s40, s13
	s_cbranch_execnz .LBB4_611
	s_branch .LBB4_612
.LBB4_1294:                             ;   in Loop: Header=BB4_130 Depth=2
	s_or_saveexec_b32 s40, s40
	v_mov_b32_e32 v88, 0x7f800001
	s_xor_b32 exec_lo, exec_lo, s40
	s_cbranch_execz .LBB4_616
.LBB4_1295:                             ;   in Loop: Header=BB4_130 Depth=2
	v_cmp_ne_u16_sdwa s41, v14, v36 src0_sel:BYTE_1 src1_sel:DWORD
	v_mov_b32_e32 v88, 0
	s_andn2_b32 s13, s13, exec_lo
	s_and_b32 s41, s41, exec_lo
	s_or_b32 s13, s13, s41
	s_or_b32 exec_lo, exec_lo, s40
	s_and_saveexec_b32 s40, s13
	s_cbranch_execnz .LBB4_617
	s_branch .LBB4_618
.LBB4_1296:                             ;   in Loop: Header=BB4_130 Depth=2
	s_or_saveexec_b32 s40, s40
	v_mov_b32_e32 v119, 0x7f800001
	s_xor_b32 exec_lo, exec_lo, s40
	s_cbranch_execz .LBB4_630
.LBB4_1297:                             ;   in Loop: Header=BB4_130 Depth=2
	v_cmp_ne_u16_sdwa s41, v78, v36 src0_sel:BYTE_0 src1_sel:DWORD
	v_mov_b32_e32 v119, 0
	s_andn2_b32 s13, s13, exec_lo
	s_and_b32 s41, s41, exec_lo
	s_or_b32 s13, s13, s41
	s_or_b32 exec_lo, exec_lo, s40
	v_lshl_or_b32 v78, v78, 16, v79
	s_and_saveexec_b32 s40, s13
	s_cbranch_execnz .LBB4_631
	s_branch .LBB4_632
.LBB4_1298:                             ;   in Loop: Header=BB4_130 Depth=2
	s_or_saveexec_b32 s40, s40
	v_mov_b32_e32 v79, 0x7f800001
	s_xor_b32 exec_lo, exec_lo, s40
	s_cbranch_execz .LBB4_636
.LBB4_1299:                             ;   in Loop: Header=BB4_130 Depth=2
	v_cmp_ne_u16_e32 vcc_lo, 0, v88
	v_mov_b32_e32 v79, 0
	s_andn2_b32 s13, s13, exec_lo
	s_and_b32 s41, vcc_lo, exec_lo
	s_or_b32 s13, s13, s41
	s_or_b32 exec_lo, exec_lo, s40
	s_and_saveexec_b32 s40, s13
	s_cbranch_execnz .LBB4_637
	s_branch .LBB4_638
.LBB4_1300:                             ;   in Loop: Header=BB4_130 Depth=2
	s_or_saveexec_b32 s40, s40
	v_mov_b32_e32 v79, 0x7f800001
	s_xor_b32 exec_lo, exec_lo, s40
	s_cbranch_execz .LBB4_650
.LBB4_1301:                             ;   in Loop: Header=BB4_130 Depth=2
	v_cmp_ne_u16_sdwa s41, v78, v36 src0_sel:BYTE_3 src1_sel:DWORD
	v_mov_b32_e32 v79, 0
	s_andn2_b32 s13, s13, exec_lo
	s_and_b32 s41, s41, exec_lo
	s_or_b32 s13, s13, s41
	s_or_b32 exec_lo, exec_lo, s40
	s_and_saveexec_b32 s40, s13
	s_cbranch_execnz .LBB4_651
	s_branch .LBB4_652
.LBB4_1302:                             ;   in Loop: Header=BB4_130 Depth=2
	s_or_saveexec_b32 s40, s40
	v_mov_b32_e32 v78, 0x7f800001
	s_xor_b32 exec_lo, exec_lo, s40
	s_cbranch_execz .LBB4_656
.LBB4_1303:                             ;   in Loop: Header=BB4_130 Depth=2
	v_cmp_ne_u16_sdwa s41, v14, v36 src0_sel:BYTE_3 src1_sel:DWORD
	v_mov_b32_e32 v78, 0
	s_andn2_b32 s13, s13, exec_lo
	s_and_b32 s41, s41, exec_lo
	s_or_b32 s13, s13, s41
	s_or_b32 exec_lo, exec_lo, s40
	s_and_saveexec_b32 s40, s13
	s_cbranch_execnz .LBB4_657
	s_branch .LBB4_658
.LBB4_1304:                             ;   in Loop: Header=BB4_130 Depth=2
	s_or_saveexec_b32 s40, s40
	v_mov_b32_e32 v47, 0x7f800001
	s_xor_b32 exec_lo, exec_lo, s40
	s_cbranch_execz .LBB4_670
.LBB4_1305:                             ;   in Loop: Header=BB4_130 Depth=2
	v_cmp_ne_u16_sdwa s41, v78, v36 src0_sel:BYTE_0 src1_sel:DWORD
	v_mov_b32_e32 v47, 0
	s_andn2_b32 s13, s13, exec_lo
	s_and_b32 s41, s41, exec_lo
	s_or_b32 s13, s13, s41
	s_or_b32 exec_lo, exec_lo, s40
	s_and_saveexec_b32 s40, s13
	s_cbranch_execnz .LBB4_671
	s_branch .LBB4_672
.LBB4_1306:                             ;   in Loop: Header=BB4_130 Depth=2
	s_or_saveexec_b32 s40, s40
	v_mov_b32_e32 v59, 0x7f800001
	s_xor_b32 exec_lo, exec_lo, s40
	s_cbranch_execz .LBB4_676
.LBB4_1307:                             ;   in Loop: Header=BB4_130 Depth=2
	v_cmp_ne_u16_sdwa s41, v15, v36 src0_sel:BYTE_0 src1_sel:DWORD
	v_mov_b32_e32 v59, 0
	s_andn2_b32 s13, s13, exec_lo
	s_and_b32 s41, s41, exec_lo
	s_or_b32 s13, s13, s41
	s_or_b32 exec_lo, exec_lo, s40
	s_and_saveexec_b32 s40, s13
	s_cbranch_execnz .LBB4_677
	s_branch .LBB4_678
.LBB4_1308:                             ;   in Loop: Header=BB4_130 Depth=2
	s_or_saveexec_b32 s40, s40
	v_mov_b32_e32 v59, 0x7f800001
	s_xor_b32 exec_lo, exec_lo, s40
	s_cbranch_execz .LBB4_690
.LBB4_1309:                             ;   in Loop: Header=BB4_130 Depth=2
	v_cmp_ne_u16_sdwa s41, v78, v36 src0_sel:BYTE_1 src1_sel:DWORD
	v_mov_b32_e32 v59, 0
	s_andn2_b32 s13, s13, exec_lo
	s_and_b32 s41, s41, exec_lo
	s_or_b32 s13, s13, s41
	s_or_b32 exec_lo, exec_lo, s40
	s_and_saveexec_b32 s40, s13
	s_cbranch_execnz .LBB4_691
	s_branch .LBB4_692
.LBB4_1310:                             ;   in Loop: Header=BB4_130 Depth=2
	s_or_saveexec_b32 s40, s40
	v_mov_b32_e32 v79, 0x7f800001
	s_xor_b32 exec_lo, exec_lo, s40
	s_cbranch_execz .LBB4_696
.LBB4_1311:                             ;   in Loop: Header=BB4_130 Depth=2
	v_cmp_ne_u16_sdwa s41, v15, v36 src0_sel:BYTE_1 src1_sel:DWORD
	v_mov_b32_e32 v79, 0
	s_andn2_b32 s13, s13, exec_lo
	s_and_b32 s41, s41, exec_lo
	s_or_b32 s13, s13, s41
	s_or_b32 exec_lo, exec_lo, s40
	s_and_saveexec_b32 s40, s13
	s_cbranch_execnz .LBB4_697
	s_branch .LBB4_698
.LBB4_1312:                             ;   in Loop: Header=BB4_130 Depth=2
	s_or_saveexec_b32 s40, s40
	v_mov_b32_e32 v63, 0x7f800001
	s_xor_b32 exec_lo, exec_lo, s40
	s_cbranch_execz .LBB4_710
.LBB4_1313:                             ;   in Loop: Header=BB4_130 Depth=2
	v_cmp_ne_u16_sdwa s41, v77, v36 src0_sel:BYTE_0 src1_sel:DWORD
	v_mov_b32_e32 v63, 0
	s_andn2_b32 s13, s13, exec_lo
	s_and_b32 s41, s41, exec_lo
	s_or_b32 s13, s13, s41
	s_or_b32 exec_lo, exec_lo, s40
	v_lshl_or_b32 v77, v77, 16, v78
	s_and_saveexec_b32 s40, s13
	s_cbranch_execnz .LBB4_711
	s_branch .LBB4_712
.LBB4_1314:                             ;   in Loop: Header=BB4_130 Depth=2
	s_or_saveexec_b32 s40, s40
	v_mov_b32_e32 v78, 0x7f800001
	s_xor_b32 exec_lo, exec_lo, s40
	s_cbranch_execz .LBB4_716
.LBB4_1315:                             ;   in Loop: Header=BB4_130 Depth=2
	v_cmp_ne_u16_e32 vcc_lo, 0, v79
	v_mov_b32_e32 v78, 0
	s_andn2_b32 s13, s13, exec_lo
	s_and_b32 s41, vcc_lo, exec_lo
	s_or_b32 s13, s13, s41
	s_or_b32 exec_lo, exec_lo, s40
	s_and_saveexec_b32 s40, s13
	s_cbranch_execnz .LBB4_717
	s_branch .LBB4_718
.LBB4_1316:                             ;   in Loop: Header=BB4_130 Depth=2
	s_or_saveexec_b32 s40, s40
	v_mov_b32_e32 v78, 0x7f800001
	s_xor_b32 exec_lo, exec_lo, s40
	s_cbranch_execz .LBB4_730
.LBB4_1317:                             ;   in Loop: Header=BB4_130 Depth=2
	v_cmp_ne_u16_sdwa s41, v77, v36 src0_sel:BYTE_3 src1_sel:DWORD
	v_mov_b32_e32 v78, 0
	s_andn2_b32 s13, s13, exec_lo
	s_and_b32 s41, s41, exec_lo
	s_or_b32 s13, s13, s41
	s_or_b32 exec_lo, exec_lo, s40
	s_and_saveexec_b32 s40, s13
	s_cbranch_execnz .LBB4_731
	s_branch .LBB4_732
.LBB4_1318:                             ;   in Loop: Header=BB4_130 Depth=2
	s_or_saveexec_b32 s40, s40
	v_mov_b32_e32 v77, 0x7f800001
	s_xor_b32 exec_lo, exec_lo, s40
	s_cbranch_execz .LBB4_736
.LBB4_1319:                             ;   in Loop: Header=BB4_130 Depth=2
	v_cmp_ne_u16_sdwa s41, v15, v36 src0_sel:BYTE_3 src1_sel:DWORD
	v_mov_b32_e32 v77, 0
	s_andn2_b32 s13, s13, exec_lo
	s_and_b32 s41, s41, exec_lo
	s_or_b32 s13, s13, s41
	s_or_b32 exec_lo, exec_lo, s40
	s_and_saveexec_b32 s40, s13
	s_cbranch_execnz .LBB4_737
	s_branch .LBB4_738
.LBB4_1320:                             ;   in Loop: Header=BB4_130 Depth=2
	s_or_saveexec_b32 s40, s40
	v_mov_b32_e32 v74, 0x7f800001
	s_xor_b32 exec_lo, exec_lo, s40
	s_cbranch_execz .LBB4_750
.LBB4_1321:                             ;   in Loop: Header=BB4_130 Depth=2
	v_cmp_ne_u16_sdwa s41, v77, v36 src0_sel:BYTE_0 src1_sel:DWORD
	v_mov_b32_e32 v74, 0
	s_andn2_b32 s13, s13, exec_lo
	s_and_b32 s41, s41, exec_lo
	s_or_b32 s13, s13, s41
	s_or_b32 exec_lo, exec_lo, s40
	s_and_saveexec_b32 s40, s13
	s_cbranch_execnz .LBB4_751
	s_branch .LBB4_752
.LBB4_1322:                             ;   in Loop: Header=BB4_130 Depth=2
	s_or_saveexec_b32 s40, s40
	v_mov_b32_e32 v76, 0x7f800001
	s_xor_b32 exec_lo, exec_lo, s40
	s_cbranch_execz .LBB4_756
.LBB4_1323:                             ;   in Loop: Header=BB4_130 Depth=2
	v_cmp_ne_u16_sdwa s41, v16, v36 src0_sel:BYTE_0 src1_sel:DWORD
	v_mov_b32_e32 v76, 0
	s_andn2_b32 s13, s13, exec_lo
	s_and_b32 s41, s41, exec_lo
	s_or_b32 s13, s13, s41
	s_or_b32 exec_lo, exec_lo, s40
	s_and_saveexec_b32 s40, s13
	s_cbranch_execnz .LBB4_757
	s_branch .LBB4_758
.LBB4_1324:                             ;   in Loop: Header=BB4_130 Depth=2
	s_or_saveexec_b32 s40, s40
	v_mov_b32_e32 v76, 0x7f800001
	s_xor_b32 exec_lo, exec_lo, s40
	s_cbranch_execz .LBB4_770
.LBB4_1325:                             ;   in Loop: Header=BB4_130 Depth=2
	v_cmp_ne_u16_sdwa s41, v77, v36 src0_sel:BYTE_1 src1_sel:DWORD
	v_mov_b32_e32 v76, 0
	s_andn2_b32 s13, s13, exec_lo
	s_and_b32 s41, s41, exec_lo
	s_or_b32 s13, s13, s41
	s_or_b32 exec_lo, exec_lo, s40
	s_and_saveexec_b32 s40, s13
	s_cbranch_execnz .LBB4_771
	s_branch .LBB4_772
.LBB4_1326:                             ;   in Loop: Header=BB4_130 Depth=2
	s_or_saveexec_b32 s40, s40
	v_mov_b32_e32 v78, 0x7f800001
	s_xor_b32 exec_lo, exec_lo, s40
	s_cbranch_execz .LBB4_776
.LBB4_1327:                             ;   in Loop: Header=BB4_130 Depth=2
	v_cmp_ne_u16_sdwa s41, v16, v36 src0_sel:BYTE_1 src1_sel:DWORD
	v_mov_b32_e32 v78, 0
	s_andn2_b32 s13, s13, exec_lo
	s_and_b32 s41, s41, exec_lo
	s_or_b32 s13, s13, s41
	s_or_b32 exec_lo, exec_lo, s40
	s_and_saveexec_b32 s40, s13
	s_cbranch_execnz .LBB4_777
	s_branch .LBB4_778
.LBB4_1328:                             ;   in Loop: Header=BB4_130 Depth=2
	s_or_saveexec_b32 s40, s40
	v_mov_b32_e32 v72, 0x7f800001
	s_xor_b32 exec_lo, exec_lo, s40
	s_cbranch_execz .LBB4_790
.LBB4_1329:                             ;   in Loop: Header=BB4_130 Depth=2
	v_cmp_ne_u16_sdwa s41, v75, v36 src0_sel:BYTE_0 src1_sel:DWORD
	v_mov_b32_e32 v72, 0
	s_andn2_b32 s13, s13, exec_lo
	s_and_b32 s41, s41, exec_lo
	s_or_b32 s13, s13, s41
	s_or_b32 exec_lo, exec_lo, s40
	v_lshl_or_b32 v75, v75, 16, v77
	s_and_saveexec_b32 s40, s13
	s_cbranch_execnz .LBB4_791
	s_branch .LBB4_792
.LBB4_1330:                             ;   in Loop: Header=BB4_130 Depth=2
	s_or_saveexec_b32 s40, s40
	v_mov_b32_e32 v77, 0x7f800001
	s_xor_b32 exec_lo, exec_lo, s40
	s_cbranch_execz .LBB4_796
.LBB4_1331:                             ;   in Loop: Header=BB4_130 Depth=2
	v_cmp_ne_u16_e32 vcc_lo, 0, v78
	v_mov_b32_e32 v77, 0
	s_andn2_b32 s13, s13, exec_lo
	s_and_b32 s41, vcc_lo, exec_lo
	s_or_b32 s13, s13, s41
	s_or_b32 exec_lo, exec_lo, s40
	s_and_saveexec_b32 s40, s13
	s_cbranch_execnz .LBB4_797
	s_branch .LBB4_798
.LBB4_1332:                             ;   in Loop: Header=BB4_130 Depth=2
	s_or_saveexec_b32 s40, s40
	v_mov_b32_e32 v77, 0x7f800001
	s_xor_b32 exec_lo, exec_lo, s40
	s_cbranch_execz .LBB4_810
.LBB4_1333:                             ;   in Loop: Header=BB4_130 Depth=2
	v_cmp_ne_u16_sdwa s41, v75, v36 src0_sel:BYTE_3 src1_sel:DWORD
	v_mov_b32_e32 v77, 0
	s_andn2_b32 s13, s13, exec_lo
	s_and_b32 s41, s41, exec_lo
	s_or_b32 s13, s13, s41
	s_or_b32 exec_lo, exec_lo, s40
	s_and_saveexec_b32 s40, s13
	s_cbranch_execnz .LBB4_811
	s_branch .LBB4_812
.LBB4_1334:                             ;   in Loop: Header=BB4_130 Depth=2
	s_or_saveexec_b32 s40, s40
	v_mov_b32_e32 v75, 0x7f800001
	s_xor_b32 exec_lo, exec_lo, s40
	s_cbranch_execz .LBB4_816
.LBB4_1335:                             ;   in Loop: Header=BB4_130 Depth=2
	v_cmp_ne_u16_sdwa s41, v16, v36 src0_sel:BYTE_3 src1_sel:DWORD
	v_mov_b32_e32 v75, 0
	s_andn2_b32 s13, s13, exec_lo
	s_and_b32 s41, s41, exec_lo
	s_or_b32 s13, s13, s41
	s_or_b32 exec_lo, exec_lo, s40
	s_and_saveexec_b32 s40, s13
	s_cbranch_execnz .LBB4_817
	s_branch .LBB4_818
.LBB4_1336:                             ;   in Loop: Header=BB4_130 Depth=2
	s_or_saveexec_b32 s40, s40
	v_mov_b32_e32 v61, 0x7f800001
	s_xor_b32 exec_lo, exec_lo, s40
	s_cbranch_execz .LBB4_830
.LBB4_1337:                             ;   in Loop: Header=BB4_130 Depth=2
	v_cmp_ne_u16_sdwa s41, v75, v36 src0_sel:BYTE_0 src1_sel:DWORD
	v_mov_b32_e32 v61, 0
	s_andn2_b32 s13, s13, exec_lo
	s_and_b32 s41, s41, exec_lo
	s_or_b32 s13, s13, s41
	s_or_b32 exec_lo, exec_lo, s40
	s_and_saveexec_b32 s40, s13
	s_cbranch_execnz .LBB4_831
	s_branch .LBB4_832
.LBB4_1338:                             ;   in Loop: Header=BB4_130 Depth=2
	s_or_saveexec_b32 s40, s40
	v_mov_b32_e32 v73, 0x7f800001
	s_xor_b32 exec_lo, exec_lo, s40
	s_cbranch_execz .LBB4_836
.LBB4_1339:                             ;   in Loop: Header=BB4_130 Depth=2
	v_cmp_ne_u16_sdwa s41, v17, v36 src0_sel:BYTE_0 src1_sel:DWORD
	v_mov_b32_e32 v73, 0
	s_andn2_b32 s13, s13, exec_lo
	s_and_b32 s41, s41, exec_lo
	s_or_b32 s13, s13, s41
	s_or_b32 exec_lo, exec_lo, s40
	s_and_saveexec_b32 s40, s13
	s_cbranch_execnz .LBB4_837
	s_branch .LBB4_838
.LBB4_1340:                             ;   in Loop: Header=BB4_130 Depth=2
	s_or_saveexec_b32 s40, s40
	v_mov_b32_e32 v73, 0x7f800001
	s_xor_b32 exec_lo, exec_lo, s40
	s_cbranch_execz .LBB4_850
.LBB4_1341:                             ;   in Loop: Header=BB4_130 Depth=2
	v_cmp_ne_u16_sdwa s41, v75, v36 src0_sel:BYTE_1 src1_sel:DWORD
	v_mov_b32_e32 v73, 0
	s_andn2_b32 s13, s13, exec_lo
	s_and_b32 s41, s41, exec_lo
	s_or_b32 s13, s13, s41
	s_or_b32 exec_lo, exec_lo, s40
	s_and_saveexec_b32 s40, s13
	s_cbranch_execnz .LBB4_851
	s_branch .LBB4_852
.LBB4_1342:                             ;   in Loop: Header=BB4_130 Depth=2
	s_or_saveexec_b32 s40, s40
	v_mov_b32_e32 v77, 0x7f800001
	s_xor_b32 exec_lo, exec_lo, s40
	s_cbranch_execz .LBB4_856
.LBB4_1343:                             ;   in Loop: Header=BB4_130 Depth=2
	v_cmp_ne_u16_sdwa s41, v17, v36 src0_sel:BYTE_1 src1_sel:DWORD
	v_mov_b32_e32 v77, 0
	s_andn2_b32 s13, s13, exec_lo
	s_and_b32 s41, s41, exec_lo
	s_or_b32 s13, s13, s41
	s_or_b32 exec_lo, exec_lo, s40
	s_and_saveexec_b32 s40, s13
	s_cbranch_execnz .LBB4_857
	s_branch .LBB4_858
.LBB4_1344:                             ;   in Loop: Header=BB4_130 Depth=2
	s_or_saveexec_b32 s40, s40
	v_mov_b32_e32 v58, 0x7f800001
	s_xor_b32 exec_lo, exec_lo, s40
	s_cbranch_execz .LBB4_870
.LBB4_1345:                             ;   in Loop: Header=BB4_130 Depth=2
	v_cmp_ne_u16_sdwa s41, v62, v36 src0_sel:BYTE_0 src1_sel:DWORD
	v_mov_b32_e32 v58, 0
	s_andn2_b32 s13, s13, exec_lo
	s_and_b32 s41, s41, exec_lo
	s_or_b32 s13, s13, s41
	s_or_b32 exec_lo, exec_lo, s40
	v_lshl_or_b32 v62, v62, 16, v75
	s_and_saveexec_b32 s40, s13
	s_cbranch_execnz .LBB4_871
	s_branch .LBB4_872
.LBB4_1346:                             ;   in Loop: Header=BB4_130 Depth=2
	s_or_saveexec_b32 s40, s40
	v_mov_b32_e32 v75, 0x7f800001
	s_xor_b32 exec_lo, exec_lo, s40
	s_cbranch_execz .LBB4_876
.LBB4_1347:                             ;   in Loop: Header=BB4_130 Depth=2
	v_cmp_ne_u16_e32 vcc_lo, 0, v77
	v_mov_b32_e32 v75, 0
	s_andn2_b32 s13, s13, exec_lo
	s_and_b32 s41, vcc_lo, exec_lo
	s_or_b32 s13, s13, s41
	s_or_b32 exec_lo, exec_lo, s40
	s_and_saveexec_b32 s40, s13
	s_cbranch_execnz .LBB4_877
	s_branch .LBB4_878
.LBB4_1348:                             ;   in Loop: Header=BB4_130 Depth=2
	s_or_saveexec_b32 s40, s40
	v_mov_b32_e32 v75, 0x7f800001
	s_xor_b32 exec_lo, exec_lo, s40
	s_cbranch_execz .LBB4_890
.LBB4_1349:                             ;   in Loop: Header=BB4_130 Depth=2
	v_cmp_ne_u16_sdwa s41, v62, v36 src0_sel:BYTE_3 src1_sel:DWORD
	v_mov_b32_e32 v75, 0
	s_andn2_b32 s13, s13, exec_lo
	s_and_b32 s41, s41, exec_lo
	s_or_b32 s13, s13, s41
	s_or_b32 exec_lo, exec_lo, s40
	s_and_saveexec_b32 s40, s13
	s_cbranch_execnz .LBB4_891
	s_branch .LBB4_892
.LBB4_1350:                             ;   in Loop: Header=BB4_130 Depth=2
	s_or_saveexec_b32 s40, s40
	v_mov_b32_e32 v62, 0x7f800001
	s_xor_b32 exec_lo, exec_lo, s40
	s_cbranch_execz .LBB4_896
.LBB4_1351:                             ;   in Loop: Header=BB4_130 Depth=2
	v_cmp_ne_u16_sdwa s41, v17, v36 src0_sel:BYTE_3 src1_sel:DWORD
	v_mov_b32_e32 v62, 0
	s_andn2_b32 s13, s13, exec_lo
	s_and_b32 s41, s41, exec_lo
	s_or_b32 s13, s13, s41
	s_or_b32 exec_lo, exec_lo, s40
	s_and_saveexec_b32 s40, s13
	s_cbranch_execnz .LBB4_897
	s_branch .LBB4_898
.LBB4_1352:                             ;   in Loop: Header=BB4_130 Depth=2
	s_or_saveexec_b32 s40, s40
	v_mov_b32_e32 v56, 0x7f800001
	s_xor_b32 exec_lo, exec_lo, s40
	s_cbranch_execz .LBB4_910
.LBB4_1353:                             ;   in Loop: Header=BB4_130 Depth=2
	v_cmp_ne_u16_sdwa s41, v62, v36 src0_sel:BYTE_0 src1_sel:DWORD
	v_mov_b32_e32 v56, 0
	s_andn2_b32 s13, s13, exec_lo
	s_and_b32 s41, s41, exec_lo
	s_or_b32 s13, s13, s41
	s_or_b32 exec_lo, exec_lo, s40
	s_and_saveexec_b32 s40, s13
	s_cbranch_execnz .LBB4_911
	s_branch .LBB4_912
.LBB4_1354:                             ;   in Loop: Header=BB4_130 Depth=2
	s_or_saveexec_b32 s40, s40
	v_mov_b32_e32 v60, 0x7f800001
	s_xor_b32 exec_lo, exec_lo, s40
	s_cbranch_execz .LBB4_916
.LBB4_1355:                             ;   in Loop: Header=BB4_130 Depth=2
	v_cmp_ne_u16_sdwa s41, v10, v36 src0_sel:BYTE_0 src1_sel:DWORD
	v_mov_b32_e32 v60, 0
	s_andn2_b32 s13, s13, exec_lo
	s_and_b32 s41, s41, exec_lo
	s_or_b32 s13, s13, s41
	s_or_b32 exec_lo, exec_lo, s40
	s_and_saveexec_b32 s40, s13
	s_cbranch_execnz .LBB4_917
	s_branch .LBB4_918
.LBB4_1356:                             ;   in Loop: Header=BB4_130 Depth=2
	s_or_saveexec_b32 s40, s40
	v_mov_b32_e32 v60, 0x7f800001
	s_xor_b32 exec_lo, exec_lo, s40
	s_cbranch_execz .LBB4_930
.LBB4_1357:                             ;   in Loop: Header=BB4_130 Depth=2
	v_cmp_ne_u16_sdwa s41, v62, v36 src0_sel:BYTE_1 src1_sel:DWORD
	v_mov_b32_e32 v60, 0
	s_andn2_b32 s13, s13, exec_lo
	s_and_b32 s41, s41, exec_lo
	s_or_b32 s13, s13, s41
	s_or_b32 exec_lo, exec_lo, s40
	s_and_saveexec_b32 s40, s13
	s_cbranch_execnz .LBB4_931
	s_branch .LBB4_932
.LBB4_1358:                             ;   in Loop: Header=BB4_130 Depth=2
	s_or_saveexec_b32 s40, s40
	v_mov_b32_e32 v75, 0x7f800001
	s_xor_b32 exec_lo, exec_lo, s40
	s_cbranch_execz .LBB4_936
.LBB4_1359:                             ;   in Loop: Header=BB4_130 Depth=2
	v_cmp_ne_u16_sdwa s41, v10, v36 src0_sel:BYTE_1 src1_sel:DWORD
	v_mov_b32_e32 v75, 0
	s_andn2_b32 s13, s13, exec_lo
	s_and_b32 s41, s41, exec_lo
	s_or_b32 s13, s13, s41
	s_or_b32 exec_lo, exec_lo, s40
	s_and_saveexec_b32 s40, s13
	s_cbranch_execnz .LBB4_937
	s_branch .LBB4_938
.LBB4_1360:                             ;   in Loop: Header=BB4_130 Depth=2
	s_or_saveexec_b32 s40, s40
	v_mov_b32_e32 v45, 0x7f800001
	s_xor_b32 exec_lo, exec_lo, s40
	s_cbranch_execz .LBB4_950
.LBB4_1361:                             ;   in Loop: Header=BB4_130 Depth=2
	v_cmp_ne_u16_sdwa s41, v57, v36 src0_sel:BYTE_0 src1_sel:DWORD
	v_mov_b32_e32 v45, 0
	s_andn2_b32 s13, s13, exec_lo
	s_and_b32 s41, s41, exec_lo
	s_or_b32 s13, s13, s41
	s_or_b32 exec_lo, exec_lo, s40
	v_lshl_or_b32 v57, v57, 16, v62
	s_and_saveexec_b32 s40, s13
	s_cbranch_execnz .LBB4_951
	s_branch .LBB4_952
.LBB4_1362:                             ;   in Loop: Header=BB4_130 Depth=2
	s_or_saveexec_b32 s40, s40
	v_mov_b32_e32 v62, 0x7f800001
	s_xor_b32 exec_lo, exec_lo, s40
	s_cbranch_execz .LBB4_956
.LBB4_1363:                             ;   in Loop: Header=BB4_130 Depth=2
	v_cmp_ne_u16_e32 vcc_lo, 0, v75
	v_mov_b32_e32 v62, 0
	s_andn2_b32 s13, s13, exec_lo
	s_and_b32 s41, vcc_lo, exec_lo
	s_or_b32 s13, s13, s41
	s_or_b32 exec_lo, exec_lo, s40
	s_and_saveexec_b32 s40, s13
	s_cbranch_execnz .LBB4_957
	s_branch .LBB4_958
.LBB4_1364:                             ;   in Loop: Header=BB4_130 Depth=2
	s_or_saveexec_b32 s40, s40
	v_mov_b32_e32 v62, 0x7f800001
	s_xor_b32 exec_lo, exec_lo, s40
	s_cbranch_execz .LBB4_970
.LBB4_1365:                             ;   in Loop: Header=BB4_130 Depth=2
	v_cmp_ne_u16_sdwa s41, v57, v36 src0_sel:BYTE_3 src1_sel:DWORD
	v_mov_b32_e32 v62, 0
	s_andn2_b32 s13, s13, exec_lo
	s_and_b32 s41, s41, exec_lo
	s_or_b32 s13, s13, s41
	s_or_b32 exec_lo, exec_lo, s40
	s_and_saveexec_b32 s40, s13
	s_cbranch_execnz .LBB4_971
	s_branch .LBB4_972
.LBB4_1366:                             ;   in Loop: Header=BB4_130 Depth=2
	s_or_saveexec_b32 s40, s40
	v_mov_b32_e32 v57, 0x7f800001
	s_xor_b32 exec_lo, exec_lo, s40
	s_cbranch_execz .LBB4_976
.LBB4_1367:                             ;   in Loop: Header=BB4_130 Depth=2
	v_cmp_ne_u16_sdwa s41, v10, v36 src0_sel:BYTE_3 src1_sel:DWORD
	v_mov_b32_e32 v57, 0
	s_andn2_b32 s13, s13, exec_lo
	s_and_b32 s41, s41, exec_lo
	s_or_b32 s13, s13, s41
	s_or_b32 exec_lo, exec_lo, s40
	s_and_saveexec_b32 s40, s13
	s_cbranch_execnz .LBB4_977
	s_branch .LBB4_978
.LBB4_1368:                             ;   in Loop: Header=BB4_130 Depth=2
	s_or_saveexec_b32 s40, s40
	v_mov_b32_e32 v43, 0x7f800001
	s_xor_b32 exec_lo, exec_lo, s40
	s_cbranch_execz .LBB4_990
.LBB4_1369:                             ;   in Loop: Header=BB4_130 Depth=2
	v_cmp_ne_u16_sdwa s41, v57, v36 src0_sel:BYTE_0 src1_sel:DWORD
	v_mov_b32_e32 v43, 0
	s_andn2_b32 s13, s13, exec_lo
	s_and_b32 s41, s41, exec_lo
	s_or_b32 s13, s13, s41
	s_or_b32 exec_lo, exec_lo, s40
	s_and_saveexec_b32 s40, s13
	s_cbranch_execnz .LBB4_991
	s_branch .LBB4_992
.LBB4_1370:                             ;   in Loop: Header=BB4_130 Depth=2
	s_or_saveexec_b32 s40, s40
	v_mov_b32_e32 v46, 0x7f800001
	s_xor_b32 exec_lo, exec_lo, s40
	s_cbranch_execz .LBB4_996
.LBB4_1371:                             ;   in Loop: Header=BB4_130 Depth=2
	v_cmp_ne_u16_sdwa s41, v11, v36 src0_sel:BYTE_0 src1_sel:DWORD
	v_mov_b32_e32 v46, 0
	s_andn2_b32 s13, s13, exec_lo
	s_and_b32 s41, s41, exec_lo
	s_or_b32 s13, s13, s41
	s_or_b32 exec_lo, exec_lo, s40
	s_and_saveexec_b32 s40, s13
	s_cbranch_execnz .LBB4_997
	s_branch .LBB4_998
.LBB4_1372:                             ;   in Loop: Header=BB4_130 Depth=2
	s_or_saveexec_b32 s40, s40
	v_mov_b32_e32 v46, 0x7f800001
	s_xor_b32 exec_lo, exec_lo, s40
	s_cbranch_execz .LBB4_1010
.LBB4_1373:                             ;   in Loop: Header=BB4_130 Depth=2
	v_cmp_ne_u16_sdwa s41, v57, v36 src0_sel:BYTE_1 src1_sel:DWORD
	v_mov_b32_e32 v46, 0
	s_andn2_b32 s13, s13, exec_lo
	s_and_b32 s41, s41, exec_lo
	s_or_b32 s13, s13, s41
	s_or_b32 exec_lo, exec_lo, s40
	s_and_saveexec_b32 s40, s13
	s_cbranch_execnz .LBB4_1011
	s_branch .LBB4_1012
.LBB4_1374:                             ;   in Loop: Header=BB4_130 Depth=2
	s_or_saveexec_b32 s40, s40
	v_mov_b32_e32 v62, 0x7f800001
	s_xor_b32 exec_lo, exec_lo, s40
	s_cbranch_execz .LBB4_1016
.LBB4_1375:                             ;   in Loop: Header=BB4_130 Depth=2
	v_cmp_ne_u16_sdwa s41, v11, v36 src0_sel:BYTE_1 src1_sel:DWORD
	v_mov_b32_e32 v62, 0
	s_andn2_b32 s13, s13, exec_lo
	s_and_b32 s41, s41, exec_lo
	s_or_b32 s13, s13, s41
	s_or_b32 exec_lo, exec_lo, s40
	s_and_saveexec_b32 s40, s13
	s_cbranch_execnz .LBB4_1017
	s_branch .LBB4_1018
.LBB4_1376:                             ;   in Loop: Header=BB4_130 Depth=2
	s_or_saveexec_b32 s40, s40
	v_mov_b32_e32 v41, 0x7f800001
	s_xor_b32 exec_lo, exec_lo, s40
	s_cbranch_execz .LBB4_1030
.LBB4_1377:                             ;   in Loop: Header=BB4_130 Depth=2
	v_cmp_ne_u16_sdwa s41, v44, v36 src0_sel:BYTE_0 src1_sel:DWORD
	v_mov_b32_e32 v41, 0
	s_andn2_b32 s13, s13, exec_lo
	s_and_b32 s41, s41, exec_lo
	s_or_b32 s13, s13, s41
	s_or_b32 exec_lo, exec_lo, s40
	v_lshl_or_b32 v44, v44, 16, v57
	s_and_saveexec_b32 s40, s13
	s_cbranch_execnz .LBB4_1031
	s_branch .LBB4_1032
.LBB4_1378:                             ;   in Loop: Header=BB4_130 Depth=2
	s_or_saveexec_b32 s40, s40
	v_mov_b32_e32 v57, 0x7f800001
	s_xor_b32 exec_lo, exec_lo, s40
	s_cbranch_execz .LBB4_1036
.LBB4_1379:                             ;   in Loop: Header=BB4_130 Depth=2
	v_cmp_ne_u16_e32 vcc_lo, 0, v62
	v_mov_b32_e32 v57, 0
	s_andn2_b32 s13, s13, exec_lo
	s_and_b32 s41, vcc_lo, exec_lo
	s_or_b32 s13, s13, s41
	s_or_b32 exec_lo, exec_lo, s40
	s_and_saveexec_b32 s40, s13
	s_cbranch_execnz .LBB4_1037
	s_branch .LBB4_1038
.LBB4_1380:                             ;   in Loop: Header=BB4_130 Depth=2
	s_or_saveexec_b32 s40, s40
	v_mov_b32_e32 v57, 0x7f800001
	s_xor_b32 exec_lo, exec_lo, s40
	s_cbranch_execz .LBB4_1050
.LBB4_1381:                             ;   in Loop: Header=BB4_130 Depth=2
	v_cmp_ne_u16_sdwa s41, v44, v36 src0_sel:BYTE_3 src1_sel:DWORD
	v_mov_b32_e32 v57, 0
	s_andn2_b32 s13, s13, exec_lo
	s_and_b32 s41, s41, exec_lo
	s_or_b32 s13, s13, s41
	s_or_b32 exec_lo, exec_lo, s40
	s_and_saveexec_b32 s40, s13
	s_cbranch_execnz .LBB4_1051
	s_branch .LBB4_1052
.LBB4_1382:                             ;   in Loop: Header=BB4_130 Depth=2
	s_or_saveexec_b32 s40, s40
	v_mov_b32_e32 v44, 0x7f800001
	s_xor_b32 exec_lo, exec_lo, s40
	s_cbranch_execz .LBB4_1056
.LBB4_1383:                             ;   in Loop: Header=BB4_130 Depth=2
	v_cmp_ne_u16_sdwa s41, v11, v36 src0_sel:BYTE_3 src1_sel:DWORD
	v_mov_b32_e32 v44, 0
	s_andn2_b32 s13, s13, exec_lo
	s_and_b32 s41, s41, exec_lo
	s_or_b32 s13, s13, s41
	s_or_b32 exec_lo, exec_lo, s40
	s_and_saveexec_b32 s40, s13
	s_cbranch_execnz .LBB4_1057
	s_branch .LBB4_1058
.LBB4_1384:                             ;   in Loop: Header=BB4_130 Depth=2
	s_or_saveexec_b32 s40, s40
	v_mov_b32_e32 v118, 0x7f800001
	s_xor_b32 exec_lo, exec_lo, s40
	s_cbranch_execz .LBB4_1070
.LBB4_1385:                             ;   in Loop: Header=BB4_130 Depth=2
	v_cmp_ne_u16_sdwa s41, v44, v36 src0_sel:BYTE_0 src1_sel:DWORD
	v_mov_b32_e32 v118, 0
	s_andn2_b32 s13, s13, exec_lo
	s_and_b32 s41, s41, exec_lo
	s_or_b32 s13, s13, s41
	s_or_b32 exec_lo, exec_lo, s40
	s_and_saveexec_b32 s40, s13
	s_cbranch_execnz .LBB4_1071
	s_branch .LBB4_1072
.LBB4_1386:                             ;   in Loop: Header=BB4_130 Depth=2
	s_or_saveexec_b32 s40, s40
	v_mov_b32_e32 v42, 0x7f800001
	s_xor_b32 exec_lo, exec_lo, s40
	s_cbranch_execz .LBB4_1076
.LBB4_1387:                             ;   in Loop: Header=BB4_130 Depth=2
	v_cmp_ne_u16_sdwa s41, v12, v36 src0_sel:BYTE_0 src1_sel:DWORD
	v_mov_b32_e32 v42, 0
	s_andn2_b32 s13, s13, exec_lo
	s_and_b32 s41, s41, exec_lo
	s_or_b32 s13, s13, s41
	s_or_b32 exec_lo, exec_lo, s40
	s_and_saveexec_b32 s40, s13
	s_cbranch_execnz .LBB4_1077
	s_branch .LBB4_1078
.LBB4_1388:                             ;   in Loop: Header=BB4_130 Depth=2
	s_or_saveexec_b32 s40, s40
	v_mov_b32_e32 v42, 0x7f800001
	s_xor_b32 exec_lo, exec_lo, s40
	s_cbranch_execz .LBB4_1090
.LBB4_1389:                             ;   in Loop: Header=BB4_130 Depth=2
	v_cmp_ne_u16_sdwa s41, v44, v36 src0_sel:BYTE_1 src1_sel:DWORD
	v_mov_b32_e32 v42, 0
	s_andn2_b32 s13, s13, exec_lo
	s_and_b32 s41, s41, exec_lo
	s_or_b32 s13, s13, s41
	s_or_b32 exec_lo, exec_lo, s40
	s_and_saveexec_b32 s40, s13
	s_cbranch_execnz .LBB4_1091
	s_branch .LBB4_1092
.LBB4_1390:                             ;   in Loop: Header=BB4_130 Depth=2
	s_or_saveexec_b32 s40, s40
	v_mov_b32_e32 v57, 0x7f800001
	s_xor_b32 exec_lo, exec_lo, s40
	s_cbranch_execz .LBB4_1096
.LBB4_1391:                             ;   in Loop: Header=BB4_130 Depth=2
	v_cmp_ne_u16_sdwa s41, v12, v36 src0_sel:BYTE_1 src1_sel:DWORD
	v_mov_b32_e32 v57, 0
	s_andn2_b32 s13, s13, exec_lo
	s_and_b32 s41, s41, exec_lo
	s_or_b32 s13, s13, s41
	s_or_b32 exec_lo, exec_lo, s40
	s_and_saveexec_b32 s40, s13
	s_cbranch_execnz .LBB4_1097
	s_branch .LBB4_1098
.LBB4_1392:                             ;   in Loop: Header=BB4_130 Depth=2
	s_or_saveexec_b32 s40, s40
	v_mov_b32_e32 v116, 0x7f800001
	s_xor_b32 exec_lo, exec_lo, s40
	s_cbranch_execz .LBB4_1110
.LBB4_1393:                             ;   in Loop: Header=BB4_130 Depth=2
	v_cmp_ne_u16_sdwa s41, v40, v36 src0_sel:BYTE_0 src1_sel:DWORD
	v_mov_b32_e32 v116, 0
	s_andn2_b32 s13, s13, exec_lo
	s_and_b32 s41, s41, exec_lo
	s_or_b32 s13, s13, s41
	s_or_b32 exec_lo, exec_lo, s40
	v_lshl_or_b32 v40, v40, 16, v44
	s_and_saveexec_b32 s40, s13
	s_cbranch_execnz .LBB4_1111
	s_branch .LBB4_1112
.LBB4_1394:                             ;   in Loop: Header=BB4_130 Depth=2
	s_or_saveexec_b32 s40, s40
	v_mov_b32_e32 v44, 0x7f800001
	s_xor_b32 exec_lo, exec_lo, s40
	s_cbranch_execz .LBB4_1116
.LBB4_1395:                             ;   in Loop: Header=BB4_130 Depth=2
	v_cmp_ne_u16_e32 vcc_lo, 0, v57
	v_mov_b32_e32 v44, 0
	s_andn2_b32 s13, s13, exec_lo
	s_and_b32 s41, vcc_lo, exec_lo
	s_or_b32 s13, s13, s41
	s_or_b32 exec_lo, exec_lo, s40
	s_and_saveexec_b32 s40, s13
	s_cbranch_execnz .LBB4_1117
	s_branch .LBB4_1118
.LBB4_1396:                             ;   in Loop: Header=BB4_130 Depth=2
	s_or_saveexec_b32 s40, s40
	v_mov_b32_e32 v44, 0x7f800001
	s_xor_b32 exec_lo, exec_lo, s40
	s_cbranch_execz .LBB4_1130
.LBB4_1397:                             ;   in Loop: Header=BB4_130 Depth=2
	v_cmp_ne_u16_sdwa s41, v40, v36 src0_sel:BYTE_3 src1_sel:DWORD
	v_mov_b32_e32 v44, 0
	s_andn2_b32 s13, s13, exec_lo
	s_and_b32 s41, s41, exec_lo
	s_or_b32 s13, s13, s41
	s_or_b32 exec_lo, exec_lo, s40
	s_and_saveexec_b32 s40, s13
	s_cbranch_execnz .LBB4_1131
	s_branch .LBB4_1132
.LBB4_1398:                             ;   in Loop: Header=BB4_130 Depth=2
	s_or_saveexec_b32 s40, s40
	v_mov_b32_e32 v40, 0x7f800001
	s_xor_b32 exec_lo, exec_lo, s40
	s_cbranch_execz .LBB4_1136
.LBB4_1399:                             ;   in Loop: Header=BB4_130 Depth=2
	v_cmp_ne_u16_sdwa s41, v12, v36 src0_sel:BYTE_3 src1_sel:DWORD
	v_mov_b32_e32 v40, 0
	s_andn2_b32 s13, s13, exec_lo
	s_and_b32 s41, s41, exec_lo
	s_or_b32 s13, s13, s41
	s_or_b32 exec_lo, exec_lo, s40
	s_and_saveexec_b32 s40, s13
	s_cbranch_execnz .LBB4_1137
	s_branch .LBB4_1138
.LBB4_1400:                             ;   in Loop: Header=BB4_130 Depth=2
	s_or_saveexec_b32 s40, s40
	v_mov_b32_e32 v113, 0x7f800001
	s_xor_b32 exec_lo, exec_lo, s40
	s_cbranch_execz .LBB4_1150
.LBB4_1401:                             ;   in Loop: Header=BB4_130 Depth=2
	v_cmp_ne_u16_sdwa s41, v117, v36 src0_sel:BYTE_0 src1_sel:DWORD
	v_mov_b32_e32 v113, 0
	s_andn2_b32 s13, s13, exec_lo
	s_and_b32 s41, s41, exec_lo
	s_or_b32 s13, s13, s41
	s_or_b32 exec_lo, exec_lo, s40
	s_and_saveexec_b32 s40, s13
	s_cbranch_execnz .LBB4_1151
	s_branch .LBB4_1152
.LBB4_1402:                             ;   in Loop: Header=BB4_130 Depth=2
	s_or_saveexec_b32 s40, s40
	v_mov_b32_e32 v40, 0x7f800001
	s_xor_b32 exec_lo, exec_lo, s40
	s_cbranch_execz .LBB4_1156
.LBB4_1403:                             ;   in Loop: Header=BB4_130 Depth=2
	v_cmp_ne_u16_sdwa s41, v13, v36 src0_sel:BYTE_0 src1_sel:DWORD
	v_mov_b32_e32 v40, 0
	s_andn2_b32 s13, s13, exec_lo
	s_and_b32 s41, s41, exec_lo
	s_or_b32 s13, s13, s41
	s_or_b32 exec_lo, exec_lo, s40
	s_and_saveexec_b32 s40, s13
	s_cbranch_execnz .LBB4_1157
	s_branch .LBB4_1158
.LBB4_1404:                             ;   in Loop: Header=BB4_130 Depth=2
	s_or_saveexec_b32 s40, s40
	v_mov_b32_e32 v40, 0x7f800001
	s_xor_b32 exec_lo, exec_lo, s40
	s_cbranch_execz .LBB4_1170
.LBB4_1405:                             ;   in Loop: Header=BB4_130 Depth=2
	v_cmp_ne_u16_sdwa s41, v117, v36 src0_sel:BYTE_1 src1_sel:DWORD
	v_mov_b32_e32 v40, 0
	s_andn2_b32 s13, s13, exec_lo
	s_and_b32 s41, s41, exec_lo
	s_or_b32 s13, s13, s41
	s_or_b32 exec_lo, exec_lo, s40
	s_and_saveexec_b32 s40, s13
	s_cbranch_execnz .LBB4_1171
	s_branch .LBB4_1172
.LBB4_1406:                             ;   in Loop: Header=BB4_130 Depth=2
	s_or_saveexec_b32 s40, s40
	v_mov_b32_e32 v44, 0x7f800001
	s_xor_b32 exec_lo, exec_lo, s40
	s_cbranch_execz .LBB4_1176
.LBB4_1407:                             ;   in Loop: Header=BB4_130 Depth=2
	v_cmp_ne_u16_sdwa s41, v13, v36 src0_sel:BYTE_1 src1_sel:DWORD
	v_mov_b32_e32 v44, 0
	s_andn2_b32 s13, s13, exec_lo
	s_and_b32 s41, s41, exec_lo
	s_or_b32 s13, s13, s41
	s_or_b32 exec_lo, exec_lo, s40
	s_and_saveexec_b32 s40, s13
	s_cbranch_execnz .LBB4_1177
	s_branch .LBB4_1178
.LBB4_1408:                             ;   in Loop: Header=BB4_130 Depth=2
	s_or_saveexec_b32 s40, s40
	v_mov_b32_e32 v112, 0x7f800001
	s_xor_b32 exec_lo, exec_lo, s40
	s_cbranch_execz .LBB4_1190
.LBB4_1409:                             ;   in Loop: Header=BB4_130 Depth=2
	v_cmp_ne_u16_sdwa s41, v114, v36 src0_sel:BYTE_0 src1_sel:DWORD
	v_mov_b32_e32 v112, 0
	s_andn2_b32 s13, s13, exec_lo
	s_and_b32 s41, s41, exec_lo
	s_or_b32 s13, s13, s41
	s_or_b32 exec_lo, exec_lo, s40
	v_lshl_or_b32 v114, v114, 16, v117
	s_and_saveexec_b32 s40, s13
	s_cbranch_execnz .LBB4_1191
	s_branch .LBB4_1192
.LBB4_1410:                             ;   in Loop: Header=BB4_130 Depth=2
	s_or_saveexec_b32 s40, s40
	v_mov_b32_e32 v117, 0x7f800001
	s_xor_b32 exec_lo, exec_lo, s40
	s_cbranch_execz .LBB4_1196
.LBB4_1411:                             ;   in Loop: Header=BB4_130 Depth=2
	v_cmp_ne_u16_e32 vcc_lo, 0, v44
	v_mov_b32_e32 v117, 0
	s_andn2_b32 s13, s13, exec_lo
	s_and_b32 s41, vcc_lo, exec_lo
	s_or_b32 s13, s13, s41
	s_or_b32 exec_lo, exec_lo, s40
	s_and_saveexec_b32 s40, s13
	s_cbranch_execnz .LBB4_1197
	s_branch .LBB4_1198
.LBB4_1412:                             ;   in Loop: Header=BB4_130 Depth=2
	s_or_saveexec_b32 s40, s40
	v_mov_b32_e32 v117, 0x7f800001
	s_xor_b32 exec_lo, exec_lo, s40
	s_cbranch_execz .LBB4_1210
.LBB4_1413:                             ;   in Loop: Header=BB4_130 Depth=2
	v_cmp_ne_u16_sdwa s41, v114, v36 src0_sel:BYTE_3 src1_sel:DWORD
	v_mov_b32_e32 v117, 0
	s_andn2_b32 s13, s13, exec_lo
	s_and_b32 s41, s41, exec_lo
	s_or_b32 s13, s13, s41
	s_or_b32 exec_lo, exec_lo, s40
	s_and_saveexec_b32 s40, s13
	s_cbranch_execnz .LBB4_1211
	s_branch .LBB4_1212
.LBB4_1414:                             ;   in Loop: Header=BB4_130 Depth=2
	s_or_saveexec_b32 s40, s40
	v_mov_b32_e32 v114, 0x7f800001
	s_xor_b32 exec_lo, exec_lo, s40
	s_cbranch_execz .LBB4_1216
.LBB4_1415:                             ;   in Loop: Header=BB4_130 Depth=2
	v_cmp_ne_u16_sdwa s41, v13, v36 src0_sel:BYTE_3 src1_sel:DWORD
	v_mov_b32_e32 v114, 0
	s_andn2_b32 s13, s13, exec_lo
	s_and_b32 s41, s41, exec_lo
	s_or_b32 s13, s13, s41
	s_or_b32 exec_lo, exec_lo, s40
	s_and_saveexec_b32 s40, s13
	s_cbranch_execnz .LBB4_1217
	s_branch .LBB4_1218
.LBB4_1416:                             ;   in Loop: Header=BB4_49 Depth=1
	s_or_b32 exec_lo, exec_lo, s26
.LBB4_1417:                             ;   in Loop: Header=BB4_49 Depth=1
	s_or_b32 exec_lo, exec_lo, s14
	v_and_b32_e32 v10, 0x3ffffc00, v37
	v_mov_b32_e32 v54, 0
	s_mov_b32 s13, 0
	s_mov_b32 s26, exec_lo
                                        ; implicit-def: $vgpr55
                                        ; implicit-def: $vgpr64
	v_cmpx_ne_u32_e64 v37, v10
	s_cbranch_execz .LBB4_2071
; %bb.1418:                             ;   in Loop: Header=BB4_49 Depth=1
	v_lshlrev_b32_e32 v11, 5, v102
	v_and_b32_e32 v65, 0x1ff, v37
	v_bfe_u32 v14, v37, 9, 1
	s_mov_b32 s27, exec_lo
	v_sub_nc_u32_e32 v11, v80, v11
	v_cmp_lt_u32_e64 s13, 15, v65
	v_ashrrev_i32_e32 v12, 31, v11
	v_add_co_ci_u32_e64 v14, null, 0, v14, s13
	v_lshrrev_b32_e32 v12, 27, v12
	v_add_nc_u32_e32 v12, v11, v12
	v_and_b32_e32 v13, 0xffffffe0, v12
	v_ashrrev_i32_e32 v12, 5, v12
	v_sub_nc_u32_e32 v64, v11, v13
	v_and_b32_e32 v13, 0x3ff, v37
	v_sub_nc_u32_e32 v66, v14, v12
	v_lshlrev_b32_e32 v11, 4, v64
	v_lshl_add_u32 v11, v12, 9, v11
	v_sub_nc_u32_e32 v67, v13, v11
	v_cmpx_lt_i32_e32 15, v67
	s_cbranch_execz .LBB4_2070
; %bb.1419:                             ;   in Loop: Header=BB4_49 Depth=1
	s_trap 2
	ds_read_b64 v[12:13], v0
	v_add_nc_u32_e32 v10, v11, v10
	v_ashrrev_i32_e32 v11, 31, v10
	v_add_co_u32 v14, vcc_lo, v10, v50
	v_add_co_ci_u32_e64 v15, null, v11, v51, vcc_lo
	v_add_co_u32 v16, vcc_lo, v10, v52
	v_add_co_ci_u32_e64 v17, null, v11, v53, vcc_lo
	s_waitcnt lgkmcnt(0)
	v_readfirstlane_b32 s14, v12
	v_add_co_u32 v54, vcc_lo, v12, v10
	v_add_co_ci_u32_e64 v55, null, v13, v11, vcc_lo
	s_and_b32 s28, s14, 7
	s_bfe_u32 s41, s14, 0x40003
	s_flbit_i32_b32 s29, s28
	s_min_u32 s29, s29, 32
	s_sub_i32 s40, s29, 28
	s_sub_i32 s29, 29, s29
	s_lshl_b32 s40, s14, s40
	s_and_b32 s40, s40, 7
	s_cmp_eq_u32 s41, 0
	s_cselect_b32 s29, s29, s41
	s_cselect_b32 s28, s40, s28
	s_lshl_b32 s40, s14, 24
	s_lshl_b32 s29, s29, 23
	s_and_b32 s40, s40, 0x80000000
	s_add_i32 s29, s29, 0x3b800000
	s_lshl_b32 s41, s28, 20
	s_or_b32 s29, s40, s29
	s_mov_b32 s28, 0
	s_or_b32 s29, s29, s41
	s_and_b32 s40, s14, 0xff
	s_branch .LBB4_1423
.LBB4_1420:                             ;   in Loop: Header=BB4_1423 Depth=2
	s_or_b32 exec_lo, exec_lo, s14
	v_lshrrev_b32_e32 v116, 20, v116
	v_min_i32_e32 v43, 15, v114
	v_cmp_gt_i32_e32 vcc_lo, 16, v114
	v_and_b32_sdwa v13, v13, v97 dst_sel:DWORD dst_unused:UNUSED_PAD src0_sel:BYTE_3 src1_sel:DWORD
	v_lshlrev_b32_e32 v43, 3, v43
	v_cndmask_b32_e32 v116, 7, v116, vcc_lo
	v_and_b32_e32 v43, 0xf8, v43
	v_and_b32_e32 v45, 7, v116
	v_or_b32_e32 v114, v114, v116
	v_or3_b32 v13, v13, v43, v45
	v_cmp_ne_u32_e32 vcc_lo, 0, v114
	v_lshlrev_b32_e32 v13, 8, v13
	v_cndmask_b32_e32 v114, 0, v13, vcc_lo
.LBB4_1421:                             ;   in Loop: Header=BB4_1423 Depth=2
	s_or_b32 exec_lo, exec_lo, s42
.LBB4_1422:                             ;   in Loop: Header=BB4_1423 Depth=2
	s_or_b32 exec_lo, exec_lo, s41
	v_or_b32_sdwa v11, v11, v40 dst_sel:WORD_1 dst_unused:UNUSED_PAD src0_sel:DWORD src1_sel:DWORD
	v_or_b32_sdwa v10, v10, v118 dst_sel:WORD_1 dst_unused:UNUSED_PAD src0_sel:DWORD src1_sel:DWORD
	;; [unrolled: 1-line block ×4, first 2 shown]
	v_sub_nc_u32_e32 v67, v67, v84
	v_or3_b32 v11, v44, v42, v11
	v_or3_b32 v10, v113, v102, v10
	;; [unrolled: 1-line block ×4, first 2 shown]
	v_add_co_u32 v14, vcc_lo, v14, v84
	v_add_co_ci_u32_e64 v15, null, 0, v15, vcc_lo
	v_add_co_u32 v54, vcc_lo, v54, v84
	global_store_dwordx4 v[16:17], v[10:13], off glc slc
	v_add_co_ci_u32_e64 v55, null, 0, v55, vcc_lo
	v_cmp_gt_i32_e32 vcc_lo, 16, v67
	v_add_co_u32 v16, s14, v16, v84
	v_add_co_ci_u32_e64 v17, null, 0, v17, s14
	v_sub_nc_u32_e32 v66, v66, v81
	s_or_b32 s28, vcc_lo, s28
	s_andn2_b32 exec_lo, exec_lo, s28
	s_cbranch_execz .LBB4_2069
.LBB4_1423:                             ;   Parent Loop BB4_49 Depth=1
                                        ; =>  This Inner Loop Header: Depth=2
	s_cmpk_lt_i32 s40, 0x80
	s_cbranch_scc1 .LBB4_1427
; %bb.1424:                             ;   in Loop: Header=BB4_1423 Depth=2
	s_and_b32 s14, 0xffff, s40
	s_cmpk_eq_i32 s14, 0x80
	s_mov_b32 s14, -1
	s_cbranch_scc0 .LBB4_1426
; %bb.1425:                             ;   in Loop: Header=BB4_1423 Depth=2
	s_mov_b32 s14, 0
.LBB4_1426:                             ;   in Loop: Header=BB4_1423 Depth=2
	s_mov_b32 s41, 0x7f800001
	s_branch .LBB4_1429
.LBB4_1427:                             ;   in Loop: Header=BB4_1423 Depth=2
	s_mov_b32 s14, 0
	s_mov_b32 s41, 0x7f800001
	s_cbranch_execz .LBB4_1429
; %bb.1428:                             ;   in Loop: Header=BB4_1423 Depth=2
	s_and_b32 s14, 0xffff, s40
	s_mov_b32 s41, 0
	s_cmp_lg_u32 s14, 0
	s_cselect_b32 s14, -1, 0
.LBB4_1429:                             ;   in Loop: Header=BB4_1423 Depth=2
	s_andn2_b32 vcc_lo, exec_lo, s14
	s_cbranch_vccnz .LBB4_1431
; %bb.1430:                             ;   in Loop: Header=BB4_1423 Depth=2
	s_mov_b32 s41, s29
.LBB4_1431:                             ;   in Loop: Header=BB4_1423 Depth=2
	global_load_dwordx4 v[10:13], v[14:15], off slc
	s_mov_b32 s14, 0
	s_waitcnt vmcnt(0)
	v_cmp_gt_i16_sdwa s42, v10, v96 src0_sel:BYTE_0 src1_sel:DWORD
	s_and_saveexec_b32 s43, s42
	s_xor_b32 s42, exec_lo, s43
	s_cbranch_execz .LBB4_1973
; %bb.1432:                             ;   in Loop: Header=BB4_1423 Depth=2
	v_cmp_eq_u16_sdwa s44, v10, v97 src0_sel:BYTE_0 src1_sel:DWORD
	s_mov_b32 s14, -1
	s_and_saveexec_b32 s43, s44
; %bb.1433:                             ;   in Loop: Header=BB4_1423 Depth=2
	s_xor_b32 s14, exec_lo, -1
; %bb.1434:                             ;   in Loop: Header=BB4_1423 Depth=2
	s_or_b32 exec_lo, exec_lo, s43
	s_and_b32 s14, s14, exec_lo
	s_or_saveexec_b32 s42, s42
	v_mov_b32_e32 v102, 0x7f800001
	s_xor_b32 exec_lo, exec_lo, s42
	s_cbranch_execnz .LBB4_1974
.LBB4_1435:                             ;   in Loop: Header=BB4_1423 Depth=2
	s_or_b32 exec_lo, exec_lo, s42
	s_and_saveexec_b32 s42, s14
	s_cbranch_execz .LBB4_1437
.LBB4_1436:                             ;   in Loop: Header=BB4_1423 Depth=2
	v_and_b32_e32 v102, 7, v10
	v_bfe_u32 v113, v10, 3, 4
	v_lshlrev_b32_e32 v114, 24, v10
	v_ffbh_u32_e32 v103, v102
	v_cmp_eq_u32_e32 vcc_lo, 0, v113
	v_min_u32_e32 v103, 32, v103
	v_subrev_nc_u32_e32 v112, 28, v103
	v_sub_nc_u32_e32 v103, 29, v103
	v_lshlrev_b32_e32 v112, v112, v10
	v_cndmask_b32_e32 v103, v113, v103, vcc_lo
	v_and_b32_e32 v112, 7, v112
	v_lshl_add_u32 v103, v103, 23, 0x3b800000
	v_cndmask_b32_e32 v102, v102, v112, vcc_lo
	v_and_b32_e32 v112, 0x80000000, v114
	v_lshlrev_b32_e32 v102, 20, v102
	v_or3_b32 v102, v112, v103, v102
.LBB4_1437:                             ;   in Loop: Header=BB4_1423 Depth=2
	s_or_b32 exec_lo, exec_lo, s42
	v_mul_f32_e32 v103, s41, v102
	v_and_b32_e32 v102, 0x7f800000, v103
	v_cmp_ne_u32_e32 vcc_lo, 0x7f800000, v102
	v_mov_b32_e32 v102, 0x80
	s_and_saveexec_b32 s42, vcc_lo
	s_cbranch_execz .LBB4_1445
; %bb.1438:                             ;   in Loop: Header=BB4_1423 Depth=2
	v_mov_b32_e32 v102, 0
	s_mov_b32 s43, exec_lo
	v_cmpx_ne_u32_e32 0, v103
	s_cbranch_execz .LBB4_1444
; %bb.1439:                             ;   in Loop: Header=BB4_1423 Depth=2
	v_bfe_u32 v102, v103, 23, 8
	v_and_b32_e32 v112, 0x7fffff, v103
	v_sub_nc_u32_e32 v113, 0x78, v102
	v_cmp_gt_u32_e32 vcc_lo, 0x79, v102
	v_or_b32_e32 v114, 0x800000, v112
	v_cndmask_b32_e32 v113, 0, v113, vcc_lo
	v_cmp_eq_u32_e32 vcc_lo, 0, v102
	v_add_nc_u32_e32 v102, 0xffffff89, v102
	v_cndmask_b32_e64 v113, v113, 0x77, vcc_lo
	v_cndmask_b32_e32 v112, v114, v112, vcc_lo
	v_cndmask_b32_e64 v102, v102, 0xffffff8a, vcc_lo
	v_lshl_add_u32 v114, 0x100000, v113, -1
	v_lshrrev_b32_e32 v115, v113, v112
	v_lshlrev_b32_e64 v117, v113, 0x80000
	v_add_nc_u32_e32 v113, v113, v102
	v_and_b32_e32 v112, v114, v112
	v_bfe_u32 v116, v115, 20, 1
	v_cmp_eq_u32_e64 s14, v112, v117
	v_add_nc_u32_e32 v114, -1, v116
	v_cndmask_b32_e64 v112, 0, v114, s14
	v_lshrrev_b32_e32 v114, 23, v115
	s_mov_b32 s14, exec_lo
	v_add_nc_u32_e32 v112, v112, v115
	v_xor_b32_e32 v114, 1, v114
	v_and_b32_e32 v102, 0xfffff, v112
	v_add_nc_u32_e32 v112, v102, v115
                                        ; implicit-def: $vgpr102
	v_cmpx_ne_u32_e64 v113, v114
	s_xor_b32 s14, exec_lo, s14
; %bb.1440:                             ;   in Loop: Header=BB4_1423 Depth=2
	v_cmp_lt_u32_e32 vcc_lo, 0xffffff, v112
	v_sub_nc_u32_e32 v102, v113, v114
	v_cndmask_b32_e64 v113, 0, 1, vcc_lo
	v_add_co_ci_u32_e64 v102, null, 0, v102, vcc_lo
	v_lshrrev_b32_e32 v112, v113, v112
; %bb.1441:                             ;   in Loop: Header=BB4_1423 Depth=2
	s_andn2_saveexec_b32 s14, s14
; %bb.1442:                             ;   in Loop: Header=BB4_1423 Depth=2
	v_bfe_u32 v102, v112, 23, 1
; %bb.1443:                             ;   in Loop: Header=BB4_1423 Depth=2
	s_or_b32 exec_lo, exec_lo, s14
	v_lshrrev_b32_e32 v112, 20, v112
	v_min_i32_e32 v113, 15, v102
	v_cmp_gt_i32_e32 vcc_lo, 16, v102
	v_and_b32_sdwa v103, v103, v97 dst_sel:DWORD dst_unused:UNUSED_PAD src0_sel:BYTE_3 src1_sel:DWORD
	v_lshlrev_b32_e32 v113, 3, v113
	v_cndmask_b32_e32 v112, 7, v112, vcc_lo
	v_and_b32_e32 v113, 0xf8, v113
	v_and_b32_e32 v114, 7, v112
	v_or_b32_e32 v102, v102, v112
	v_or3_b32 v103, v113, v103, v114
	v_cmp_ne_u32_e32 vcc_lo, 0, v102
	v_cndmask_b32_e32 v102, 0, v103, vcc_lo
.LBB4_1444:                             ;   in Loop: Header=BB4_1423 Depth=2
	s_or_b32 exec_lo, exec_lo, s43
.LBB4_1445:                             ;   in Loop: Header=BB4_1423 Depth=2
	s_or_b32 exec_lo, exec_lo, s42
	v_cmp_gt_i16_sdwa s42, v10, v96 src0_sel:BYTE_1 src1_sel:DWORD
	s_mov_b32 s14, 0
	s_and_saveexec_b32 s43, s42
	s_xor_b32 s42, exec_lo, s43
	s_cbranch_execz .LBB4_1975
; %bb.1446:                             ;   in Loop: Header=BB4_1423 Depth=2
	v_cmp_eq_u16_sdwa s44, v10, v97 src0_sel:BYTE_1 src1_sel:DWORD
	s_mov_b32 s14, -1
	s_and_saveexec_b32 s43, s44
; %bb.1447:                             ;   in Loop: Header=BB4_1423 Depth=2
	s_xor_b32 s14, exec_lo, -1
; %bb.1448:                             ;   in Loop: Header=BB4_1423 Depth=2
	s_or_b32 exec_lo, exec_lo, s43
	s_and_b32 s14, s14, exec_lo
	s_or_saveexec_b32 s42, s42
	v_mov_b32_e32 v103, 0x7f800001
	s_xor_b32 exec_lo, exec_lo, s42
	s_cbranch_execnz .LBB4_1976
.LBB4_1449:                             ;   in Loop: Header=BB4_1423 Depth=2
	s_or_b32 exec_lo, exec_lo, s42
	s_and_saveexec_b32 s42, s14
	s_cbranch_execz .LBB4_1451
.LBB4_1450:                             ;   in Loop: Header=BB4_1423 Depth=2
	v_and_b32_sdwa v103, v98, v10 dst_sel:DWORD dst_unused:UNUSED_PAD src0_sel:DWORD src1_sel:BYTE_1
	v_and_b32_e32 v112, 7, v103
	v_bfe_u32 v115, v103, 3, 4
	v_ffbh_u32_e32 v113, v112
	v_cmp_eq_u32_e32 vcc_lo, 0, v115
	v_min_u32_e32 v113, 32, v113
	v_subrev_nc_u32_e32 v114, 28, v113
	v_sub_nc_u32_e32 v113, 29, v113
	v_lshlrev_b32_e32 v103, v114, v103
	v_lshlrev_b32_sdwa v114, v99, v10 dst_sel:DWORD dst_unused:UNUSED_PAD src0_sel:DWORD src1_sel:BYTE_1
	v_cndmask_b32_e32 v113, v115, v113, vcc_lo
	v_and_b32_e32 v103, 7, v103
	v_lshl_add_u32 v113, v113, 23, 0x3b800000
	v_cndmask_b32_e32 v103, v112, v103, vcc_lo
	v_and_b32_e32 v112, 0x80000000, v114
	v_lshlrev_b32_e32 v103, 20, v103
	v_or3_b32 v103, v112, v113, v103
.LBB4_1451:                             ;   in Loop: Header=BB4_1423 Depth=2
	s_or_b32 exec_lo, exec_lo, s42
	v_mul_f32_e32 v103, s41, v103
	v_mov_b32_e32 v113, 0x8000
	s_mov_b32 s42, exec_lo
	v_and_b32_e32 v112, 0x7f800000, v103
	v_cmpx_ne_u32_e32 0x7f800000, v112
	s_cbranch_execz .LBB4_1459
; %bb.1452:                             ;   in Loop: Header=BB4_1423 Depth=2
	v_mov_b32_e32 v113, 0
	s_mov_b32 s43, exec_lo
	v_cmpx_ne_u32_e32 0, v103
	s_cbranch_execz .LBB4_1458
; %bb.1453:                             ;   in Loop: Header=BB4_1423 Depth=2
	v_bfe_u32 v112, v103, 23, 8
	v_and_b32_e32 v113, 0x7fffff, v103
	v_sub_nc_u32_e32 v114, 0x78, v112
	v_cmp_gt_u32_e32 vcc_lo, 0x79, v112
	v_or_b32_e32 v115, 0x800000, v113
	v_cndmask_b32_e32 v114, 0, v114, vcc_lo
	v_cmp_eq_u32_e32 vcc_lo, 0, v112
	v_add_nc_u32_e32 v112, 0xffffff89, v112
	v_cndmask_b32_e64 v114, v114, 0x77, vcc_lo
	v_cndmask_b32_e32 v113, v115, v113, vcc_lo
	v_cndmask_b32_e64 v112, v112, 0xffffff8a, vcc_lo
	v_lshl_add_u32 v115, 0x100000, v114, -1
	v_lshrrev_b32_e32 v116, v114, v113
	v_lshlrev_b32_e64 v118, v114, 0x80000
	v_add_nc_u32_e32 v114, v114, v112
	v_and_b32_e32 v113, v115, v113
	v_bfe_u32 v117, v116, 20, 1
	v_cmp_eq_u32_e64 s14, v113, v118
	v_add_nc_u32_e32 v115, -1, v117
	v_cndmask_b32_e64 v113, 0, v115, s14
	v_lshrrev_b32_e32 v115, 23, v116
	s_mov_b32 s14, exec_lo
	v_add_nc_u32_e32 v113, v113, v116
	v_xor_b32_e32 v115, 1, v115
	v_and_b32_e32 v112, 0xfffff, v113
	v_add_nc_u32_e32 v113, v112, v116
                                        ; implicit-def: $vgpr112
	v_cmpx_ne_u32_e64 v114, v115
	s_xor_b32 s14, exec_lo, s14
; %bb.1454:                             ;   in Loop: Header=BB4_1423 Depth=2
	v_cmp_lt_u32_e32 vcc_lo, 0xffffff, v113
	v_sub_nc_u32_e32 v112, v114, v115
	v_cndmask_b32_e64 v114, 0, 1, vcc_lo
	v_add_co_ci_u32_e64 v112, null, 0, v112, vcc_lo
	v_lshrrev_b32_e32 v113, v114, v113
; %bb.1455:                             ;   in Loop: Header=BB4_1423 Depth=2
	s_andn2_saveexec_b32 s14, s14
; %bb.1456:                             ;   in Loop: Header=BB4_1423 Depth=2
	v_bfe_u32 v112, v113, 23, 1
; %bb.1457:                             ;   in Loop: Header=BB4_1423 Depth=2
	s_or_b32 exec_lo, exec_lo, s14
	v_lshrrev_b32_e32 v113, 20, v113
	v_min_i32_e32 v114, 15, v112
	v_cmp_gt_i32_e32 vcc_lo, 16, v112
	v_and_b32_sdwa v103, v103, v97 dst_sel:DWORD dst_unused:UNUSED_PAD src0_sel:BYTE_3 src1_sel:DWORD
	v_lshlrev_b32_e32 v114, 3, v114
	v_cndmask_b32_e32 v113, 7, v113, vcc_lo
	v_and_b32_e32 v114, 0xf8, v114
	v_and_b32_e32 v115, 7, v113
	v_or_b32_e32 v112, v112, v113
	v_or3_b32 v103, v103, v114, v115
	v_cmp_ne_u32_e32 vcc_lo, 0, v112
	v_lshlrev_b32_e32 v103, 8, v103
	v_cndmask_b32_e32 v113, 0, v103, vcc_lo
.LBB4_1458:                             ;   in Loop: Header=BB4_1423 Depth=2
	s_or_b32 exec_lo, exec_lo, s43
.LBB4_1459:                             ;   in Loop: Header=BB4_1423 Depth=2
	s_or_b32 exec_lo, exec_lo, s42
	v_and_b32_sdwa v112, v10, v100 dst_sel:DWORD dst_unused:UNUSED_PAD src0_sel:WORD_1 src1_sel:DWORD
	s_mov_b32 s14, 0
	s_mov_b32 s42, exec_lo
	v_cmpx_lt_i16_e32 0x7f, v112
	s_xor_b32 s42, exec_lo, s42
	s_cbranch_execz .LBB4_1977
; %bb.1460:                             ;   in Loop: Header=BB4_1423 Depth=2
	s_mov_b32 s14, -1
	s_mov_b32 s43, exec_lo
	v_cmpx_eq_u16_e32 0x80, v112
; %bb.1461:                             ;   in Loop: Header=BB4_1423 Depth=2
	s_xor_b32 s14, exec_lo, -1
; %bb.1462:                             ;   in Loop: Header=BB4_1423 Depth=2
	s_or_b32 exec_lo, exec_lo, s43
	s_and_b32 s14, s14, exec_lo
                                        ; implicit-def: $vgpr112
	s_or_saveexec_b32 s42, s42
	v_mov_b32_e32 v103, 0x7f800001
	s_xor_b32 exec_lo, exec_lo, s42
	s_cbranch_execnz .LBB4_1978
.LBB4_1463:                             ;   in Loop: Header=BB4_1423 Depth=2
	s_or_b32 exec_lo, exec_lo, s42
	s_and_saveexec_b32 s42, s14
	s_cbranch_execz .LBB4_1465
.LBB4_1464:                             ;   in Loop: Header=BB4_1423 Depth=2
	v_bfe_u32 v103, v10, 16, 3
	v_bfe_u32 v115, v10, 19, 4
	v_lshlrev_b32_e32 v116, 8, v10
	v_ffbh_u32_e32 v112, v103
	v_cmp_eq_u32_e32 vcc_lo, 0, v115
	v_min_u32_e32 v112, 32, v112
	v_subrev_nc_u32_e32 v114, 28, v112
	v_sub_nc_u32_e32 v112, 29, v112
	v_lshlrev_b32_sdwa v114, v114, v10 dst_sel:DWORD dst_unused:UNUSED_PAD src0_sel:DWORD src1_sel:WORD_1
	v_cndmask_b32_e32 v112, v115, v112, vcc_lo
	v_and_b32_e32 v114, 7, v114
	v_lshl_add_u32 v112, v112, 23, 0x3b800000
	v_cndmask_b32_e32 v103, v103, v114, vcc_lo
	v_and_b32_e32 v114, 0x80000000, v116
	v_lshlrev_b32_e32 v103, 20, v103
	v_or3_b32 v103, v114, v112, v103
.LBB4_1465:                             ;   in Loop: Header=BB4_1423 Depth=2
	s_or_b32 exec_lo, exec_lo, s42
	v_mul_f32_e32 v103, s41, v103
	v_mov_b32_e32 v118, 0x80
	s_mov_b32 s42, exec_lo
	v_and_b32_e32 v112, 0x7f800000, v103
	v_cmpx_ne_u32_e32 0x7f800000, v112
	s_cbranch_execz .LBB4_1473
; %bb.1466:                             ;   in Loop: Header=BB4_1423 Depth=2
	v_mov_b32_e32 v118, 0
	s_mov_b32 s43, exec_lo
	v_cmpx_ne_u32_e32 0, v103
	s_cbranch_execz .LBB4_1472
; %bb.1467:                             ;   in Loop: Header=BB4_1423 Depth=2
	v_bfe_u32 v112, v103, 23, 8
	v_and_b32_e32 v114, 0x7fffff, v103
	v_sub_nc_u32_e32 v115, 0x78, v112
	v_cmp_gt_u32_e32 vcc_lo, 0x79, v112
	v_or_b32_e32 v116, 0x800000, v114
	v_cndmask_b32_e32 v115, 0, v115, vcc_lo
	v_cmp_eq_u32_e32 vcc_lo, 0, v112
	v_add_nc_u32_e32 v112, 0xffffff89, v112
	v_cndmask_b32_e64 v115, v115, 0x77, vcc_lo
	v_cndmask_b32_e32 v114, v116, v114, vcc_lo
	v_cndmask_b32_e64 v112, v112, 0xffffff8a, vcc_lo
	v_lshl_add_u32 v116, 0x100000, v115, -1
	v_lshrrev_b32_e32 v117, v115, v114
	v_lshlrev_b32_e64 v119, v115, 0x80000
	v_add_nc_u32_e32 v115, v115, v112
	v_and_b32_e32 v114, v116, v114
	v_bfe_u32 v118, v117, 20, 1
	v_cmp_eq_u32_e64 s14, v114, v119
	v_add_nc_u32_e32 v116, -1, v118
	v_cndmask_b32_e64 v114, 0, v116, s14
	v_lshrrev_b32_e32 v116, 23, v117
	s_mov_b32 s14, exec_lo
	v_add_nc_u32_e32 v114, v114, v117
	v_xor_b32_e32 v116, 1, v116
	v_and_b32_e32 v112, 0xfffff, v114
	v_add_nc_u32_e32 v114, v112, v117
                                        ; implicit-def: $vgpr112
	v_cmpx_ne_u32_e64 v115, v116
	s_xor_b32 s14, exec_lo, s14
; %bb.1468:                             ;   in Loop: Header=BB4_1423 Depth=2
	v_cmp_lt_u32_e32 vcc_lo, 0xffffff, v114
	v_sub_nc_u32_e32 v112, v115, v116
	v_cndmask_b32_e64 v115, 0, 1, vcc_lo
	v_add_co_ci_u32_e64 v112, null, 0, v112, vcc_lo
	v_lshrrev_b32_e32 v114, v115, v114
; %bb.1469:                             ;   in Loop: Header=BB4_1423 Depth=2
	s_andn2_saveexec_b32 s14, s14
; %bb.1470:                             ;   in Loop: Header=BB4_1423 Depth=2
	v_bfe_u32 v112, v114, 23, 1
; %bb.1471:                             ;   in Loop: Header=BB4_1423 Depth=2
	s_or_b32 exec_lo, exec_lo, s14
	v_lshrrev_b32_e32 v114, 20, v114
	v_min_i32_e32 v115, 15, v112
	v_cmp_gt_i32_e32 vcc_lo, 16, v112
	v_and_b32_sdwa v103, v103, v97 dst_sel:DWORD dst_unused:UNUSED_PAD src0_sel:BYTE_3 src1_sel:DWORD
	v_lshlrev_b32_e32 v115, 3, v115
	v_cndmask_b32_e32 v114, 7, v114, vcc_lo
	v_and_b32_e32 v115, 0xf8, v115
	v_and_b32_e32 v116, 7, v114
	v_or_b32_e32 v112, v112, v114
	v_or3_b32 v103, v115, v103, v116
	v_cmp_ne_u32_e32 vcc_lo, 0, v112
	v_cndmask_b32_e32 v118, 0, v103, vcc_lo
.LBB4_1472:                             ;   in Loop: Header=BB4_1423 Depth=2
	s_or_b32 exec_lo, exec_lo, s43
.LBB4_1473:                             ;   in Loop: Header=BB4_1423 Depth=2
	s_or_b32 exec_lo, exec_lo, s42
	v_cmp_gt_i16_sdwa s42, v10, v96 src0_sel:BYTE_3 src1_sel:DWORD
	s_mov_b32 s14, 0
	s_and_saveexec_b32 s43, s42
	s_xor_b32 s42, exec_lo, s43
	s_cbranch_execz .LBB4_1979
; %bb.1474:                             ;   in Loop: Header=BB4_1423 Depth=2
	v_cmp_eq_u16_sdwa s44, v10, v97 src0_sel:BYTE_3 src1_sel:DWORD
	s_mov_b32 s14, -1
	s_and_saveexec_b32 s43, s44
; %bb.1475:                             ;   in Loop: Header=BB4_1423 Depth=2
	s_xor_b32 s14, exec_lo, -1
; %bb.1476:                             ;   in Loop: Header=BB4_1423 Depth=2
	s_or_b32 exec_lo, exec_lo, s43
	s_and_b32 s14, s14, exec_lo
	s_or_saveexec_b32 s42, s42
	v_mov_b32_e32 v103, 0x7f800001
	s_xor_b32 exec_lo, exec_lo, s42
	s_cbranch_execnz .LBB4_1980
.LBB4_1477:                             ;   in Loop: Header=BB4_1423 Depth=2
	s_or_b32 exec_lo, exec_lo, s42
	s_and_saveexec_b32 s42, s14
	s_cbranch_execz .LBB4_1479
.LBB4_1478:                             ;   in Loop: Header=BB4_1423 Depth=2
	v_bfe_u32 v103, v10, 24, 3
	v_bfe_u32 v115, v10, 27, 4
	v_ffbh_u32_e32 v112, v103
	v_cmp_eq_u32_e32 vcc_lo, 0, v115
	v_min_u32_e32 v112, 32, v112
	v_subrev_nc_u32_e32 v114, 28, v112
	v_sub_nc_u32_e32 v112, 29, v112
	v_lshlrev_b32_sdwa v114, v114, v10 dst_sel:DWORD dst_unused:UNUSED_PAD src0_sel:DWORD src1_sel:BYTE_3
	v_cndmask_b32_e32 v112, v115, v112, vcc_lo
	v_and_b32_e32 v10, 0x80000000, v10
	v_and_b32_e32 v114, 7, v114
	v_lshl_add_u32 v112, v112, 23, 0x3b800000
	v_cndmask_b32_e32 v103, v103, v114, vcc_lo
	v_lshlrev_b32_e32 v103, 20, v103
	v_or3_b32 v103, v10, v112, v103
.LBB4_1479:                             ;   in Loop: Header=BB4_1423 Depth=2
	s_or_b32 exec_lo, exec_lo, s42
	v_mul_f32_e32 v10, s41, v103
	v_mov_b32_e32 v45, 0x8000
	s_mov_b32 s42, exec_lo
	v_and_b32_e32 v103, 0x7f800000, v10
	v_cmpx_ne_u32_e32 0x7f800000, v103
	s_cbranch_execz .LBB4_1487
; %bb.1480:                             ;   in Loop: Header=BB4_1423 Depth=2
	v_mov_b32_e32 v45, 0
	s_mov_b32 s43, exec_lo
	v_cmpx_ne_u32_e32 0, v10
	s_cbranch_execz .LBB4_1486
; %bb.1481:                             ;   in Loop: Header=BB4_1423 Depth=2
	v_bfe_u32 v103, v10, 23, 8
	v_and_b32_e32 v112, 0x7fffff, v10
	v_sub_nc_u32_e32 v114, 0x78, v103
	v_cmp_gt_u32_e32 vcc_lo, 0x79, v103
	v_or_b32_e32 v115, 0x800000, v112
	v_cndmask_b32_e32 v114, 0, v114, vcc_lo
	v_cmp_eq_u32_e32 vcc_lo, 0, v103
	v_add_nc_u32_e32 v103, 0xffffff89, v103
	v_cndmask_b32_e64 v114, v114, 0x77, vcc_lo
	v_cndmask_b32_e32 v112, v115, v112, vcc_lo
	v_cndmask_b32_e64 v103, v103, 0xffffff8a, vcc_lo
	v_lshl_add_u32 v115, 0x100000, v114, -1
	v_lshrrev_b32_e32 v116, v114, v112
	v_lshlrev_b32_e64 v119, v114, 0x80000
	v_add_nc_u32_e32 v114, v114, v103
	v_and_b32_e32 v112, v115, v112
	v_bfe_u32 v117, v116, 20, 1
	v_cmp_eq_u32_e64 s14, v112, v119
	v_add_nc_u32_e32 v115, -1, v117
	v_cndmask_b32_e64 v112, 0, v115, s14
	v_lshrrev_b32_e32 v115, 23, v116
	s_mov_b32 s14, exec_lo
	v_add_nc_u32_e32 v112, v112, v116
	v_xor_b32_e32 v115, 1, v115
	v_and_b32_e32 v103, 0xfffff, v112
	v_add_nc_u32_e32 v112, v103, v116
                                        ; implicit-def: $vgpr103
	v_cmpx_ne_u32_e64 v114, v115
	s_xor_b32 s14, exec_lo, s14
; %bb.1482:                             ;   in Loop: Header=BB4_1423 Depth=2
	v_cmp_lt_u32_e32 vcc_lo, 0xffffff, v112
	v_sub_nc_u32_e32 v103, v114, v115
	v_cndmask_b32_e64 v114, 0, 1, vcc_lo
	v_add_co_ci_u32_e64 v103, null, 0, v103, vcc_lo
	v_lshrrev_b32_e32 v112, v114, v112
; %bb.1483:                             ;   in Loop: Header=BB4_1423 Depth=2
	s_andn2_saveexec_b32 s14, s14
; %bb.1484:                             ;   in Loop: Header=BB4_1423 Depth=2
	v_bfe_u32 v103, v112, 23, 1
; %bb.1485:                             ;   in Loop: Header=BB4_1423 Depth=2
	s_or_b32 exec_lo, exec_lo, s14
	v_lshrrev_b32_e32 v112, 20, v112
	v_min_i32_e32 v114, 15, v103
	v_cmp_gt_i32_e32 vcc_lo, 16, v103
	v_and_b32_sdwa v10, v10, v97 dst_sel:DWORD dst_unused:UNUSED_PAD src0_sel:BYTE_3 src1_sel:DWORD
	v_lshlrev_b32_e32 v114, 3, v114
	v_cndmask_b32_e32 v112, 7, v112, vcc_lo
	v_and_b32_e32 v114, 0xf8, v114
	v_and_b32_e32 v115, 7, v112
	v_or_b32_e32 v103, v103, v112
	v_or3_b32 v10, v10, v114, v115
	v_cmp_ne_u32_e32 vcc_lo, 0, v103
	v_lshlrev_b32_e32 v10, 8, v10
	v_cndmask_b32_e32 v45, 0, v10, vcc_lo
.LBB4_1486:                             ;   in Loop: Header=BB4_1423 Depth=2
	s_or_b32 exec_lo, exec_lo, s43
.LBB4_1487:                             ;   in Loop: Header=BB4_1423 Depth=2
	s_or_b32 exec_lo, exec_lo, s42
	v_cmp_gt_i16_sdwa s42, v11, v96 src0_sel:BYTE_0 src1_sel:DWORD
	s_mov_b32 s14, 0
	s_and_saveexec_b32 s43, s42
	s_xor_b32 s42, exec_lo, s43
	s_cbranch_execz .LBB4_1981
; %bb.1488:                             ;   in Loop: Header=BB4_1423 Depth=2
	v_cmp_eq_u16_sdwa s44, v11, v97 src0_sel:BYTE_0 src1_sel:DWORD
	s_mov_b32 s14, -1
	s_and_saveexec_b32 s43, s44
; %bb.1489:                             ;   in Loop: Header=BB4_1423 Depth=2
	s_xor_b32 s14, exec_lo, -1
; %bb.1490:                             ;   in Loop: Header=BB4_1423 Depth=2
	s_or_b32 exec_lo, exec_lo, s43
	s_and_b32 s14, s14, exec_lo
	s_or_saveexec_b32 s42, s42
	v_mov_b32_e32 v10, 0x7f800001
	s_xor_b32 exec_lo, exec_lo, s42
	s_cbranch_execnz .LBB4_1982
.LBB4_1491:                             ;   in Loop: Header=BB4_1423 Depth=2
	s_or_b32 exec_lo, exec_lo, s42
	s_and_saveexec_b32 s42, s14
	s_cbranch_execz .LBB4_1493
.LBB4_1492:                             ;   in Loop: Header=BB4_1423 Depth=2
	v_and_b32_e32 v10, 7, v11
	v_bfe_u32 v114, v11, 3, 4
	v_lshlrev_b32_e32 v115, 24, v11
	v_ffbh_u32_e32 v103, v10
	v_cmp_eq_u32_e32 vcc_lo, 0, v114
	v_min_u32_e32 v103, 32, v103
	v_subrev_nc_u32_e32 v112, 28, v103
	v_sub_nc_u32_e32 v103, 29, v103
	v_lshlrev_b32_e32 v112, v112, v11
	v_cndmask_b32_e32 v103, v114, v103, vcc_lo
	v_and_b32_e32 v112, 7, v112
	v_lshl_add_u32 v103, v103, 23, 0x3b800000
	v_cndmask_b32_e32 v10, v10, v112, vcc_lo
	v_and_b32_e32 v112, 0x80000000, v115
	v_lshlrev_b32_e32 v10, 20, v10
	v_or3_b32 v10, v112, v103, v10
.LBB4_1493:                             ;   in Loop: Header=BB4_1423 Depth=2
	s_or_b32 exec_lo, exec_lo, s42
	v_mul_f32_e32 v10, s41, v10
	v_mov_b32_e32 v42, 0x80
	s_mov_b32 s42, exec_lo
	v_and_b32_e32 v103, 0x7f800000, v10
	v_cmpx_ne_u32_e32 0x7f800000, v103
	s_cbranch_execz .LBB4_1501
; %bb.1494:                             ;   in Loop: Header=BB4_1423 Depth=2
	v_mov_b32_e32 v42, 0
	s_mov_b32 s43, exec_lo
	v_cmpx_ne_u32_e32 0, v10
	s_cbranch_execz .LBB4_1500
; %bb.1495:                             ;   in Loop: Header=BB4_1423 Depth=2
	v_bfe_u32 v103, v10, 23, 8
	v_and_b32_e32 v112, 0x7fffff, v10
	v_sub_nc_u32_e32 v114, 0x78, v103
	v_cmp_gt_u32_e32 vcc_lo, 0x79, v103
	v_or_b32_e32 v115, 0x800000, v112
	v_cndmask_b32_e32 v114, 0, v114, vcc_lo
	v_cmp_eq_u32_e32 vcc_lo, 0, v103
	v_add_nc_u32_e32 v103, 0xffffff89, v103
	v_cndmask_b32_e64 v114, v114, 0x77, vcc_lo
	v_cndmask_b32_e32 v112, v115, v112, vcc_lo
	v_cndmask_b32_e64 v103, v103, 0xffffff8a, vcc_lo
	v_lshl_add_u32 v115, 0x100000, v114, -1
	v_lshrrev_b32_e32 v116, v114, v112
	v_lshlrev_b32_e64 v119, v114, 0x80000
	v_add_nc_u32_e32 v114, v114, v103
	v_and_b32_e32 v112, v115, v112
	v_bfe_u32 v117, v116, 20, 1
	v_cmp_eq_u32_e64 s14, v112, v119
	v_add_nc_u32_e32 v115, -1, v117
	v_cndmask_b32_e64 v112, 0, v115, s14
	v_lshrrev_b32_e32 v115, 23, v116
	s_mov_b32 s14, exec_lo
	v_add_nc_u32_e32 v112, v112, v116
	v_xor_b32_e32 v115, 1, v115
	v_and_b32_e32 v103, 0xfffff, v112
	v_add_nc_u32_e32 v112, v103, v116
                                        ; implicit-def: $vgpr103
	v_cmpx_ne_u32_e64 v114, v115
	s_xor_b32 s14, exec_lo, s14
; %bb.1496:                             ;   in Loop: Header=BB4_1423 Depth=2
	v_cmp_lt_u32_e32 vcc_lo, 0xffffff, v112
	v_sub_nc_u32_e32 v103, v114, v115
	v_cndmask_b32_e64 v114, 0, 1, vcc_lo
	v_add_co_ci_u32_e64 v103, null, 0, v103, vcc_lo
	v_lshrrev_b32_e32 v112, v114, v112
; %bb.1497:                             ;   in Loop: Header=BB4_1423 Depth=2
	s_andn2_saveexec_b32 s14, s14
; %bb.1498:                             ;   in Loop: Header=BB4_1423 Depth=2
	v_bfe_u32 v103, v112, 23, 1
; %bb.1499:                             ;   in Loop: Header=BB4_1423 Depth=2
	s_or_b32 exec_lo, exec_lo, s14
	v_lshrrev_b32_e32 v112, 20, v112
	v_min_i32_e32 v114, 15, v103
	v_cmp_gt_i32_e32 vcc_lo, 16, v103
	v_and_b32_sdwa v10, v10, v97 dst_sel:DWORD dst_unused:UNUSED_PAD src0_sel:BYTE_3 src1_sel:DWORD
	v_lshlrev_b32_e32 v114, 3, v114
	v_cndmask_b32_e32 v112, 7, v112, vcc_lo
	v_and_b32_e32 v114, 0xf8, v114
	v_and_b32_e32 v115, 7, v112
	v_or_b32_e32 v103, v103, v112
	v_or3_b32 v10, v114, v10, v115
	v_cmp_ne_u32_e32 vcc_lo, 0, v103
	v_cndmask_b32_e32 v42, 0, v10, vcc_lo
.LBB4_1500:                             ;   in Loop: Header=BB4_1423 Depth=2
	s_or_b32 exec_lo, exec_lo, s43
.LBB4_1501:                             ;   in Loop: Header=BB4_1423 Depth=2
	s_or_b32 exec_lo, exec_lo, s42
	v_cmp_gt_i16_sdwa s42, v11, v96 src0_sel:BYTE_1 src1_sel:DWORD
	s_mov_b32 s14, 0
	s_and_saveexec_b32 s43, s42
	s_xor_b32 s42, exec_lo, s43
	s_cbranch_execz .LBB4_1983
; %bb.1502:                             ;   in Loop: Header=BB4_1423 Depth=2
	v_cmp_eq_u16_sdwa s44, v11, v97 src0_sel:BYTE_1 src1_sel:DWORD
	s_mov_b32 s14, -1
	s_and_saveexec_b32 s43, s44
; %bb.1503:                             ;   in Loop: Header=BB4_1423 Depth=2
	s_xor_b32 s14, exec_lo, -1
; %bb.1504:                             ;   in Loop: Header=BB4_1423 Depth=2
	s_or_b32 exec_lo, exec_lo, s43
	s_and_b32 s14, s14, exec_lo
	s_or_saveexec_b32 s42, s42
	v_mov_b32_e32 v10, 0x7f800001
	s_xor_b32 exec_lo, exec_lo, s42
	s_cbranch_execnz .LBB4_1984
.LBB4_1505:                             ;   in Loop: Header=BB4_1423 Depth=2
	s_or_b32 exec_lo, exec_lo, s42
	s_and_saveexec_b32 s42, s14
	s_cbranch_execz .LBB4_1507
.LBB4_1506:                             ;   in Loop: Header=BB4_1423 Depth=2
	v_and_b32_sdwa v10, v98, v11 dst_sel:DWORD dst_unused:UNUSED_PAD src0_sel:DWORD src1_sel:BYTE_1
	v_and_b32_e32 v103, 7, v10
	v_bfe_u32 v115, v10, 3, 4
	v_ffbh_u32_e32 v112, v103
	v_cmp_eq_u32_e32 vcc_lo, 0, v115
	v_min_u32_e32 v112, 32, v112
	v_subrev_nc_u32_e32 v114, 28, v112
	v_sub_nc_u32_e32 v112, 29, v112
	v_lshlrev_b32_e32 v10, v114, v10
	v_lshlrev_b32_sdwa v114, v99, v11 dst_sel:DWORD dst_unused:UNUSED_PAD src0_sel:DWORD src1_sel:BYTE_1
	v_cndmask_b32_e32 v112, v115, v112, vcc_lo
	v_and_b32_e32 v10, 7, v10
	v_lshl_add_u32 v112, v112, 23, 0x3b800000
	v_cndmask_b32_e32 v10, v103, v10, vcc_lo
	v_and_b32_e32 v103, 0x80000000, v114
	v_lshlrev_b32_e32 v10, 20, v10
	v_or3_b32 v10, v103, v112, v10
.LBB4_1507:                             ;   in Loop: Header=BB4_1423 Depth=2
	s_or_b32 exec_lo, exec_lo, s42
	v_mul_f32_e32 v10, s41, v10
	v_mov_b32_e32 v44, 0x8000
	s_mov_b32 s42, exec_lo
	v_and_b32_e32 v103, 0x7f800000, v10
	v_cmpx_ne_u32_e32 0x7f800000, v103
	s_cbranch_execz .LBB4_1515
; %bb.1508:                             ;   in Loop: Header=BB4_1423 Depth=2
	v_mov_b32_e32 v44, 0
	s_mov_b32 s43, exec_lo
	v_cmpx_ne_u32_e32 0, v10
	s_cbranch_execz .LBB4_1514
; %bb.1509:                             ;   in Loop: Header=BB4_1423 Depth=2
	v_bfe_u32 v103, v10, 23, 8
	v_and_b32_e32 v112, 0x7fffff, v10
	v_sub_nc_u32_e32 v114, 0x78, v103
	v_cmp_gt_u32_e32 vcc_lo, 0x79, v103
	v_or_b32_e32 v115, 0x800000, v112
	v_cndmask_b32_e32 v114, 0, v114, vcc_lo
	v_cmp_eq_u32_e32 vcc_lo, 0, v103
	v_add_nc_u32_e32 v103, 0xffffff89, v103
	v_cndmask_b32_e64 v114, v114, 0x77, vcc_lo
	v_cndmask_b32_e32 v112, v115, v112, vcc_lo
	v_cndmask_b32_e64 v103, v103, 0xffffff8a, vcc_lo
	v_lshl_add_u32 v115, 0x100000, v114, -1
	v_lshrrev_b32_e32 v116, v114, v112
	v_lshlrev_b32_e64 v119, v114, 0x80000
	v_add_nc_u32_e32 v114, v114, v103
	v_and_b32_e32 v112, v115, v112
	v_bfe_u32 v117, v116, 20, 1
	v_cmp_eq_u32_e64 s14, v112, v119
	v_add_nc_u32_e32 v115, -1, v117
	v_cndmask_b32_e64 v112, 0, v115, s14
	v_lshrrev_b32_e32 v115, 23, v116
	s_mov_b32 s14, exec_lo
	v_add_nc_u32_e32 v112, v112, v116
	v_xor_b32_e32 v115, 1, v115
	v_and_b32_e32 v103, 0xfffff, v112
	v_add_nc_u32_e32 v112, v103, v116
                                        ; implicit-def: $vgpr103
	v_cmpx_ne_u32_e64 v114, v115
	s_xor_b32 s14, exec_lo, s14
; %bb.1510:                             ;   in Loop: Header=BB4_1423 Depth=2
	v_cmp_lt_u32_e32 vcc_lo, 0xffffff, v112
	v_sub_nc_u32_e32 v103, v114, v115
	v_cndmask_b32_e64 v114, 0, 1, vcc_lo
	v_add_co_ci_u32_e64 v103, null, 0, v103, vcc_lo
	v_lshrrev_b32_e32 v112, v114, v112
; %bb.1511:                             ;   in Loop: Header=BB4_1423 Depth=2
	s_andn2_saveexec_b32 s14, s14
; %bb.1512:                             ;   in Loop: Header=BB4_1423 Depth=2
	v_bfe_u32 v103, v112, 23, 1
; %bb.1513:                             ;   in Loop: Header=BB4_1423 Depth=2
	s_or_b32 exec_lo, exec_lo, s14
	v_lshrrev_b32_e32 v112, 20, v112
	v_min_i32_e32 v114, 15, v103
	v_cmp_gt_i32_e32 vcc_lo, 16, v103
	v_and_b32_sdwa v10, v10, v97 dst_sel:DWORD dst_unused:UNUSED_PAD src0_sel:BYTE_3 src1_sel:DWORD
	v_lshlrev_b32_e32 v114, 3, v114
	v_cndmask_b32_e32 v112, 7, v112, vcc_lo
	v_and_b32_e32 v114, 0xf8, v114
	v_and_b32_e32 v115, 7, v112
	v_or_b32_e32 v103, v103, v112
	v_or3_b32 v10, v10, v114, v115
	v_cmp_ne_u32_e32 vcc_lo, 0, v103
	v_lshlrev_b32_e32 v10, 8, v10
	v_cndmask_b32_e32 v44, 0, v10, vcc_lo
.LBB4_1514:                             ;   in Loop: Header=BB4_1423 Depth=2
	s_or_b32 exec_lo, exec_lo, s43
.LBB4_1515:                             ;   in Loop: Header=BB4_1423 Depth=2
	s_or_b32 exec_lo, exec_lo, s42
	v_and_b32_sdwa v103, v11, v100 dst_sel:DWORD dst_unused:UNUSED_PAD src0_sel:WORD_1 src1_sel:DWORD
	s_mov_b32 s14, 0
	s_mov_b32 s42, exec_lo
	v_cmpx_lt_i16_e32 0x7f, v103
	s_xor_b32 s42, exec_lo, s42
	s_cbranch_execz .LBB4_1985
; %bb.1516:                             ;   in Loop: Header=BB4_1423 Depth=2
	s_mov_b32 s14, -1
	s_mov_b32 s43, exec_lo
	v_cmpx_eq_u16_e32 0x80, v103
; %bb.1517:                             ;   in Loop: Header=BB4_1423 Depth=2
	s_xor_b32 s14, exec_lo, -1
; %bb.1518:                             ;   in Loop: Header=BB4_1423 Depth=2
	s_or_b32 exec_lo, exec_lo, s43
	s_and_b32 s14, s14, exec_lo
                                        ; implicit-def: $vgpr103
	s_or_saveexec_b32 s42, s42
	v_mov_b32_e32 v10, 0x7f800001
	s_xor_b32 exec_lo, exec_lo, s42
	s_cbranch_execnz .LBB4_1986
.LBB4_1519:                             ;   in Loop: Header=BB4_1423 Depth=2
	s_or_b32 exec_lo, exec_lo, s42
	s_and_saveexec_b32 s42, s14
	s_cbranch_execz .LBB4_1521
.LBB4_1520:                             ;   in Loop: Header=BB4_1423 Depth=2
	v_bfe_u32 v10, v11, 16, 3
	v_bfe_u32 v114, v11, 19, 4
	v_lshlrev_b32_e32 v115, 8, v11
	v_ffbh_u32_e32 v103, v10
	v_cmp_eq_u32_e32 vcc_lo, 0, v114
	v_min_u32_e32 v103, 32, v103
	v_subrev_nc_u32_e32 v112, 28, v103
	v_sub_nc_u32_e32 v103, 29, v103
	v_lshlrev_b32_sdwa v112, v112, v11 dst_sel:DWORD dst_unused:UNUSED_PAD src0_sel:DWORD src1_sel:WORD_1
	v_cndmask_b32_e32 v103, v114, v103, vcc_lo
	v_and_b32_e32 v112, 7, v112
	v_lshl_add_u32 v103, v103, 23, 0x3b800000
	v_cndmask_b32_e32 v10, v10, v112, vcc_lo
	v_and_b32_e32 v112, 0x80000000, v115
	v_lshlrev_b32_e32 v10, 20, v10
	v_or3_b32 v10, v112, v103, v10
.LBB4_1521:                             ;   in Loop: Header=BB4_1423 Depth=2
	s_or_b32 exec_lo, exec_lo, s42
	v_mul_f32_e32 v10, s41, v10
	v_mov_b32_e32 v40, 0x80
	s_mov_b32 s42, exec_lo
	v_and_b32_e32 v103, 0x7f800000, v10
	v_cmpx_ne_u32_e32 0x7f800000, v103
	s_cbranch_execz .LBB4_1529
; %bb.1522:                             ;   in Loop: Header=BB4_1423 Depth=2
	v_mov_b32_e32 v40, 0
	s_mov_b32 s43, exec_lo
	v_cmpx_ne_u32_e32 0, v10
	s_cbranch_execz .LBB4_1528
; %bb.1523:                             ;   in Loop: Header=BB4_1423 Depth=2
	v_bfe_u32 v103, v10, 23, 8
	v_and_b32_e32 v112, 0x7fffff, v10
	v_sub_nc_u32_e32 v114, 0x78, v103
	v_cmp_gt_u32_e32 vcc_lo, 0x79, v103
	v_or_b32_e32 v115, 0x800000, v112
	v_cndmask_b32_e32 v114, 0, v114, vcc_lo
	v_cmp_eq_u32_e32 vcc_lo, 0, v103
	v_add_nc_u32_e32 v103, 0xffffff89, v103
	v_cndmask_b32_e64 v114, v114, 0x77, vcc_lo
	v_cndmask_b32_e32 v112, v115, v112, vcc_lo
	v_cndmask_b32_e64 v103, v103, 0xffffff8a, vcc_lo
	v_lshl_add_u32 v115, 0x100000, v114, -1
	v_lshrrev_b32_e32 v116, v114, v112
	v_lshlrev_b32_e64 v119, v114, 0x80000
	v_add_nc_u32_e32 v114, v114, v103
	v_and_b32_e32 v112, v115, v112
	v_bfe_u32 v117, v116, 20, 1
	v_cmp_eq_u32_e64 s14, v112, v119
	v_add_nc_u32_e32 v115, -1, v117
	v_cndmask_b32_e64 v112, 0, v115, s14
	v_lshrrev_b32_e32 v115, 23, v116
	s_mov_b32 s14, exec_lo
	v_add_nc_u32_e32 v112, v112, v116
	v_xor_b32_e32 v115, 1, v115
	v_and_b32_e32 v103, 0xfffff, v112
	v_add_nc_u32_e32 v112, v103, v116
                                        ; implicit-def: $vgpr103
	v_cmpx_ne_u32_e64 v114, v115
	s_xor_b32 s14, exec_lo, s14
; %bb.1524:                             ;   in Loop: Header=BB4_1423 Depth=2
	v_cmp_lt_u32_e32 vcc_lo, 0xffffff, v112
	v_sub_nc_u32_e32 v103, v114, v115
	v_cndmask_b32_e64 v114, 0, 1, vcc_lo
	v_add_co_ci_u32_e64 v103, null, 0, v103, vcc_lo
	v_lshrrev_b32_e32 v112, v114, v112
; %bb.1525:                             ;   in Loop: Header=BB4_1423 Depth=2
	s_andn2_saveexec_b32 s14, s14
; %bb.1526:                             ;   in Loop: Header=BB4_1423 Depth=2
	v_bfe_u32 v103, v112, 23, 1
; %bb.1527:                             ;   in Loop: Header=BB4_1423 Depth=2
	s_or_b32 exec_lo, exec_lo, s14
	v_lshrrev_b32_e32 v112, 20, v112
	v_min_i32_e32 v114, 15, v103
	v_cmp_gt_i32_e32 vcc_lo, 16, v103
	v_and_b32_sdwa v10, v10, v97 dst_sel:DWORD dst_unused:UNUSED_PAD src0_sel:BYTE_3 src1_sel:DWORD
	v_lshlrev_b32_e32 v114, 3, v114
	v_cndmask_b32_e32 v112, 7, v112, vcc_lo
	v_and_b32_e32 v114, 0xf8, v114
	v_and_b32_e32 v115, 7, v112
	v_or_b32_e32 v103, v103, v112
	v_or3_b32 v10, v114, v10, v115
	v_cmp_ne_u32_e32 vcc_lo, 0, v103
	v_cndmask_b32_e32 v40, 0, v10, vcc_lo
.LBB4_1528:                             ;   in Loop: Header=BB4_1423 Depth=2
	s_or_b32 exec_lo, exec_lo, s43
.LBB4_1529:                             ;   in Loop: Header=BB4_1423 Depth=2
	s_or_b32 exec_lo, exec_lo, s42
	v_cmp_gt_i16_sdwa s42, v11, v96 src0_sel:BYTE_3 src1_sel:DWORD
	s_mov_b32 s14, 0
	s_and_saveexec_b32 s43, s42
	s_xor_b32 s42, exec_lo, s43
	s_cbranch_execz .LBB4_1987
; %bb.1530:                             ;   in Loop: Header=BB4_1423 Depth=2
	v_cmp_eq_u16_sdwa s44, v11, v97 src0_sel:BYTE_3 src1_sel:DWORD
	s_mov_b32 s14, -1
	s_and_saveexec_b32 s43, s44
; %bb.1531:                             ;   in Loop: Header=BB4_1423 Depth=2
	s_xor_b32 s14, exec_lo, -1
; %bb.1532:                             ;   in Loop: Header=BB4_1423 Depth=2
	s_or_b32 exec_lo, exec_lo, s43
	s_and_b32 s14, s14, exec_lo
	s_or_saveexec_b32 s42, s42
	v_mov_b32_e32 v10, 0x7f800001
	s_xor_b32 exec_lo, exec_lo, s42
	s_cbranch_execnz .LBB4_1988
.LBB4_1533:                             ;   in Loop: Header=BB4_1423 Depth=2
	s_or_b32 exec_lo, exec_lo, s42
	s_and_saveexec_b32 s42, s14
	s_cbranch_execz .LBB4_1535
.LBB4_1534:                             ;   in Loop: Header=BB4_1423 Depth=2
	v_bfe_u32 v10, v11, 24, 3
	v_bfe_u32 v114, v11, 27, 4
	v_ffbh_u32_e32 v103, v10
	v_cmp_eq_u32_e32 vcc_lo, 0, v114
	v_min_u32_e32 v103, 32, v103
	v_subrev_nc_u32_e32 v112, 28, v103
	v_sub_nc_u32_e32 v103, 29, v103
	v_lshlrev_b32_sdwa v112, v112, v11 dst_sel:DWORD dst_unused:UNUSED_PAD src0_sel:DWORD src1_sel:BYTE_3
	v_cndmask_b32_e32 v103, v114, v103, vcc_lo
	v_and_b32_e32 v11, 0x80000000, v11
	v_and_b32_e32 v112, 7, v112
	v_lshl_add_u32 v103, v103, 23, 0x3b800000
	v_cndmask_b32_e32 v10, v10, v112, vcc_lo
	v_lshlrev_b32_e32 v10, 20, v10
	v_or3_b32 v10, v11, v103, v10
.LBB4_1535:                             ;   in Loop: Header=BB4_1423 Depth=2
	s_or_b32 exec_lo, exec_lo, s42
	v_mul_f32_e32 v10, s41, v10
	v_mov_b32_e32 v43, 0x8000
	s_mov_b32 s42, exec_lo
	v_and_b32_e32 v11, 0x7f800000, v10
	v_cmpx_ne_u32_e32 0x7f800000, v11
	s_cbranch_execz .LBB4_1543
; %bb.1536:                             ;   in Loop: Header=BB4_1423 Depth=2
	v_mov_b32_e32 v43, 0
	s_mov_b32 s43, exec_lo
	v_cmpx_ne_u32_e32 0, v10
	s_cbranch_execz .LBB4_1542
; %bb.1537:                             ;   in Loop: Header=BB4_1423 Depth=2
	v_bfe_u32 v11, v10, 23, 8
	v_and_b32_e32 v103, 0x7fffff, v10
	v_sub_nc_u32_e32 v112, 0x78, v11
	v_cmp_gt_u32_e32 vcc_lo, 0x79, v11
	v_or_b32_e32 v114, 0x800000, v103
	v_cndmask_b32_e32 v112, 0, v112, vcc_lo
	v_cmp_eq_u32_e32 vcc_lo, 0, v11
	v_add_nc_u32_e32 v11, 0xffffff89, v11
	v_cndmask_b32_e64 v112, v112, 0x77, vcc_lo
	v_cndmask_b32_e32 v103, v114, v103, vcc_lo
	v_cndmask_b32_e64 v11, v11, 0xffffff8a, vcc_lo
	v_lshl_add_u32 v114, 0x100000, v112, -1
	v_lshrrev_b32_e32 v115, v112, v103
	v_lshlrev_b32_e64 v117, v112, 0x80000
	v_add_nc_u32_e32 v112, v112, v11
	v_and_b32_e32 v103, v114, v103
	v_bfe_u32 v116, v115, 20, 1
	v_cmp_eq_u32_e64 s14, v103, v117
	v_add_nc_u32_e32 v114, -1, v116
	v_cndmask_b32_e64 v103, 0, v114, s14
	v_lshrrev_b32_e32 v114, 23, v115
	s_mov_b32 s14, exec_lo
	v_add_nc_u32_e32 v103, v103, v115
	v_xor_b32_e32 v114, 1, v114
	v_and_b32_e32 v11, 0xfffff, v103
	v_add_nc_u32_e32 v103, v11, v115
                                        ; implicit-def: $vgpr11
	v_cmpx_ne_u32_e64 v112, v114
	s_xor_b32 s14, exec_lo, s14
; %bb.1538:                             ;   in Loop: Header=BB4_1423 Depth=2
	v_cmp_lt_u32_e32 vcc_lo, 0xffffff, v103
	v_sub_nc_u32_e32 v11, v112, v114
	v_cndmask_b32_e64 v112, 0, 1, vcc_lo
	v_add_co_ci_u32_e64 v11, null, 0, v11, vcc_lo
	v_lshrrev_b32_e32 v103, v112, v103
; %bb.1539:                             ;   in Loop: Header=BB4_1423 Depth=2
	s_andn2_saveexec_b32 s14, s14
; %bb.1540:                             ;   in Loop: Header=BB4_1423 Depth=2
	v_bfe_u32 v11, v103, 23, 1
; %bb.1541:                             ;   in Loop: Header=BB4_1423 Depth=2
	s_or_b32 exec_lo, exec_lo, s14
	v_lshrrev_b32_e32 v103, 20, v103
	v_min_i32_e32 v112, 15, v11
	v_cmp_gt_i32_e32 vcc_lo, 16, v11
	v_and_b32_sdwa v10, v10, v97 dst_sel:DWORD dst_unused:UNUSED_PAD src0_sel:BYTE_3 src1_sel:DWORD
	v_lshlrev_b32_e32 v112, 3, v112
	v_cndmask_b32_e32 v103, 7, v103, vcc_lo
	v_and_b32_e32 v112, 0xf8, v112
	v_and_b32_e32 v114, 7, v103
	v_or_b32_e32 v11, v11, v103
	v_or3_b32 v10, v10, v112, v114
	v_cmp_ne_u32_e32 vcc_lo, 0, v11
	v_lshlrev_b32_e32 v10, 8, v10
	v_cndmask_b32_e32 v43, 0, v10, vcc_lo
.LBB4_1542:                             ;   in Loop: Header=BB4_1423 Depth=2
	s_or_b32 exec_lo, exec_lo, s43
.LBB4_1543:                             ;   in Loop: Header=BB4_1423 Depth=2
	s_or_b32 exec_lo, exec_lo, s42
	v_cmp_gt_i16_sdwa s42, v12, v96 src0_sel:BYTE_0 src1_sel:DWORD
	s_mov_b32 s14, 0
	s_and_saveexec_b32 s43, s42
	s_xor_b32 s42, exec_lo, s43
	s_cbranch_execz .LBB4_1989
; %bb.1544:                             ;   in Loop: Header=BB4_1423 Depth=2
	v_cmp_eq_u16_sdwa s44, v12, v97 src0_sel:BYTE_0 src1_sel:DWORD
	s_mov_b32 s14, -1
	s_and_saveexec_b32 s43, s44
; %bb.1545:                             ;   in Loop: Header=BB4_1423 Depth=2
	s_xor_b32 s14, exec_lo, -1
; %bb.1546:                             ;   in Loop: Header=BB4_1423 Depth=2
	s_or_b32 exec_lo, exec_lo, s43
	s_and_b32 s14, s14, exec_lo
	s_or_saveexec_b32 s42, s42
	v_mov_b32_e32 v10, 0x7f800001
	s_xor_b32 exec_lo, exec_lo, s42
	s_cbranch_execnz .LBB4_1990
.LBB4_1547:                             ;   in Loop: Header=BB4_1423 Depth=2
	s_or_b32 exec_lo, exec_lo, s42
	s_and_saveexec_b32 s42, s14
	s_cbranch_execz .LBB4_1549
.LBB4_1548:                             ;   in Loop: Header=BB4_1423 Depth=2
	v_and_b32_e32 v10, 7, v12
	v_bfe_u32 v112, v12, 3, 4
	v_lshlrev_b32_e32 v114, 24, v12
	v_ffbh_u32_e32 v11, v10
	v_cmp_eq_u32_e32 vcc_lo, 0, v112
	v_min_u32_e32 v11, 32, v11
	v_subrev_nc_u32_e32 v103, 28, v11
	v_sub_nc_u32_e32 v11, 29, v11
	v_lshlrev_b32_e32 v103, v103, v12
	v_cndmask_b32_e32 v11, v112, v11, vcc_lo
	v_and_b32_e32 v103, 7, v103
	v_lshl_add_u32 v11, v11, 23, 0x3b800000
	v_cndmask_b32_e32 v10, v10, v103, vcc_lo
	v_and_b32_e32 v103, 0x80000000, v114
	v_lshlrev_b32_e32 v10, 20, v10
	v_or3_b32 v10, v103, v11, v10
.LBB4_1549:                             ;   in Loop: Header=BB4_1423 Depth=2
	s_or_b32 exec_lo, exec_lo, s42
	v_mul_f32_e32 v10, s41, v10
	v_mov_b32_e32 v117, 0x80
	s_mov_b32 s42, exec_lo
	v_and_b32_e32 v11, 0x7f800000, v10
	v_cmpx_ne_u32_e32 0x7f800000, v11
	s_cbranch_execz .LBB4_1557
; %bb.1550:                             ;   in Loop: Header=BB4_1423 Depth=2
	v_mov_b32_e32 v117, 0
	s_mov_b32 s43, exec_lo
	v_cmpx_ne_u32_e32 0, v10
	s_cbranch_execz .LBB4_1556
; %bb.1551:                             ;   in Loop: Header=BB4_1423 Depth=2
	v_bfe_u32 v11, v10, 23, 8
	v_and_b32_e32 v103, 0x7fffff, v10
	v_sub_nc_u32_e32 v112, 0x78, v11
	v_cmp_gt_u32_e32 vcc_lo, 0x79, v11
	v_or_b32_e32 v114, 0x800000, v103
	v_cndmask_b32_e32 v112, 0, v112, vcc_lo
	v_cmp_eq_u32_e32 vcc_lo, 0, v11
	v_add_nc_u32_e32 v11, 0xffffff89, v11
	v_cndmask_b32_e64 v112, v112, 0x77, vcc_lo
	v_cndmask_b32_e32 v103, v114, v103, vcc_lo
	v_cndmask_b32_e64 v11, v11, 0xffffff8a, vcc_lo
	v_lshl_add_u32 v114, 0x100000, v112, -1
	v_lshrrev_b32_e32 v115, v112, v103
	v_lshlrev_b32_e64 v117, v112, 0x80000
	v_add_nc_u32_e32 v112, v112, v11
	v_and_b32_e32 v103, v114, v103
	v_bfe_u32 v116, v115, 20, 1
	v_cmp_eq_u32_e64 s14, v103, v117
	v_add_nc_u32_e32 v114, -1, v116
	v_cndmask_b32_e64 v103, 0, v114, s14
	v_lshrrev_b32_e32 v114, 23, v115
	s_mov_b32 s14, exec_lo
	v_add_nc_u32_e32 v103, v103, v115
	v_xor_b32_e32 v114, 1, v114
	v_and_b32_e32 v11, 0xfffff, v103
	v_add_nc_u32_e32 v103, v11, v115
                                        ; implicit-def: $vgpr11
	v_cmpx_ne_u32_e64 v112, v114
	s_xor_b32 s14, exec_lo, s14
; %bb.1552:                             ;   in Loop: Header=BB4_1423 Depth=2
	v_cmp_lt_u32_e32 vcc_lo, 0xffffff, v103
	v_sub_nc_u32_e32 v11, v112, v114
	v_cndmask_b32_e64 v112, 0, 1, vcc_lo
	v_add_co_ci_u32_e64 v11, null, 0, v11, vcc_lo
	v_lshrrev_b32_e32 v103, v112, v103
; %bb.1553:                             ;   in Loop: Header=BB4_1423 Depth=2
	s_andn2_saveexec_b32 s14, s14
; %bb.1554:                             ;   in Loop: Header=BB4_1423 Depth=2
	v_bfe_u32 v11, v103, 23, 1
; %bb.1555:                             ;   in Loop: Header=BB4_1423 Depth=2
	s_or_b32 exec_lo, exec_lo, s14
	v_lshrrev_b32_e32 v103, 20, v103
	v_min_i32_e32 v112, 15, v11
	v_cmp_gt_i32_e32 vcc_lo, 16, v11
	v_and_b32_sdwa v10, v10, v97 dst_sel:DWORD dst_unused:UNUSED_PAD src0_sel:BYTE_3 src1_sel:DWORD
	v_lshlrev_b32_e32 v112, 3, v112
	v_cndmask_b32_e32 v103, 7, v103, vcc_lo
	v_and_b32_e32 v112, 0xf8, v112
	v_and_b32_e32 v114, 7, v103
	v_or_b32_e32 v11, v11, v103
	v_or3_b32 v10, v112, v10, v114
	v_cmp_ne_u32_e32 vcc_lo, 0, v11
	v_cndmask_b32_e32 v117, 0, v10, vcc_lo
.LBB4_1556:                             ;   in Loop: Header=BB4_1423 Depth=2
	s_or_b32 exec_lo, exec_lo, s43
.LBB4_1557:                             ;   in Loop: Header=BB4_1423 Depth=2
	s_or_b32 exec_lo, exec_lo, s42
	v_cmp_gt_i16_sdwa s42, v12, v96 src0_sel:BYTE_1 src1_sel:DWORD
	s_mov_b32 s14, 0
	s_and_saveexec_b32 s43, s42
	s_xor_b32 s42, exec_lo, s43
	s_cbranch_execz .LBB4_1991
; %bb.1558:                             ;   in Loop: Header=BB4_1423 Depth=2
	v_cmp_eq_u16_sdwa s44, v12, v97 src0_sel:BYTE_1 src1_sel:DWORD
	s_mov_b32 s14, -1
	s_and_saveexec_b32 s43, s44
; %bb.1559:                             ;   in Loop: Header=BB4_1423 Depth=2
	s_xor_b32 s14, exec_lo, -1
; %bb.1560:                             ;   in Loop: Header=BB4_1423 Depth=2
	s_or_b32 exec_lo, exec_lo, s43
	s_and_b32 s14, s14, exec_lo
	s_or_saveexec_b32 s42, s42
	v_mov_b32_e32 v10, 0x7f800001
	s_xor_b32 exec_lo, exec_lo, s42
	s_cbranch_execnz .LBB4_1992
.LBB4_1561:                             ;   in Loop: Header=BB4_1423 Depth=2
	s_or_b32 exec_lo, exec_lo, s42
	s_and_saveexec_b32 s42, s14
	s_cbranch_execz .LBB4_1563
.LBB4_1562:                             ;   in Loop: Header=BB4_1423 Depth=2
	v_and_b32_sdwa v10, v98, v12 dst_sel:DWORD dst_unused:UNUSED_PAD src0_sel:DWORD src1_sel:BYTE_1
	v_and_b32_e32 v11, 7, v10
	v_bfe_u32 v114, v10, 3, 4
	v_ffbh_u32_e32 v103, v11
	v_cmp_eq_u32_e32 vcc_lo, 0, v114
	v_min_u32_e32 v103, 32, v103
	v_subrev_nc_u32_e32 v112, 28, v103
	v_sub_nc_u32_e32 v103, 29, v103
	v_lshlrev_b32_e32 v10, v112, v10
	v_lshlrev_b32_sdwa v112, v99, v12 dst_sel:DWORD dst_unused:UNUSED_PAD src0_sel:DWORD src1_sel:BYTE_1
	v_cndmask_b32_e32 v103, v114, v103, vcc_lo
	v_and_b32_e32 v10, 7, v10
	v_lshl_add_u32 v103, v103, 23, 0x3b800000
	v_cndmask_b32_e32 v10, v11, v10, vcc_lo
	v_and_b32_e32 v11, 0x80000000, v112
	v_lshlrev_b32_e32 v10, 20, v10
	v_or3_b32 v10, v11, v103, v10
.LBB4_1563:                             ;   in Loop: Header=BB4_1423 Depth=2
	s_or_b32 exec_lo, exec_lo, s42
	v_mul_f32_e32 v10, s41, v10
	v_mov_b32_e32 v41, 0x8000
	s_mov_b32 s42, exec_lo
	v_and_b32_e32 v11, 0x7f800000, v10
	v_cmpx_ne_u32_e32 0x7f800000, v11
	s_cbranch_execz .LBB4_1571
; %bb.1564:                             ;   in Loop: Header=BB4_1423 Depth=2
	v_mov_b32_e32 v41, 0
	s_mov_b32 s43, exec_lo
	v_cmpx_ne_u32_e32 0, v10
	s_cbranch_execz .LBB4_1570
; %bb.1565:                             ;   in Loop: Header=BB4_1423 Depth=2
	v_bfe_u32 v11, v10, 23, 8
	v_and_b32_e32 v103, 0x7fffff, v10
	v_sub_nc_u32_e32 v112, 0x78, v11
	v_cmp_gt_u32_e32 vcc_lo, 0x79, v11
	v_or_b32_e32 v114, 0x800000, v103
	v_cndmask_b32_e32 v112, 0, v112, vcc_lo
	v_cmp_eq_u32_e32 vcc_lo, 0, v11
	v_add_nc_u32_e32 v11, 0xffffff89, v11
	v_cndmask_b32_e64 v112, v112, 0x77, vcc_lo
	v_cndmask_b32_e32 v103, v114, v103, vcc_lo
	v_cndmask_b32_e64 v11, v11, 0xffffff8a, vcc_lo
	v_lshl_add_u32 v114, 0x100000, v112, -1
	v_lshrrev_b32_e32 v115, v112, v103
	v_lshlrev_b32_e64 v119, v112, 0x80000
	v_add_nc_u32_e32 v112, v112, v11
	v_and_b32_e32 v103, v114, v103
	v_bfe_u32 v116, v115, 20, 1
	v_cmp_eq_u32_e64 s14, v103, v119
	v_add_nc_u32_e32 v114, -1, v116
	v_cndmask_b32_e64 v103, 0, v114, s14
	v_lshrrev_b32_e32 v114, 23, v115
	s_mov_b32 s14, exec_lo
	v_add_nc_u32_e32 v103, v103, v115
	v_xor_b32_e32 v114, 1, v114
	v_and_b32_e32 v11, 0xfffff, v103
	v_add_nc_u32_e32 v103, v11, v115
                                        ; implicit-def: $vgpr11
	v_cmpx_ne_u32_e64 v112, v114
	s_xor_b32 s14, exec_lo, s14
; %bb.1566:                             ;   in Loop: Header=BB4_1423 Depth=2
	v_cmp_lt_u32_e32 vcc_lo, 0xffffff, v103
	v_sub_nc_u32_e32 v11, v112, v114
	v_cndmask_b32_e64 v112, 0, 1, vcc_lo
	v_add_co_ci_u32_e64 v11, null, 0, v11, vcc_lo
	v_lshrrev_b32_e32 v103, v112, v103
; %bb.1567:                             ;   in Loop: Header=BB4_1423 Depth=2
	s_andn2_saveexec_b32 s14, s14
; %bb.1568:                             ;   in Loop: Header=BB4_1423 Depth=2
	v_bfe_u32 v11, v103, 23, 1
; %bb.1569:                             ;   in Loop: Header=BB4_1423 Depth=2
	s_or_b32 exec_lo, exec_lo, s14
	v_lshrrev_b32_e32 v103, 20, v103
	v_min_i32_e32 v112, 15, v11
	v_cmp_gt_i32_e32 vcc_lo, 16, v11
	v_and_b32_sdwa v10, v10, v97 dst_sel:DWORD dst_unused:UNUSED_PAD src0_sel:BYTE_3 src1_sel:DWORD
	v_lshlrev_b32_e32 v112, 3, v112
	v_cndmask_b32_e32 v103, 7, v103, vcc_lo
	v_and_b32_e32 v112, 0xf8, v112
	v_and_b32_e32 v114, 7, v103
	v_or_b32_e32 v11, v11, v103
	v_or3_b32 v10, v10, v112, v114
	v_cmp_ne_u32_e32 vcc_lo, 0, v11
	v_lshlrev_b32_e32 v10, 8, v10
	v_cndmask_b32_e32 v41, 0, v10, vcc_lo
.LBB4_1570:                             ;   in Loop: Header=BB4_1423 Depth=2
	s_or_b32 exec_lo, exec_lo, s43
.LBB4_1571:                             ;   in Loop: Header=BB4_1423 Depth=2
	s_or_b32 exec_lo, exec_lo, s42
	v_and_b32_sdwa v11, v12, v100 dst_sel:DWORD dst_unused:UNUSED_PAD src0_sel:WORD_1 src1_sel:DWORD
	s_mov_b32 s14, 0
	s_mov_b32 s42, exec_lo
	v_cmpx_lt_i16_e32 0x7f, v11
	s_xor_b32 s42, exec_lo, s42
	s_cbranch_execz .LBB4_1993
; %bb.1572:                             ;   in Loop: Header=BB4_1423 Depth=2
	s_mov_b32 s14, -1
	s_mov_b32 s43, exec_lo
	v_cmpx_eq_u16_e32 0x80, v11
; %bb.1573:                             ;   in Loop: Header=BB4_1423 Depth=2
	s_xor_b32 s14, exec_lo, -1
; %bb.1574:                             ;   in Loop: Header=BB4_1423 Depth=2
	s_or_b32 exec_lo, exec_lo, s43
	s_and_b32 s14, s14, exec_lo
                                        ; implicit-def: $vgpr11
	s_or_saveexec_b32 s42, s42
	v_mov_b32_e32 v10, 0x7f800001
	s_xor_b32 exec_lo, exec_lo, s42
	s_cbranch_execnz .LBB4_1994
.LBB4_1575:                             ;   in Loop: Header=BB4_1423 Depth=2
	s_or_b32 exec_lo, exec_lo, s42
	s_and_saveexec_b32 s42, s14
	s_cbranch_execz .LBB4_1577
.LBB4_1576:                             ;   in Loop: Header=BB4_1423 Depth=2
	v_bfe_u32 v10, v12, 16, 3
	v_bfe_u32 v112, v12, 19, 4
	v_lshlrev_b32_e32 v114, 8, v12
	v_ffbh_u32_e32 v11, v10
	v_cmp_eq_u32_e32 vcc_lo, 0, v112
	v_min_u32_e32 v11, 32, v11
	v_subrev_nc_u32_e32 v103, 28, v11
	v_sub_nc_u32_e32 v11, 29, v11
	v_lshlrev_b32_sdwa v103, v103, v12 dst_sel:DWORD dst_unused:UNUSED_PAD src0_sel:DWORD src1_sel:WORD_1
	v_cndmask_b32_e32 v11, v112, v11, vcc_lo
	v_and_b32_e32 v103, 7, v103
	v_lshl_add_u32 v11, v11, 23, 0x3b800000
	v_cndmask_b32_e32 v10, v10, v103, vcc_lo
	v_and_b32_e32 v103, 0x80000000, v114
	v_lshlrev_b32_e32 v10, 20, v10
	v_or3_b32 v10, v103, v11, v10
.LBB4_1577:                             ;   in Loop: Header=BB4_1423 Depth=2
	s_or_b32 exec_lo, exec_lo, s42
	v_mul_f32_e32 v10, s41, v10
	v_mov_b32_e32 v115, 0x80
	s_mov_b32 s42, exec_lo
	v_and_b32_e32 v11, 0x7f800000, v10
	v_cmpx_ne_u32_e32 0x7f800000, v11
	s_cbranch_execz .LBB4_1585
; %bb.1578:                             ;   in Loop: Header=BB4_1423 Depth=2
	v_mov_b32_e32 v115, 0
	s_mov_b32 s43, exec_lo
	v_cmpx_ne_u32_e32 0, v10
	s_cbranch_execz .LBB4_1584
; %bb.1579:                             ;   in Loop: Header=BB4_1423 Depth=2
	v_bfe_u32 v11, v10, 23, 8
	v_and_b32_e32 v103, 0x7fffff, v10
	v_sub_nc_u32_e32 v112, 0x78, v11
	v_cmp_gt_u32_e32 vcc_lo, 0x79, v11
	v_or_b32_e32 v114, 0x800000, v103
	v_cndmask_b32_e32 v112, 0, v112, vcc_lo
	v_cmp_eq_u32_e32 vcc_lo, 0, v11
	v_add_nc_u32_e32 v11, 0xffffff89, v11
	v_cndmask_b32_e64 v112, v112, 0x77, vcc_lo
	v_cndmask_b32_e32 v103, v114, v103, vcc_lo
	v_cndmask_b32_e64 v11, v11, 0xffffff8a, vcc_lo
	v_lshl_add_u32 v114, 0x100000, v112, -1
	v_lshrrev_b32_e32 v115, v112, v103
	v_lshlrev_b32_e64 v119, v112, 0x80000
	v_add_nc_u32_e32 v112, v112, v11
	v_and_b32_e32 v103, v114, v103
	v_bfe_u32 v116, v115, 20, 1
	v_cmp_eq_u32_e64 s14, v103, v119
	v_add_nc_u32_e32 v114, -1, v116
	v_cndmask_b32_e64 v103, 0, v114, s14
	v_lshrrev_b32_e32 v114, 23, v115
	s_mov_b32 s14, exec_lo
	v_add_nc_u32_e32 v103, v103, v115
	v_xor_b32_e32 v114, 1, v114
	v_and_b32_e32 v11, 0xfffff, v103
	v_add_nc_u32_e32 v103, v11, v115
                                        ; implicit-def: $vgpr11
	v_cmpx_ne_u32_e64 v112, v114
	s_xor_b32 s14, exec_lo, s14
; %bb.1580:                             ;   in Loop: Header=BB4_1423 Depth=2
	v_cmp_lt_u32_e32 vcc_lo, 0xffffff, v103
	v_sub_nc_u32_e32 v11, v112, v114
	v_cndmask_b32_e64 v112, 0, 1, vcc_lo
	v_add_co_ci_u32_e64 v11, null, 0, v11, vcc_lo
	v_lshrrev_b32_e32 v103, v112, v103
; %bb.1581:                             ;   in Loop: Header=BB4_1423 Depth=2
	s_andn2_saveexec_b32 s14, s14
; %bb.1582:                             ;   in Loop: Header=BB4_1423 Depth=2
	v_bfe_u32 v11, v103, 23, 1
; %bb.1583:                             ;   in Loop: Header=BB4_1423 Depth=2
	s_or_b32 exec_lo, exec_lo, s14
	v_lshrrev_b32_e32 v103, 20, v103
	v_min_i32_e32 v112, 15, v11
	v_cmp_gt_i32_e32 vcc_lo, 16, v11
	v_and_b32_sdwa v10, v10, v97 dst_sel:DWORD dst_unused:UNUSED_PAD src0_sel:BYTE_3 src1_sel:DWORD
	v_lshlrev_b32_e32 v112, 3, v112
	v_cndmask_b32_e32 v103, 7, v103, vcc_lo
	v_and_b32_e32 v112, 0xf8, v112
	v_and_b32_e32 v114, 7, v103
	v_or_b32_e32 v11, v11, v103
	v_or3_b32 v10, v112, v10, v114
	v_cmp_ne_u32_e32 vcc_lo, 0, v11
	v_cndmask_b32_e32 v115, 0, v10, vcc_lo
.LBB4_1584:                             ;   in Loop: Header=BB4_1423 Depth=2
	s_or_b32 exec_lo, exec_lo, s43
.LBB4_1585:                             ;   in Loop: Header=BB4_1423 Depth=2
	s_or_b32 exec_lo, exec_lo, s42
	v_cmp_gt_i16_sdwa s42, v12, v96 src0_sel:BYTE_3 src1_sel:DWORD
	s_mov_b32 s14, 0
	s_and_saveexec_b32 s43, s42
	s_xor_b32 s42, exec_lo, s43
	s_cbranch_execz .LBB4_1995
; %bb.1586:                             ;   in Loop: Header=BB4_1423 Depth=2
	v_cmp_eq_u16_sdwa s44, v12, v97 src0_sel:BYTE_3 src1_sel:DWORD
	s_mov_b32 s14, -1
	s_and_saveexec_b32 s43, s44
; %bb.1587:                             ;   in Loop: Header=BB4_1423 Depth=2
	s_xor_b32 s14, exec_lo, -1
; %bb.1588:                             ;   in Loop: Header=BB4_1423 Depth=2
	s_or_b32 exec_lo, exec_lo, s43
	s_and_b32 s14, s14, exec_lo
	s_or_saveexec_b32 s42, s42
	v_mov_b32_e32 v10, 0x7f800001
	s_xor_b32 exec_lo, exec_lo, s42
	s_cbranch_execnz .LBB4_1996
.LBB4_1589:                             ;   in Loop: Header=BB4_1423 Depth=2
	s_or_b32 exec_lo, exec_lo, s42
	s_and_saveexec_b32 s42, s14
	s_cbranch_execz .LBB4_1591
.LBB4_1590:                             ;   in Loop: Header=BB4_1423 Depth=2
	v_bfe_u32 v10, v12, 24, 3
	v_bfe_u32 v112, v12, 27, 4
	v_ffbh_u32_e32 v11, v10
	v_cmp_eq_u32_e32 vcc_lo, 0, v112
	v_min_u32_e32 v11, 32, v11
	v_subrev_nc_u32_e32 v103, 28, v11
	v_sub_nc_u32_e32 v11, 29, v11
	v_lshlrev_b32_sdwa v103, v103, v12 dst_sel:DWORD dst_unused:UNUSED_PAD src0_sel:DWORD src1_sel:BYTE_3
	v_cndmask_b32_e32 v11, v112, v11, vcc_lo
	v_and_b32_e32 v12, 0x80000000, v12
	v_and_b32_e32 v103, 7, v103
	v_lshl_add_u32 v11, v11, 23, 0x3b800000
	v_cndmask_b32_e32 v10, v10, v103, vcc_lo
	v_lshlrev_b32_e32 v10, 20, v10
	v_or3_b32 v10, v12, v11, v10
.LBB4_1591:                             ;   in Loop: Header=BB4_1423 Depth=2
	s_or_b32 exec_lo, exec_lo, s42
	v_mul_f32_e32 v10, s41, v10
	v_mov_b32_e32 v119, 0x8000
	s_mov_b32 s42, exec_lo
	v_and_b32_e32 v11, 0x7f800000, v10
	v_cmpx_ne_u32_e32 0x7f800000, v11
	s_cbranch_execz .LBB4_1599
; %bb.1592:                             ;   in Loop: Header=BB4_1423 Depth=2
	v_mov_b32_e32 v119, 0
	s_mov_b32 s43, exec_lo
	v_cmpx_ne_u32_e32 0, v10
	s_cbranch_execz .LBB4_1598
; %bb.1593:                             ;   in Loop: Header=BB4_1423 Depth=2
	v_bfe_u32 v11, v10, 23, 8
	v_and_b32_e32 v12, 0x7fffff, v10
	v_sub_nc_u32_e32 v103, 0x78, v11
	v_cmp_gt_u32_e32 vcc_lo, 0x79, v11
	v_or_b32_e32 v112, 0x800000, v12
	v_cndmask_b32_e32 v103, 0, v103, vcc_lo
	v_cmp_eq_u32_e32 vcc_lo, 0, v11
	v_add_nc_u32_e32 v11, 0xffffff89, v11
	v_cndmask_b32_e64 v103, v103, 0x77, vcc_lo
	v_cndmask_b32_e32 v12, v112, v12, vcc_lo
	v_cndmask_b32_e64 v11, v11, 0xffffff8a, vcc_lo
	v_lshl_add_u32 v112, 0x100000, v103, -1
	v_lshrrev_b32_e32 v114, v103, v12
	v_lshlrev_b32_e64 v119, v103, 0x80000
	v_add_nc_u32_e32 v103, v103, v11
	v_and_b32_e32 v12, v112, v12
	v_bfe_u32 v116, v114, 20, 1
	v_cmp_eq_u32_e64 s14, v12, v119
	v_add_nc_u32_e32 v112, -1, v116
	v_cndmask_b32_e64 v12, 0, v112, s14
	v_lshrrev_b32_e32 v112, 23, v114
	s_mov_b32 s14, exec_lo
	v_add_nc_u32_e32 v12, v12, v114
	v_xor_b32_e32 v112, 1, v112
	v_and_b32_e32 v11, 0xfffff, v12
	v_add_nc_u32_e32 v12, v11, v114
                                        ; implicit-def: $vgpr11
	v_cmpx_ne_u32_e64 v103, v112
	s_xor_b32 s14, exec_lo, s14
; %bb.1594:                             ;   in Loop: Header=BB4_1423 Depth=2
	v_cmp_lt_u32_e32 vcc_lo, 0xffffff, v12
	v_sub_nc_u32_e32 v11, v103, v112
	v_cndmask_b32_e64 v103, 0, 1, vcc_lo
	v_add_co_ci_u32_e64 v11, null, 0, v11, vcc_lo
	v_lshrrev_b32_e32 v12, v103, v12
; %bb.1595:                             ;   in Loop: Header=BB4_1423 Depth=2
	s_andn2_saveexec_b32 s14, s14
; %bb.1596:                             ;   in Loop: Header=BB4_1423 Depth=2
	v_bfe_u32 v11, v12, 23, 1
; %bb.1597:                             ;   in Loop: Header=BB4_1423 Depth=2
	s_or_b32 exec_lo, exec_lo, s14
	v_lshrrev_b32_e32 v12, 20, v12
	v_min_i32_e32 v103, 15, v11
	v_cmp_gt_i32_e32 vcc_lo, 16, v11
	v_and_b32_sdwa v10, v10, v97 dst_sel:DWORD dst_unused:UNUSED_PAD src0_sel:BYTE_3 src1_sel:DWORD
	v_lshlrev_b32_e32 v103, 3, v103
	v_cndmask_b32_e32 v12, 7, v12, vcc_lo
	v_and_b32_e32 v103, 0xf8, v103
	v_and_b32_e32 v112, 7, v12
	v_or_b32_e32 v11, v11, v12
	v_or3_b32 v10, v10, v103, v112
	v_cmp_ne_u32_e32 vcc_lo, 0, v11
	v_lshlrev_b32_e32 v10, 8, v10
	v_cndmask_b32_e32 v119, 0, v10, vcc_lo
.LBB4_1598:                             ;   in Loop: Header=BB4_1423 Depth=2
	s_or_b32 exec_lo, exec_lo, s43
.LBB4_1599:                             ;   in Loop: Header=BB4_1423 Depth=2
	s_or_b32 exec_lo, exec_lo, s42
	v_cmp_gt_i16_sdwa s42, v13, v96 src0_sel:BYTE_0 src1_sel:DWORD
	s_mov_b32 s14, 0
	s_and_saveexec_b32 s43, s42
	s_xor_b32 s42, exec_lo, s43
	s_cbranch_execz .LBB4_1997
; %bb.1600:                             ;   in Loop: Header=BB4_1423 Depth=2
	v_cmp_eq_u16_sdwa s44, v13, v97 src0_sel:BYTE_0 src1_sel:DWORD
	s_mov_b32 s14, -1
	s_and_saveexec_b32 s43, s44
; %bb.1601:                             ;   in Loop: Header=BB4_1423 Depth=2
	s_xor_b32 s14, exec_lo, -1
; %bb.1602:                             ;   in Loop: Header=BB4_1423 Depth=2
	s_or_b32 exec_lo, exec_lo, s43
	s_and_b32 s14, s14, exec_lo
	s_or_saveexec_b32 s42, s42
	v_mov_b32_e32 v10, 0x7f800001
	s_xor_b32 exec_lo, exec_lo, s42
	s_cbranch_execnz .LBB4_1998
.LBB4_1603:                             ;   in Loop: Header=BB4_1423 Depth=2
	s_or_b32 exec_lo, exec_lo, s42
	s_and_saveexec_b32 s42, s14
	s_cbranch_execz .LBB4_1605
.LBB4_1604:                             ;   in Loop: Header=BB4_1423 Depth=2
	v_and_b32_e32 v10, 7, v13
	v_bfe_u32 v103, v13, 3, 4
	v_lshlrev_b32_e32 v112, 24, v13
	v_ffbh_u32_e32 v11, v10
	v_cmp_eq_u32_e32 vcc_lo, 0, v103
	v_min_u32_e32 v11, 32, v11
	v_subrev_nc_u32_e32 v12, 28, v11
	v_sub_nc_u32_e32 v11, 29, v11
	v_lshlrev_b32_e32 v12, v12, v13
	v_cndmask_b32_e32 v11, v103, v11, vcc_lo
	v_and_b32_e32 v12, 7, v12
	v_lshl_add_u32 v11, v11, 23, 0x3b800000
	v_cndmask_b32_e32 v10, v10, v12, vcc_lo
	v_and_b32_e32 v12, 0x80000000, v112
	v_lshlrev_b32_e32 v10, 20, v10
	v_or3_b32 v10, v12, v11, v10
.LBB4_1605:                             ;   in Loop: Header=BB4_1423 Depth=2
	s_or_b32 exec_lo, exec_lo, s42
	v_mul_f32_e32 v10, s41, v10
	v_mov_b32_e32 v112, 0x80
	s_mov_b32 s42, exec_lo
	v_and_b32_e32 v11, 0x7f800000, v10
	v_cmpx_ne_u32_e32 0x7f800000, v11
	s_cbranch_execz .LBB4_1613
; %bb.1606:                             ;   in Loop: Header=BB4_1423 Depth=2
	v_mov_b32_e32 v112, 0
	s_mov_b32 s43, exec_lo
	v_cmpx_ne_u32_e32 0, v10
	s_cbranch_execz .LBB4_1612
; %bb.1607:                             ;   in Loop: Header=BB4_1423 Depth=2
	v_bfe_u32 v11, v10, 23, 8
	v_and_b32_e32 v12, 0x7fffff, v10
	v_sub_nc_u32_e32 v103, 0x78, v11
	v_cmp_gt_u32_e32 vcc_lo, 0x79, v11
	v_or_b32_e32 v112, 0x800000, v12
	v_cndmask_b32_e32 v103, 0, v103, vcc_lo
	v_cmp_eq_u32_e32 vcc_lo, 0, v11
	v_add_nc_u32_e32 v11, 0xffffff89, v11
	v_cndmask_b32_e64 v103, v103, 0x77, vcc_lo
	v_cndmask_b32_e32 v12, v112, v12, vcc_lo
	v_cndmask_b32_e64 v11, v11, 0xffffff8a, vcc_lo
	v_lshl_add_u32 v112, 0x100000, v103, -1
	v_lshrrev_b32_e32 v114, v103, v12
	v_lshlrev_b32_e64 v46, v103, 0x80000
	v_add_nc_u32_e32 v103, v103, v11
	v_and_b32_e32 v12, v112, v12
	v_bfe_u32 v116, v114, 20, 1
	v_cmp_eq_u32_e64 s14, v12, v46
	v_add_nc_u32_e32 v112, -1, v116
	v_cndmask_b32_e64 v12, 0, v112, s14
	v_lshrrev_b32_e32 v112, 23, v114
	s_mov_b32 s14, exec_lo
	v_add_nc_u32_e32 v12, v12, v114
	v_xor_b32_e32 v112, 1, v112
	v_and_b32_e32 v11, 0xfffff, v12
	v_add_nc_u32_e32 v12, v11, v114
                                        ; implicit-def: $vgpr11
	v_cmpx_ne_u32_e64 v103, v112
	s_xor_b32 s14, exec_lo, s14
; %bb.1608:                             ;   in Loop: Header=BB4_1423 Depth=2
	v_cmp_lt_u32_e32 vcc_lo, 0xffffff, v12
	v_sub_nc_u32_e32 v11, v103, v112
	v_cndmask_b32_e64 v103, 0, 1, vcc_lo
	v_add_co_ci_u32_e64 v11, null, 0, v11, vcc_lo
	v_lshrrev_b32_e32 v12, v103, v12
; %bb.1609:                             ;   in Loop: Header=BB4_1423 Depth=2
	s_andn2_saveexec_b32 s14, s14
; %bb.1610:                             ;   in Loop: Header=BB4_1423 Depth=2
	v_bfe_u32 v11, v12, 23, 1
; %bb.1611:                             ;   in Loop: Header=BB4_1423 Depth=2
	s_or_b32 exec_lo, exec_lo, s14
	v_lshrrev_b32_e32 v12, 20, v12
	v_min_i32_e32 v103, 15, v11
	v_cmp_gt_i32_e32 vcc_lo, 16, v11
	v_and_b32_sdwa v10, v10, v97 dst_sel:DWORD dst_unused:UNUSED_PAD src0_sel:BYTE_3 src1_sel:DWORD
	v_lshlrev_b32_e32 v103, 3, v103
	v_cndmask_b32_e32 v12, 7, v12, vcc_lo
	v_and_b32_e32 v103, 0xf8, v103
	v_and_b32_e32 v112, 7, v12
	v_or_b32_e32 v11, v11, v12
	v_or3_b32 v10, v103, v10, v112
	v_cmp_ne_u32_e32 vcc_lo, 0, v11
	v_cndmask_b32_e32 v112, 0, v10, vcc_lo
.LBB4_1612:                             ;   in Loop: Header=BB4_1423 Depth=2
	s_or_b32 exec_lo, exec_lo, s43
.LBB4_1613:                             ;   in Loop: Header=BB4_1423 Depth=2
	s_or_b32 exec_lo, exec_lo, s42
	v_cmp_gt_i16_sdwa s42, v13, v96 src0_sel:BYTE_1 src1_sel:DWORD
	s_mov_b32 s14, 0
	s_and_saveexec_b32 s43, s42
	s_xor_b32 s42, exec_lo, s43
	s_cbranch_execz .LBB4_1999
; %bb.1614:                             ;   in Loop: Header=BB4_1423 Depth=2
	v_cmp_eq_u16_sdwa s44, v13, v97 src0_sel:BYTE_1 src1_sel:DWORD
	s_mov_b32 s14, -1
	s_and_saveexec_b32 s43, s44
; %bb.1615:                             ;   in Loop: Header=BB4_1423 Depth=2
	s_xor_b32 s14, exec_lo, -1
; %bb.1616:                             ;   in Loop: Header=BB4_1423 Depth=2
	s_or_b32 exec_lo, exec_lo, s43
	s_and_b32 s14, s14, exec_lo
	s_or_saveexec_b32 s42, s42
	v_mov_b32_e32 v10, 0x7f800001
	s_xor_b32 exec_lo, exec_lo, s42
	s_cbranch_execnz .LBB4_2000
.LBB4_1617:                             ;   in Loop: Header=BB4_1423 Depth=2
	s_or_b32 exec_lo, exec_lo, s42
	s_and_saveexec_b32 s42, s14
	s_cbranch_execz .LBB4_1619
.LBB4_1618:                             ;   in Loop: Header=BB4_1423 Depth=2
	v_and_b32_sdwa v10, v98, v13 dst_sel:DWORD dst_unused:UNUSED_PAD src0_sel:DWORD src1_sel:BYTE_1
	v_and_b32_e32 v11, 7, v10
	v_bfe_u32 v114, v10, 3, 4
	v_ffbh_u32_e32 v12, v11
	v_cmp_eq_u32_e32 vcc_lo, 0, v114
	v_min_u32_e32 v12, 32, v12
	v_subrev_nc_u32_e32 v103, 28, v12
	v_sub_nc_u32_e32 v12, 29, v12
	v_lshlrev_b32_e32 v10, v103, v10
	v_lshlrev_b32_sdwa v103, v99, v13 dst_sel:DWORD dst_unused:UNUSED_PAD src0_sel:DWORD src1_sel:BYTE_1
	v_cndmask_b32_e32 v12, v114, v12, vcc_lo
	v_and_b32_e32 v10, 7, v10
	v_lshl_add_u32 v12, v12, 23, 0x3b800000
	v_cndmask_b32_e32 v10, v11, v10, vcc_lo
	v_and_b32_e32 v11, 0x80000000, v103
	v_lshlrev_b32_e32 v10, 20, v10
	v_or3_b32 v10, v11, v12, v10
.LBB4_1619:                             ;   in Loop: Header=BB4_1423 Depth=2
	s_or_b32 exec_lo, exec_lo, s42
	v_mul_f32_e32 v10, s41, v10
	v_mov_b32_e32 v116, 0x8000
	s_mov_b32 s42, exec_lo
	v_and_b32_e32 v11, 0x7f800000, v10
	v_cmpx_ne_u32_e32 0x7f800000, v11
	s_cbranch_execz .LBB4_1627
; %bb.1620:                             ;   in Loop: Header=BB4_1423 Depth=2
	v_mov_b32_e32 v116, 0
	s_mov_b32 s43, exec_lo
	v_cmpx_ne_u32_e32 0, v10
	s_cbranch_execz .LBB4_1626
; %bb.1621:                             ;   in Loop: Header=BB4_1423 Depth=2
	v_bfe_u32 v11, v10, 23, 8
	v_and_b32_e32 v12, 0x7fffff, v10
	v_sub_nc_u32_e32 v103, 0x78, v11
	v_cmp_gt_u32_e32 vcc_lo, 0x79, v11
	v_or_b32_e32 v114, 0x800000, v12
	v_cndmask_b32_e32 v103, 0, v103, vcc_lo
	v_cmp_eq_u32_e32 vcc_lo, 0, v11
	v_add_nc_u32_e32 v11, 0xffffff89, v11
	v_cndmask_b32_e64 v103, v103, 0x77, vcc_lo
	v_cndmask_b32_e32 v12, v114, v12, vcc_lo
	v_cndmask_b32_e64 v11, v11, 0xffffff8a, vcc_lo
	v_lshl_add_u32 v114, 0x100000, v103, -1
	v_lshrrev_b32_e32 v116, v103, v12
	v_lshlrev_b32_e64 v47, v103, 0x80000
	v_add_nc_u32_e32 v103, v103, v11
	v_and_b32_e32 v12, v114, v12
	v_bfe_u32 v46, v116, 20, 1
	v_cmp_eq_u32_e64 s14, v12, v47
	v_add_nc_u32_e32 v114, -1, v46
	v_cndmask_b32_e64 v12, 0, v114, s14
	v_lshrrev_b32_e32 v114, 23, v116
	s_mov_b32 s14, exec_lo
	v_add_nc_u32_e32 v12, v12, v116
	v_xor_b32_e32 v114, 1, v114
	v_and_b32_e32 v11, 0xfffff, v12
	v_add_nc_u32_e32 v12, v11, v116
                                        ; implicit-def: $vgpr11
	v_cmpx_ne_u32_e64 v103, v114
	s_xor_b32 s14, exec_lo, s14
; %bb.1622:                             ;   in Loop: Header=BB4_1423 Depth=2
	v_cmp_lt_u32_e32 vcc_lo, 0xffffff, v12
	v_sub_nc_u32_e32 v11, v103, v114
	v_cndmask_b32_e64 v103, 0, 1, vcc_lo
	v_add_co_ci_u32_e64 v11, null, 0, v11, vcc_lo
	v_lshrrev_b32_e32 v12, v103, v12
; %bb.1623:                             ;   in Loop: Header=BB4_1423 Depth=2
	s_andn2_saveexec_b32 s14, s14
; %bb.1624:                             ;   in Loop: Header=BB4_1423 Depth=2
	v_bfe_u32 v11, v12, 23, 1
; %bb.1625:                             ;   in Loop: Header=BB4_1423 Depth=2
	s_or_b32 exec_lo, exec_lo, s14
	v_lshrrev_b32_e32 v12, 20, v12
	v_min_i32_e32 v103, 15, v11
	v_cmp_gt_i32_e32 vcc_lo, 16, v11
	v_and_b32_sdwa v10, v10, v97 dst_sel:DWORD dst_unused:UNUSED_PAD src0_sel:BYTE_3 src1_sel:DWORD
	v_lshlrev_b32_e32 v103, 3, v103
	v_cndmask_b32_e32 v12, 7, v12, vcc_lo
	v_and_b32_e32 v103, 0xf8, v103
	v_and_b32_e32 v114, 7, v12
	v_or_b32_e32 v11, v11, v12
	v_or3_b32 v10, v10, v103, v114
	v_cmp_ne_u32_e32 vcc_lo, 0, v11
	v_lshlrev_b32_e32 v10, 8, v10
	v_cndmask_b32_e32 v116, 0, v10, vcc_lo
.LBB4_1626:                             ;   in Loop: Header=BB4_1423 Depth=2
	s_or_b32 exec_lo, exec_lo, s43
.LBB4_1627:                             ;   in Loop: Header=BB4_1423 Depth=2
	s_or_b32 exec_lo, exec_lo, s42
	v_and_b32_sdwa v11, v13, v100 dst_sel:DWORD dst_unused:UNUSED_PAD src0_sel:WORD_1 src1_sel:DWORD
	s_mov_b32 s14, 0
	s_mov_b32 s42, exec_lo
	v_cmpx_lt_i16_e32 0x7f, v11
	s_xor_b32 s42, exec_lo, s42
	s_cbranch_execz .LBB4_2001
; %bb.1628:                             ;   in Loop: Header=BB4_1423 Depth=2
	s_mov_b32 s14, -1
	s_mov_b32 s43, exec_lo
	v_cmpx_eq_u16_e32 0x80, v11
; %bb.1629:                             ;   in Loop: Header=BB4_1423 Depth=2
	s_xor_b32 s14, exec_lo, -1
; %bb.1630:                             ;   in Loop: Header=BB4_1423 Depth=2
	s_or_b32 exec_lo, exec_lo, s43
	s_and_b32 s14, s14, exec_lo
                                        ; implicit-def: $vgpr11
	s_or_saveexec_b32 s42, s42
	v_mov_b32_e32 v10, 0x7f800001
	s_xor_b32 exec_lo, exec_lo, s42
	s_cbranch_execnz .LBB4_2002
.LBB4_1631:                             ;   in Loop: Header=BB4_1423 Depth=2
	s_or_b32 exec_lo, exec_lo, s42
	s_and_saveexec_b32 s42, s14
	s_cbranch_execz .LBB4_1633
.LBB4_1632:                             ;   in Loop: Header=BB4_1423 Depth=2
	v_bfe_u32 v10, v13, 16, 3
	v_bfe_u32 v103, v13, 19, 4
	v_lshlrev_b32_e32 v114, 8, v13
	v_ffbh_u32_e32 v11, v10
	v_cmp_eq_u32_e32 vcc_lo, 0, v103
	v_min_u32_e32 v11, 32, v11
	v_subrev_nc_u32_e32 v12, 28, v11
	v_sub_nc_u32_e32 v11, 29, v11
	v_lshlrev_b32_sdwa v12, v12, v13 dst_sel:DWORD dst_unused:UNUSED_PAD src0_sel:DWORD src1_sel:WORD_1
	v_cndmask_b32_e32 v11, v103, v11, vcc_lo
	v_and_b32_e32 v12, 7, v12
	v_lshl_add_u32 v11, v11, 23, 0x3b800000
	v_cndmask_b32_e32 v10, v10, v12, vcc_lo
	v_and_b32_e32 v12, 0x80000000, v114
	v_lshlrev_b32_e32 v10, 20, v10
	v_or3_b32 v10, v12, v11, v10
.LBB4_1633:                             ;   in Loop: Header=BB4_1423 Depth=2
	s_or_b32 exec_lo, exec_lo, s42
	v_mul_f32_e32 v10, s41, v10
	v_mov_b32_e32 v103, 0x80
	s_mov_b32 s42, exec_lo
	v_and_b32_e32 v11, 0x7f800000, v10
	v_cmpx_ne_u32_e32 0x7f800000, v11
	s_cbranch_execz .LBB4_1641
; %bb.1634:                             ;   in Loop: Header=BB4_1423 Depth=2
	v_mov_b32_e32 v103, 0
	s_mov_b32 s43, exec_lo
	v_cmpx_ne_u32_e32 0, v10
	s_cbranch_execz .LBB4_1640
; %bb.1635:                             ;   in Loop: Header=BB4_1423 Depth=2
	v_bfe_u32 v11, v10, 23, 8
	v_and_b32_e32 v12, 0x7fffff, v10
	v_sub_nc_u32_e32 v103, 0x78, v11
	v_cmp_gt_u32_e32 vcc_lo, 0x79, v11
	v_or_b32_e32 v114, 0x800000, v12
	v_cndmask_b32_e32 v103, 0, v103, vcc_lo
	v_cmp_eq_u32_e32 vcc_lo, 0, v11
	v_add_nc_u32_e32 v11, 0xffffff89, v11
	v_cndmask_b32_e64 v103, v103, 0x77, vcc_lo
	v_cndmask_b32_e32 v12, v114, v12, vcc_lo
	v_cndmask_b32_e64 v11, v11, 0xffffff8a, vcc_lo
	v_lshl_add_u32 v114, 0x100000, v103, -1
	v_lshrrev_b32_e32 v46, v103, v12
	v_lshlrev_b32_e64 v56, v103, 0x80000
	v_add_nc_u32_e32 v103, v103, v11
	v_and_b32_e32 v12, v114, v12
	v_bfe_u32 v47, v46, 20, 1
	v_cmp_eq_u32_e64 s14, v12, v56
	v_add_nc_u32_e32 v114, -1, v47
	v_cndmask_b32_e64 v12, 0, v114, s14
	v_lshrrev_b32_e32 v114, 23, v46
	s_mov_b32 s14, exec_lo
	v_add_nc_u32_e32 v12, v12, v46
	v_xor_b32_e32 v114, 1, v114
	v_and_b32_e32 v11, 0xfffff, v12
	v_add_nc_u32_e32 v12, v11, v46
                                        ; implicit-def: $vgpr11
	v_cmpx_ne_u32_e64 v103, v114
	s_xor_b32 s14, exec_lo, s14
; %bb.1636:                             ;   in Loop: Header=BB4_1423 Depth=2
	v_cmp_lt_u32_e32 vcc_lo, 0xffffff, v12
	v_sub_nc_u32_e32 v11, v103, v114
	v_cndmask_b32_e64 v103, 0, 1, vcc_lo
	v_add_co_ci_u32_e64 v11, null, 0, v11, vcc_lo
	v_lshrrev_b32_e32 v12, v103, v12
; %bb.1637:                             ;   in Loop: Header=BB4_1423 Depth=2
	s_andn2_saveexec_b32 s14, s14
; %bb.1638:                             ;   in Loop: Header=BB4_1423 Depth=2
	v_bfe_u32 v11, v12, 23, 1
; %bb.1639:                             ;   in Loop: Header=BB4_1423 Depth=2
	s_or_b32 exec_lo, exec_lo, s14
	v_lshrrev_b32_e32 v12, 20, v12
	v_min_i32_e32 v103, 15, v11
	v_cmp_gt_i32_e32 vcc_lo, 16, v11
	v_and_b32_sdwa v10, v10, v97 dst_sel:DWORD dst_unused:UNUSED_PAD src0_sel:BYTE_3 src1_sel:DWORD
	v_lshlrev_b32_e32 v103, 3, v103
	v_cndmask_b32_e32 v12, 7, v12, vcc_lo
	v_and_b32_e32 v103, 0xf8, v103
	v_and_b32_e32 v114, 7, v12
	v_or_b32_e32 v11, v11, v12
	v_or3_b32 v10, v103, v10, v114
	v_cmp_ne_u32_e32 vcc_lo, 0, v11
	v_cndmask_b32_e32 v103, 0, v10, vcc_lo
.LBB4_1640:                             ;   in Loop: Header=BB4_1423 Depth=2
	s_or_b32 exec_lo, exec_lo, s43
.LBB4_1641:                             ;   in Loop: Header=BB4_1423 Depth=2
	s_or_b32 exec_lo, exec_lo, s42
	v_cmp_gt_i16_sdwa s42, v13, v96 src0_sel:BYTE_3 src1_sel:DWORD
	s_mov_b32 s14, 0
	s_and_saveexec_b32 s43, s42
	s_xor_b32 s42, exec_lo, s43
	s_cbranch_execz .LBB4_2003
; %bb.1642:                             ;   in Loop: Header=BB4_1423 Depth=2
	v_cmp_eq_u16_sdwa s44, v13, v97 src0_sel:BYTE_3 src1_sel:DWORD
	s_mov_b32 s14, -1
	s_and_saveexec_b32 s43, s44
; %bb.1643:                             ;   in Loop: Header=BB4_1423 Depth=2
	s_xor_b32 s14, exec_lo, -1
; %bb.1644:                             ;   in Loop: Header=BB4_1423 Depth=2
	s_or_b32 exec_lo, exec_lo, s43
	s_and_b32 s14, s14, exec_lo
	s_or_saveexec_b32 s42, s42
	v_mov_b32_e32 v10, 0x7f800001
	s_xor_b32 exec_lo, exec_lo, s42
	s_cbranch_execnz .LBB4_2004
.LBB4_1645:                             ;   in Loop: Header=BB4_1423 Depth=2
	s_or_b32 exec_lo, exec_lo, s42
	s_and_saveexec_b32 s42, s14
	s_cbranch_execz .LBB4_1647
.LBB4_1646:                             ;   in Loop: Header=BB4_1423 Depth=2
	v_bfe_u32 v10, v13, 24, 3
	v_bfe_u32 v114, v13, 27, 4
	v_ffbh_u32_e32 v11, v10
	v_cmp_eq_u32_e32 vcc_lo, 0, v114
	v_min_u32_e32 v11, 32, v11
	v_subrev_nc_u32_e32 v12, 28, v11
	v_sub_nc_u32_e32 v11, 29, v11
	v_lshlrev_b32_sdwa v12, v12, v13 dst_sel:DWORD dst_unused:UNUSED_PAD src0_sel:DWORD src1_sel:BYTE_3
	v_cndmask_b32_e32 v11, v114, v11, vcc_lo
	v_and_b32_e32 v12, 7, v12
	v_lshl_add_u32 v11, v11, 23, 0x3b800000
	v_cndmask_b32_e32 v10, v10, v12, vcc_lo
	v_and_b32_e32 v12, 0x80000000, v13
	v_lshlrev_b32_e32 v10, 20, v10
	v_or3_b32 v10, v12, v11, v10
.LBB4_1647:                             ;   in Loop: Header=BB4_1423 Depth=2
	s_or_b32 exec_lo, exec_lo, s42
	v_mul_f32_e32 v10, s41, v10
	v_mov_b32_e32 v114, 0x8000
	s_mov_b32 s41, exec_lo
	v_and_b32_e32 v11, 0x7f800000, v10
	v_cmpx_ne_u32_e32 0x7f800000, v11
	s_cbranch_execz .LBB4_1655
; %bb.1648:                             ;   in Loop: Header=BB4_1423 Depth=2
	v_mov_b32_e32 v114, 0
	s_mov_b32 s42, exec_lo
	v_cmpx_ne_u32_e32 0, v10
	s_cbranch_execz .LBB4_1654
; %bb.1649:                             ;   in Loop: Header=BB4_1423 Depth=2
	v_bfe_u32 v11, v10, 23, 8
	v_and_b32_e32 v12, 0x7fffff, v10
	v_sub_nc_u32_e32 v13, 0x78, v11
	v_cmp_gt_u32_e32 vcc_lo, 0x79, v11
	v_or_b32_e32 v114, 0x800000, v12
	v_cndmask_b32_e32 v13, 0, v13, vcc_lo
	v_cmp_eq_u32_e32 vcc_lo, 0, v11
	v_add_nc_u32_e32 v11, 0xffffff89, v11
	v_cndmask_b32_e64 v13, v13, 0x77, vcc_lo
	v_cndmask_b32_e32 v12, v114, v12, vcc_lo
	v_cndmask_b32_e64 v11, v11, 0xffffff8a, vcc_lo
	v_lshl_add_u32 v114, 0x100000, v13, -1
	v_lshrrev_b32_e32 v46, v13, v12
	v_lshlrev_b32_e64 v56, v13, 0x80000
	v_add_nc_u32_e32 v13, v13, v11
	v_and_b32_e32 v12, v114, v12
	v_bfe_u32 v47, v46, 20, 1
	v_cmp_eq_u32_e64 s14, v12, v56
	v_add_nc_u32_e32 v114, -1, v47
	v_cndmask_b32_e64 v12, 0, v114, s14
	v_lshrrev_b32_e32 v114, 23, v46
	s_mov_b32 s14, exec_lo
	v_add_nc_u32_e32 v12, v12, v46
	v_xor_b32_e32 v114, 1, v114
	v_and_b32_e32 v11, 0xfffff, v12
	v_add_nc_u32_e32 v12, v11, v46
                                        ; implicit-def: $vgpr11
	v_cmpx_ne_u32_e64 v13, v114
	s_xor_b32 s14, exec_lo, s14
; %bb.1650:                             ;   in Loop: Header=BB4_1423 Depth=2
	v_cmp_lt_u32_e32 vcc_lo, 0xffffff, v12
	v_sub_nc_u32_e32 v11, v13, v114
	v_cndmask_b32_e64 v13, 0, 1, vcc_lo
	v_add_co_ci_u32_e64 v11, null, 0, v11, vcc_lo
	v_lshrrev_b32_e32 v12, v13, v12
; %bb.1651:                             ;   in Loop: Header=BB4_1423 Depth=2
	s_andn2_saveexec_b32 s14, s14
; %bb.1652:                             ;   in Loop: Header=BB4_1423 Depth=2
	v_bfe_u32 v11, v12, 23, 1
; %bb.1653:                             ;   in Loop: Header=BB4_1423 Depth=2
	s_or_b32 exec_lo, exec_lo, s14
	v_lshrrev_b32_e32 v12, 20, v12
	v_min_i32_e32 v13, 15, v11
	v_cmp_gt_i32_e32 vcc_lo, 16, v11
	v_and_b32_sdwa v10, v10, v97 dst_sel:DWORD dst_unused:UNUSED_PAD src0_sel:BYTE_3 src1_sel:DWORD
	v_lshlrev_b32_e32 v13, 3, v13
	v_cndmask_b32_e32 v12, 7, v12, vcc_lo
	v_and_b32_e32 v13, 0xf8, v13
	v_and_b32_e32 v114, 7, v12
	v_or_b32_e32 v11, v11, v12
	v_or3_b32 v10, v10, v13, v114
	v_cmp_ne_u32_e32 vcc_lo, 0, v11
	v_lshlrev_b32_e32 v10, 8, v10
	v_cndmask_b32_e32 v114, 0, v10, vcc_lo
.LBB4_1654:                             ;   in Loop: Header=BB4_1423 Depth=2
	s_or_b32 exec_lo, exec_lo, s42
.LBB4_1655:                             ;   in Loop: Header=BB4_1423 Depth=2
	s_or_b32 exec_lo, exec_lo, s41
	global_load_dwordx4 v[10:13], v[54:55], off slc
	v_or_b32_e32 v46, v113, v102
	s_mov_b32 s14, 0
	v_cmp_gt_i16_sdwa s41, v46, v96 src0_sel:BYTE_0 src1_sel:DWORD
	s_and_saveexec_b32 s42, s41
	s_xor_b32 s41, exec_lo, s42
	s_cbranch_execz .LBB4_2005
; %bb.1656:                             ;   in Loop: Header=BB4_1423 Depth=2
	v_cmp_eq_u16_sdwa s43, v46, v97 src0_sel:BYTE_0 src1_sel:DWORD
	s_mov_b32 s14, -1
	s_and_saveexec_b32 s42, s43
; %bb.1657:                             ;   in Loop: Header=BB4_1423 Depth=2
	s_xor_b32 s14, exec_lo, -1
; %bb.1658:                             ;   in Loop: Header=BB4_1423 Depth=2
	s_or_b32 exec_lo, exec_lo, s42
	s_and_b32 s14, s14, exec_lo
	s_or_saveexec_b32 s41, s41
	v_mov_b32_e32 v102, 0x7f800001
	s_xor_b32 exec_lo, exec_lo, s41
	s_cbranch_execnz .LBB4_2006
.LBB4_1659:                             ;   in Loop: Header=BB4_1423 Depth=2
	s_or_b32 exec_lo, exec_lo, s41
	s_and_saveexec_b32 s41, s14
	s_cbranch_execz .LBB4_1661
.LBB4_1660:                             ;   in Loop: Header=BB4_1423 Depth=2
	v_and_b32_e32 v102, 7, v46
	v_bfe_u32 v56, v46, 3, 4
	v_lshlrev_b32_e32 v57, 24, v46
	v_ffbh_u32_e32 v113, v102
	v_cmp_eq_u32_e32 vcc_lo, 0, v56
	v_min_u32_e32 v113, 32, v113
	v_subrev_nc_u32_e32 v47, 28, v113
	v_sub_nc_u32_e32 v113, 29, v113
	v_lshlrev_b32_e32 v47, v47, v46
	v_cndmask_b32_e32 v113, v56, v113, vcc_lo
	v_and_b32_e32 v47, 7, v47
	v_lshl_add_u32 v113, v113, 23, 0x3b800000
	v_cndmask_b32_e32 v102, v102, v47, vcc_lo
	v_and_b32_e32 v47, 0x80000000, v57
	v_lshlrev_b32_e32 v102, 20, v102
	v_or3_b32 v102, v47, v113, v102
.LBB4_1661:                             ;   in Loop: Header=BB4_1423 Depth=2
	s_or_b32 exec_lo, exec_lo, s41
	s_waitcnt vmcnt(0)
	v_cmp_gt_i16_sdwa s41, v10, v96 src0_sel:BYTE_0 src1_sel:DWORD
	s_mov_b32 s14, 0
	s_and_saveexec_b32 s42, s41
	s_xor_b32 s41, exec_lo, s42
	s_cbranch_execz .LBB4_2007
; %bb.1662:                             ;   in Loop: Header=BB4_1423 Depth=2
	v_cmp_eq_u16_sdwa s43, v10, v97 src0_sel:BYTE_0 src1_sel:DWORD
	s_mov_b32 s14, -1
	s_and_saveexec_b32 s42, s43
; %bb.1663:                             ;   in Loop: Header=BB4_1423 Depth=2
	s_xor_b32 s14, exec_lo, -1
; %bb.1664:                             ;   in Loop: Header=BB4_1423 Depth=2
	s_or_b32 exec_lo, exec_lo, s42
	s_and_b32 s14, s14, exec_lo
	s_or_saveexec_b32 s41, s41
	v_mov_b32_e32 v113, 0x7f800001
	s_xor_b32 exec_lo, exec_lo, s41
	s_cbranch_execnz .LBB4_2008
.LBB4_1665:                             ;   in Loop: Header=BB4_1423 Depth=2
	s_or_b32 exec_lo, exec_lo, s41
	s_and_saveexec_b32 s41, s14
	s_cbranch_execz .LBB4_1667
.LBB4_1666:                             ;   in Loop: Header=BB4_1423 Depth=2
	v_and_b32_e32 v113, 7, v10
	v_bfe_u32 v57, v10, 3, 4
	v_lshlrev_b32_e32 v58, 24, v10
	v_ffbh_u32_e32 v47, v113
	v_cmp_eq_u32_e32 vcc_lo, 0, v57
	v_min_u32_e32 v47, 32, v47
	v_subrev_nc_u32_e32 v56, 28, v47
	v_sub_nc_u32_e32 v47, 29, v47
	v_lshlrev_b32_e32 v56, v56, v10
	v_cndmask_b32_e32 v47, v57, v47, vcc_lo
	v_and_b32_e32 v56, 7, v56
	v_lshl_add_u32 v47, v47, 23, 0x3b800000
	v_cndmask_b32_e32 v113, v113, v56, vcc_lo
	v_and_b32_e32 v56, 0x80000000, v58
	v_lshlrev_b32_e32 v113, 20, v113
	v_or3_b32 v113, v56, v47, v113
.LBB4_1667:                             ;   in Loop: Header=BB4_1423 Depth=2
	s_or_b32 exec_lo, exec_lo, s41
	v_add_f32_e32 v113, v102, v113
	v_and_b32_e32 v102, 0x7f800000, v113
	v_cmp_ne_u32_e32 vcc_lo, 0x7f800000, v102
	v_mov_b32_e32 v102, 0x80
	s_and_saveexec_b32 s41, vcc_lo
	s_cbranch_execz .LBB4_1675
; %bb.1668:                             ;   in Loop: Header=BB4_1423 Depth=2
	v_mov_b32_e32 v102, 0
	s_mov_b32 s42, exec_lo
	v_cmpx_ne_u32_e32 0, v113
	s_cbranch_execz .LBB4_1674
; %bb.1669:                             ;   in Loop: Header=BB4_1423 Depth=2
	v_bfe_u32 v102, v113, 23, 8
	v_and_b32_e32 v47, 0x7fffff, v113
	v_sub_nc_u32_e32 v56, 0x78, v102
	v_cmp_gt_u32_e32 vcc_lo, 0x79, v102
	v_or_b32_e32 v57, 0x800000, v47
	v_cndmask_b32_e32 v56, 0, v56, vcc_lo
	v_cmp_eq_u32_e32 vcc_lo, 0, v102
	v_add_nc_u32_e32 v102, 0xffffff89, v102
	v_cndmask_b32_e64 v56, v56, 0x77, vcc_lo
	v_cndmask_b32_e32 v47, v57, v47, vcc_lo
	v_cndmask_b32_e64 v102, v102, 0xffffff8a, vcc_lo
	v_lshl_add_u32 v57, 0x100000, v56, -1
	v_lshrrev_b32_e32 v58, v56, v47
	v_lshlrev_b32_e64 v60, v56, 0x80000
	v_add_nc_u32_e32 v56, v56, v102
	v_and_b32_e32 v47, v57, v47
	v_bfe_u32 v59, v58, 20, 1
	v_cmp_eq_u32_e64 s14, v47, v60
	v_add_nc_u32_e32 v57, -1, v59
	v_cndmask_b32_e64 v47, 0, v57, s14
	v_lshrrev_b32_e32 v57, 23, v58
	s_mov_b32 s14, exec_lo
	v_add_nc_u32_e32 v47, v47, v58
	v_xor_b32_e32 v57, 1, v57
	v_and_b32_e32 v102, 0xfffff, v47
	v_add_nc_u32_e32 v47, v102, v58
                                        ; implicit-def: $vgpr102
	v_cmpx_ne_u32_e64 v56, v57
	s_xor_b32 s14, exec_lo, s14
; %bb.1670:                             ;   in Loop: Header=BB4_1423 Depth=2
	v_cmp_lt_u32_e32 vcc_lo, 0xffffff, v47
	v_sub_nc_u32_e32 v102, v56, v57
	v_cndmask_b32_e64 v56, 0, 1, vcc_lo
	v_add_co_ci_u32_e64 v102, null, 0, v102, vcc_lo
	v_lshrrev_b32_e32 v47, v56, v47
; %bb.1671:                             ;   in Loop: Header=BB4_1423 Depth=2
	s_andn2_saveexec_b32 s14, s14
; %bb.1672:                             ;   in Loop: Header=BB4_1423 Depth=2
	v_bfe_u32 v102, v47, 23, 1
; %bb.1673:                             ;   in Loop: Header=BB4_1423 Depth=2
	s_or_b32 exec_lo, exec_lo, s14
	v_lshrrev_b32_e32 v47, 20, v47
	v_min_i32_e32 v56, 15, v102
	v_cmp_gt_i32_e32 vcc_lo, 16, v102
	v_and_b32_sdwa v113, v113, v97 dst_sel:DWORD dst_unused:UNUSED_PAD src0_sel:BYTE_3 src1_sel:DWORD
	v_lshlrev_b32_e32 v56, 3, v56
	v_cndmask_b32_e32 v47, 7, v47, vcc_lo
	v_and_b32_e32 v56, 0xf8, v56
	v_and_b32_e32 v57, 7, v47
	v_or_b32_e32 v102, v102, v47
	v_or3_b32 v113, v56, v113, v57
	v_cmp_ne_u32_e32 vcc_lo, 0, v102
	v_cndmask_b32_e32 v102, 0, v113, vcc_lo
.LBB4_1674:                             ;   in Loop: Header=BB4_1423 Depth=2
	s_or_b32 exec_lo, exec_lo, s42
.LBB4_1675:                             ;   in Loop: Header=BB4_1423 Depth=2
	s_or_b32 exec_lo, exec_lo, s41
	v_cmp_gt_i16_sdwa s41, v46, v96 src0_sel:BYTE_1 src1_sel:DWORD
	s_mov_b32 s14, 0
	s_and_saveexec_b32 s42, s41
	s_xor_b32 s41, exec_lo, s42
	s_cbranch_execz .LBB4_2009
; %bb.1676:                             ;   in Loop: Header=BB4_1423 Depth=2
	v_cmp_eq_u16_sdwa s43, v46, v97 src0_sel:BYTE_1 src1_sel:DWORD
	s_mov_b32 s14, -1
	s_and_saveexec_b32 s42, s43
; %bb.1677:                             ;   in Loop: Header=BB4_1423 Depth=2
	s_xor_b32 s14, exec_lo, -1
; %bb.1678:                             ;   in Loop: Header=BB4_1423 Depth=2
	s_or_b32 exec_lo, exec_lo, s42
	s_and_b32 s14, s14, exec_lo
	s_or_saveexec_b32 s41, s41
	v_mov_b32_e32 v113, 0x7f800001
	s_xor_b32 exec_lo, exec_lo, s41
	s_cbranch_execnz .LBB4_2010
.LBB4_1679:                             ;   in Loop: Header=BB4_1423 Depth=2
	s_or_b32 exec_lo, exec_lo, s41
	s_and_saveexec_b32 s41, s14
	s_cbranch_execz .LBB4_1681
.LBB4_1680:                             ;   in Loop: Header=BB4_1423 Depth=2
	v_and_b32_sdwa v113, v98, v46 dst_sel:DWORD dst_unused:UNUSED_PAD src0_sel:DWORD src1_sel:BYTE_1
	v_and_b32_e32 v47, 7, v113
	v_bfe_u32 v58, v113, 3, 4
	v_ffbh_u32_e32 v56, v47
	v_cmp_eq_u32_e32 vcc_lo, 0, v58
	v_min_u32_e32 v56, 32, v56
	v_subrev_nc_u32_e32 v57, 28, v56
	v_sub_nc_u32_e32 v56, 29, v56
	v_lshlrev_b32_e32 v113, v57, v113
	v_lshlrev_b32_sdwa v57, v99, v46 dst_sel:DWORD dst_unused:UNUSED_PAD src0_sel:DWORD src1_sel:BYTE_1
	v_cndmask_b32_e32 v56, v58, v56, vcc_lo
	v_and_b32_e32 v113, 7, v113
	v_lshl_add_u32 v56, v56, 23, 0x3b800000
	v_cndmask_b32_e32 v113, v47, v113, vcc_lo
	v_and_b32_e32 v47, 0x80000000, v57
	v_lshlrev_b32_e32 v113, 20, v113
	v_or3_b32 v113, v47, v56, v113
.LBB4_1681:                             ;   in Loop: Header=BB4_1423 Depth=2
	s_or_b32 exec_lo, exec_lo, s41
	v_cmp_gt_i16_sdwa s41, v10, v96 src0_sel:BYTE_1 src1_sel:DWORD
	s_mov_b32 s14, 0
	s_and_saveexec_b32 s42, s41
	s_xor_b32 s41, exec_lo, s42
	s_cbranch_execz .LBB4_2011
; %bb.1682:                             ;   in Loop: Header=BB4_1423 Depth=2
	v_cmp_eq_u16_sdwa s43, v10, v97 src0_sel:BYTE_1 src1_sel:DWORD
	s_mov_b32 s14, -1
	s_and_saveexec_b32 s42, s43
; %bb.1683:                             ;   in Loop: Header=BB4_1423 Depth=2
	s_xor_b32 s14, exec_lo, -1
; %bb.1684:                             ;   in Loop: Header=BB4_1423 Depth=2
	s_or_b32 exec_lo, exec_lo, s42
	s_and_b32 s14, s14, exec_lo
	s_or_saveexec_b32 s41, s41
	v_mov_b32_e32 v47, 0x7f800001
	s_xor_b32 exec_lo, exec_lo, s41
	s_cbranch_execnz .LBB4_2012
.LBB4_1685:                             ;   in Loop: Header=BB4_1423 Depth=2
	s_or_b32 exec_lo, exec_lo, s41
	s_and_saveexec_b32 s41, s14
	s_cbranch_execz .LBB4_1687
.LBB4_1686:                             ;   in Loop: Header=BB4_1423 Depth=2
	v_and_b32_sdwa v47, v98, v10 dst_sel:DWORD dst_unused:UNUSED_PAD src0_sel:DWORD src1_sel:BYTE_1
	v_and_b32_e32 v56, 7, v47
	v_bfe_u32 v59, v47, 3, 4
	v_ffbh_u32_e32 v57, v56
	v_cmp_eq_u32_e32 vcc_lo, 0, v59
	v_min_u32_e32 v57, 32, v57
	v_subrev_nc_u32_e32 v58, 28, v57
	v_sub_nc_u32_e32 v57, 29, v57
	v_lshlrev_b32_e32 v47, v58, v47
	v_lshlrev_b32_sdwa v58, v99, v10 dst_sel:DWORD dst_unused:UNUSED_PAD src0_sel:DWORD src1_sel:BYTE_1
	v_cndmask_b32_e32 v57, v59, v57, vcc_lo
	v_and_b32_e32 v47, 7, v47
	v_lshl_add_u32 v57, v57, 23, 0x3b800000
	v_cndmask_b32_e32 v47, v56, v47, vcc_lo
	v_and_b32_e32 v56, 0x80000000, v58
	v_lshlrev_b32_e32 v47, 20, v47
	v_or3_b32 v47, v56, v57, v47
.LBB4_1687:                             ;   in Loop: Header=BB4_1423 Depth=2
	s_or_b32 exec_lo, exec_lo, s41
	v_add_f32_e32 v47, v113, v47
	v_and_b32_e32 v113, 0x7f800000, v47
	v_cmp_ne_u32_e32 vcc_lo, 0x7f800000, v113
	v_mov_b32_e32 v113, 0x8000
	s_and_saveexec_b32 s41, vcc_lo
	s_cbranch_execz .LBB4_1695
; %bb.1688:                             ;   in Loop: Header=BB4_1423 Depth=2
	v_mov_b32_e32 v113, 0
	s_mov_b32 s42, exec_lo
	v_cmpx_ne_u32_e32 0, v47
	s_cbranch_execz .LBB4_1694
; %bb.1689:                             ;   in Loop: Header=BB4_1423 Depth=2
	v_bfe_u32 v113, v47, 23, 8
	v_and_b32_e32 v56, 0x7fffff, v47
	v_sub_nc_u32_e32 v57, 0x78, v113
	v_cmp_gt_u32_e32 vcc_lo, 0x79, v113
	v_or_b32_e32 v58, 0x800000, v56
	v_cndmask_b32_e32 v57, 0, v57, vcc_lo
	v_cmp_eq_u32_e32 vcc_lo, 0, v113
	v_add_nc_u32_e32 v113, 0xffffff89, v113
	v_cndmask_b32_e64 v57, v57, 0x77, vcc_lo
	v_cndmask_b32_e32 v56, v58, v56, vcc_lo
	v_cndmask_b32_e64 v113, v113, 0xffffff8a, vcc_lo
	v_lshl_add_u32 v58, 0x100000, v57, -1
	v_lshrrev_b32_e32 v59, v57, v56
	v_lshlrev_b32_e64 v61, v57, 0x80000
	v_add_nc_u32_e32 v57, v57, v113
	v_and_b32_e32 v56, v58, v56
	v_bfe_u32 v60, v59, 20, 1
	v_cmp_eq_u32_e64 s14, v56, v61
	v_add_nc_u32_e32 v58, -1, v60
	v_cndmask_b32_e64 v56, 0, v58, s14
	v_lshrrev_b32_e32 v58, 23, v59
	s_mov_b32 s14, exec_lo
	v_add_nc_u32_e32 v56, v56, v59
	v_xor_b32_e32 v58, 1, v58
	v_and_b32_e32 v113, 0xfffff, v56
	v_add_nc_u32_e32 v56, v113, v59
                                        ; implicit-def: $vgpr113
	v_cmpx_ne_u32_e64 v57, v58
	s_xor_b32 s14, exec_lo, s14
; %bb.1690:                             ;   in Loop: Header=BB4_1423 Depth=2
	v_cmp_lt_u32_e32 vcc_lo, 0xffffff, v56
	v_sub_nc_u32_e32 v113, v57, v58
	v_cndmask_b32_e64 v57, 0, 1, vcc_lo
	v_add_co_ci_u32_e64 v113, null, 0, v113, vcc_lo
	v_lshrrev_b32_e32 v56, v57, v56
; %bb.1691:                             ;   in Loop: Header=BB4_1423 Depth=2
	s_andn2_saveexec_b32 s14, s14
; %bb.1692:                             ;   in Loop: Header=BB4_1423 Depth=2
	v_bfe_u32 v113, v56, 23, 1
; %bb.1693:                             ;   in Loop: Header=BB4_1423 Depth=2
	s_or_b32 exec_lo, exec_lo, s14
	v_lshrrev_b32_e32 v56, 20, v56
	v_min_i32_e32 v57, 15, v113
	v_cmp_gt_i32_e32 vcc_lo, 16, v113
	v_and_b32_sdwa v47, v47, v97 dst_sel:DWORD dst_unused:UNUSED_PAD src0_sel:BYTE_3 src1_sel:DWORD
	v_lshlrev_b32_e32 v57, 3, v57
	v_cndmask_b32_e32 v56, 7, v56, vcc_lo
	v_and_b32_e32 v57, 0xf8, v57
	v_and_b32_e32 v58, 7, v56
	v_or_b32_e32 v113, v113, v56
	v_or3_b32 v47, v47, v57, v58
	v_cmp_ne_u32_e32 vcc_lo, 0, v113
	v_lshlrev_b32_e32 v47, 8, v47
	v_cndmask_b32_e32 v113, 0, v47, vcc_lo
.LBB4_1694:                             ;   in Loop: Header=BB4_1423 Depth=2
	s_or_b32 exec_lo, exec_lo, s42
.LBB4_1695:                             ;   in Loop: Header=BB4_1423 Depth=2
	s_or_b32 exec_lo, exec_lo, s41
	v_or_b32_e32 v45, v45, v118
	s_mov_b32 s14, 0
	v_cmp_gt_i16_sdwa s41, v45, v96 src0_sel:BYTE_0 src1_sel:DWORD
	s_and_saveexec_b32 s42, s41
	s_xor_b32 s41, exec_lo, s42
	s_cbranch_execz .LBB4_2013
; %bb.1696:                             ;   in Loop: Header=BB4_1423 Depth=2
	v_cmp_eq_u16_sdwa s43, v45, v97 src0_sel:BYTE_0 src1_sel:DWORD
	s_mov_b32 s14, -1
	s_and_saveexec_b32 s42, s43
; %bb.1697:                             ;   in Loop: Header=BB4_1423 Depth=2
	s_xor_b32 s14, exec_lo, -1
; %bb.1698:                             ;   in Loop: Header=BB4_1423 Depth=2
	s_or_b32 exec_lo, exec_lo, s42
	s_and_b32 s14, s14, exec_lo
	s_or_saveexec_b32 s41, s41
	v_mov_b32_e32 v118, 0x7f800001
	s_xor_b32 exec_lo, exec_lo, s41
	s_cbranch_execnz .LBB4_2014
.LBB4_1699:                             ;   in Loop: Header=BB4_1423 Depth=2
	s_or_b32 exec_lo, exec_lo, s41
	v_lshl_or_b32 v45, v45, 16, v46
	s_and_saveexec_b32 s41, s14
	s_cbranch_execz .LBB4_1701
.LBB4_1700:                             ;   in Loop: Header=BB4_1423 Depth=2
	v_bfe_u32 v118, v45, 16, 3
	v_bfe_u32 v56, v45, 19, 4
	v_lshlrev_b32_e32 v57, 8, v45
	v_ffbh_u32_e32 v46, v118
	v_cmp_eq_u32_e32 vcc_lo, 0, v56
	v_min_u32_e32 v46, 32, v46
	v_subrev_nc_u32_e32 v47, 28, v46
	v_sub_nc_u32_e32 v46, 29, v46
	v_lshlrev_b32_sdwa v47, v47, v45 dst_sel:DWORD dst_unused:UNUSED_PAD src0_sel:DWORD src1_sel:WORD_1
	v_cndmask_b32_e32 v46, v56, v46, vcc_lo
	v_and_b32_e32 v47, 7, v47
	v_lshl_add_u32 v46, v46, 23, 0x3b800000
	v_cndmask_b32_e32 v118, v118, v47, vcc_lo
	v_and_b32_e32 v47, 0x80000000, v57
	v_lshlrev_b32_e32 v118, 20, v118
	v_or3_b32 v118, v47, v46, v118
.LBB4_1701:                             ;   in Loop: Header=BB4_1423 Depth=2
	s_or_b32 exec_lo, exec_lo, s41
	v_and_b32_sdwa v47, v10, v100 dst_sel:DWORD dst_unused:UNUSED_PAD src0_sel:WORD_1 src1_sel:DWORD
	s_mov_b32 s14, 0
	s_mov_b32 s41, exec_lo
	v_cmpx_lt_i16_e32 0x7f, v47
	s_xor_b32 s41, exec_lo, s41
	s_cbranch_execz .LBB4_2015
; %bb.1702:                             ;   in Loop: Header=BB4_1423 Depth=2
	s_mov_b32 s14, -1
	s_mov_b32 s42, exec_lo
	v_cmpx_eq_u16_e32 0x80, v47
; %bb.1703:                             ;   in Loop: Header=BB4_1423 Depth=2
	s_xor_b32 s14, exec_lo, -1
; %bb.1704:                             ;   in Loop: Header=BB4_1423 Depth=2
	s_or_b32 exec_lo, exec_lo, s42
	s_and_b32 s14, s14, exec_lo
                                        ; implicit-def: $vgpr47
	s_or_saveexec_b32 s41, s41
	v_mov_b32_e32 v46, 0x7f800001
	s_xor_b32 exec_lo, exec_lo, s41
	s_cbranch_execnz .LBB4_2016
.LBB4_1705:                             ;   in Loop: Header=BB4_1423 Depth=2
	s_or_b32 exec_lo, exec_lo, s41
	s_and_saveexec_b32 s41, s14
	s_cbranch_execz .LBB4_1707
.LBB4_1706:                             ;   in Loop: Header=BB4_1423 Depth=2
	v_and_b32_sdwa v46, v10, v101 dst_sel:DWORD dst_unused:UNUSED_PAD src0_sel:WORD_1 src1_sel:DWORD
	v_bfe_u32 v57, v10, 19, 4
	v_lshlrev_b32_sdwa v58, v99, v10 dst_sel:DWORD dst_unused:UNUSED_PAD src0_sel:DWORD src1_sel:WORD_1
	v_ffbh_u32_e32 v47, v46
	v_cmp_eq_u32_e32 vcc_lo, 0, v57
	v_min_u32_e32 v47, 32, v47
	v_subrev_nc_u32_e32 v56, 28, v47
	v_sub_nc_u32_e32 v47, 29, v47
	v_lshlrev_b32_sdwa v56, v56, v10 dst_sel:DWORD dst_unused:UNUSED_PAD src0_sel:DWORD src1_sel:WORD_1
	v_cndmask_b32_e32 v47, v57, v47, vcc_lo
	v_and_b32_e32 v56, 7, v56
	v_lshl_add_u32 v47, v47, 23, 0x3b800000
	v_cndmask_b32_e32 v46, v46, v56, vcc_lo
	v_and_b32_e32 v56, 0x80000000, v58
	v_lshlrev_b32_e32 v46, 20, v46
	v_or3_b32 v46, v56, v47, v46
.LBB4_1707:                             ;   in Loop: Header=BB4_1423 Depth=2
	s_or_b32 exec_lo, exec_lo, s41
	v_add_f32_e32 v46, v118, v46
	v_and_b32_e32 v118, 0x7f800000, v46
	v_cmp_ne_u32_e32 vcc_lo, 0x7f800000, v118
	v_mov_b32_e32 v118, 0x80
	s_and_saveexec_b32 s41, vcc_lo
	s_cbranch_execz .LBB4_1715
; %bb.1708:                             ;   in Loop: Header=BB4_1423 Depth=2
	v_mov_b32_e32 v118, 0
	s_mov_b32 s42, exec_lo
	v_cmpx_ne_u32_e32 0, v46
	s_cbranch_execz .LBB4_1714
; %bb.1709:                             ;   in Loop: Header=BB4_1423 Depth=2
	v_bfe_u32 v118, v46, 23, 8
	v_and_b32_e32 v47, 0x7fffff, v46
	v_sub_nc_u32_e32 v56, 0x78, v118
	v_cmp_gt_u32_e32 vcc_lo, 0x79, v118
	v_or_b32_e32 v57, 0x800000, v47
	v_cndmask_b32_e32 v56, 0, v56, vcc_lo
	v_cmp_eq_u32_e32 vcc_lo, 0, v118
	v_add_nc_u32_e32 v118, 0xffffff89, v118
	v_cndmask_b32_e64 v56, v56, 0x77, vcc_lo
	v_cndmask_b32_e32 v47, v57, v47, vcc_lo
	v_cndmask_b32_e64 v118, v118, 0xffffff8a, vcc_lo
	v_lshl_add_u32 v57, 0x100000, v56, -1
	v_lshrrev_b32_e32 v58, v56, v47
	v_lshlrev_b32_e64 v60, v56, 0x80000
	v_add_nc_u32_e32 v56, v56, v118
	v_and_b32_e32 v47, v57, v47
	v_bfe_u32 v59, v58, 20, 1
	v_cmp_eq_u32_e64 s14, v47, v60
	v_add_nc_u32_e32 v57, -1, v59
	v_cndmask_b32_e64 v47, 0, v57, s14
	v_lshrrev_b32_e32 v57, 23, v58
	s_mov_b32 s14, exec_lo
	v_add_nc_u32_e32 v47, v47, v58
	v_xor_b32_e32 v57, 1, v57
	v_and_b32_e32 v118, 0xfffff, v47
	v_add_nc_u32_e32 v47, v118, v58
                                        ; implicit-def: $vgpr118
	v_cmpx_ne_u32_e64 v56, v57
	s_xor_b32 s14, exec_lo, s14
; %bb.1710:                             ;   in Loop: Header=BB4_1423 Depth=2
	v_cmp_lt_u32_e32 vcc_lo, 0xffffff, v47
	v_sub_nc_u32_e32 v118, v56, v57
	v_cndmask_b32_e64 v56, 0, 1, vcc_lo
	v_add_co_ci_u32_e64 v118, null, 0, v118, vcc_lo
	v_lshrrev_b32_e32 v47, v56, v47
; %bb.1711:                             ;   in Loop: Header=BB4_1423 Depth=2
	s_andn2_saveexec_b32 s14, s14
; %bb.1712:                             ;   in Loop: Header=BB4_1423 Depth=2
	v_bfe_u32 v118, v47, 23, 1
; %bb.1713:                             ;   in Loop: Header=BB4_1423 Depth=2
	s_or_b32 exec_lo, exec_lo, s14
	v_lshrrev_b32_e32 v47, 20, v47
	v_min_i32_e32 v56, 15, v118
	v_cmp_gt_i32_e32 vcc_lo, 16, v118
	v_and_b32_sdwa v46, v46, v97 dst_sel:DWORD dst_unused:UNUSED_PAD src0_sel:BYTE_3 src1_sel:DWORD
	v_lshlrev_b32_e32 v56, 3, v56
	v_cndmask_b32_e32 v47, 7, v47, vcc_lo
	v_and_b32_e32 v56, 0xf8, v56
	v_and_b32_e32 v57, 7, v47
	v_or_b32_e32 v118, v118, v47
	v_or3_b32 v46, v56, v46, v57
	v_cmp_ne_u32_e32 vcc_lo, 0, v118
	v_cndmask_b32_e32 v118, 0, v46, vcc_lo
.LBB4_1714:                             ;   in Loop: Header=BB4_1423 Depth=2
	s_or_b32 exec_lo, exec_lo, s42
.LBB4_1715:                             ;   in Loop: Header=BB4_1423 Depth=2
	s_or_b32 exec_lo, exec_lo, s41
	v_cmp_gt_i16_sdwa s41, v45, v96 src0_sel:BYTE_3 src1_sel:DWORD
	s_mov_b32 s14, 0
	s_and_saveexec_b32 s42, s41
	s_xor_b32 s41, exec_lo, s42
	s_cbranch_execz .LBB4_2017
; %bb.1716:                             ;   in Loop: Header=BB4_1423 Depth=2
	v_cmp_eq_u16_sdwa s43, v45, v97 src0_sel:BYTE_3 src1_sel:DWORD
	s_mov_b32 s14, -1
	s_and_saveexec_b32 s42, s43
; %bb.1717:                             ;   in Loop: Header=BB4_1423 Depth=2
	s_xor_b32 s14, exec_lo, -1
; %bb.1718:                             ;   in Loop: Header=BB4_1423 Depth=2
	s_or_b32 exec_lo, exec_lo, s42
	s_and_b32 s14, s14, exec_lo
	s_or_saveexec_b32 s41, s41
	v_mov_b32_e32 v46, 0x7f800001
	s_xor_b32 exec_lo, exec_lo, s41
	s_cbranch_execnz .LBB4_2018
.LBB4_1719:                             ;   in Loop: Header=BB4_1423 Depth=2
	s_or_b32 exec_lo, exec_lo, s41
	s_and_saveexec_b32 s41, s14
	s_cbranch_execz .LBB4_1721
.LBB4_1720:                             ;   in Loop: Header=BB4_1423 Depth=2
	v_bfe_u32 v46, v45, 24, 3
	v_bfe_u32 v57, v45, 27, 4
	v_ffbh_u32_e32 v47, v46
	v_cmp_eq_u32_e32 vcc_lo, 0, v57
	v_min_u32_e32 v47, 32, v47
	v_subrev_nc_u32_e32 v56, 28, v47
	v_sub_nc_u32_e32 v47, 29, v47
	v_lshlrev_b32_sdwa v56, v56, v45 dst_sel:DWORD dst_unused:UNUSED_PAD src0_sel:DWORD src1_sel:BYTE_3
	v_cndmask_b32_e32 v47, v57, v47, vcc_lo
	v_and_b32_e32 v45, 0x80000000, v45
	v_and_b32_e32 v56, 7, v56
	v_lshl_add_u32 v47, v47, 23, 0x3b800000
	v_cndmask_b32_e32 v46, v46, v56, vcc_lo
	v_lshlrev_b32_e32 v46, 20, v46
	v_or3_b32 v46, v45, v47, v46
.LBB4_1721:                             ;   in Loop: Header=BB4_1423 Depth=2
	s_or_b32 exec_lo, exec_lo, s41
	v_cmp_gt_i16_sdwa s41, v10, v96 src0_sel:BYTE_3 src1_sel:DWORD
	s_mov_b32 s14, 0
	s_and_saveexec_b32 s42, s41
	s_xor_b32 s41, exec_lo, s42
	s_cbranch_execz .LBB4_2019
; %bb.1722:                             ;   in Loop: Header=BB4_1423 Depth=2
	v_cmp_eq_u16_sdwa s43, v10, v97 src0_sel:BYTE_3 src1_sel:DWORD
	s_mov_b32 s14, -1
	s_and_saveexec_b32 s42, s43
; %bb.1723:                             ;   in Loop: Header=BB4_1423 Depth=2
	s_xor_b32 s14, exec_lo, -1
; %bb.1724:                             ;   in Loop: Header=BB4_1423 Depth=2
	s_or_b32 exec_lo, exec_lo, s42
	s_and_b32 s14, s14, exec_lo
	s_or_saveexec_b32 s41, s41
	v_mov_b32_e32 v45, 0x7f800001
	s_xor_b32 exec_lo, exec_lo, s41
	s_cbranch_execnz .LBB4_2020
.LBB4_1725:                             ;   in Loop: Header=BB4_1423 Depth=2
	s_or_b32 exec_lo, exec_lo, s41
	s_and_saveexec_b32 s41, s14
	s_cbranch_execz .LBB4_1727
.LBB4_1726:                             ;   in Loop: Header=BB4_1423 Depth=2
	v_and_b32_sdwa v45, v10, v101 dst_sel:DWORD dst_unused:UNUSED_PAD src0_sel:BYTE_3 src1_sel:DWORD
	v_bfe_u32 v57, v10, 27, 4
	v_ffbh_u32_e32 v47, v45
	v_cmp_eq_u32_e32 vcc_lo, 0, v57
	v_min_u32_e32 v47, 32, v47
	v_subrev_nc_u32_e32 v56, 28, v47
	v_sub_nc_u32_e32 v47, 29, v47
	v_lshlrev_b32_sdwa v56, v56, v10 dst_sel:DWORD dst_unused:UNUSED_PAD src0_sel:DWORD src1_sel:BYTE_3
	v_cndmask_b32_e32 v47, v57, v47, vcc_lo
	v_and_b32_e32 v10, 0x80000000, v10
	v_and_b32_e32 v56, 7, v56
	v_lshl_add_u32 v47, v47, 23, 0x3b800000
	v_cndmask_b32_e32 v45, v45, v56, vcc_lo
	v_lshlrev_b32_e32 v45, 20, v45
	v_or3_b32 v45, v10, v47, v45
.LBB4_1727:                             ;   in Loop: Header=BB4_1423 Depth=2
	s_or_b32 exec_lo, exec_lo, s41
	v_add_f32_e32 v45, v46, v45
	v_and_b32_e32 v10, 0x7f800000, v45
	v_cmp_ne_u32_e32 vcc_lo, 0x7f800000, v10
	v_mov_b32_e32 v10, 0x8000
	s_and_saveexec_b32 s41, vcc_lo
	s_cbranch_execz .LBB4_1735
; %bb.1728:                             ;   in Loop: Header=BB4_1423 Depth=2
	v_mov_b32_e32 v10, 0
	s_mov_b32 s42, exec_lo
	v_cmpx_ne_u32_e32 0, v45
	s_cbranch_execz .LBB4_1734
; %bb.1729:                             ;   in Loop: Header=BB4_1423 Depth=2
	v_bfe_u32 v10, v45, 23, 8
	v_and_b32_e32 v46, 0x7fffff, v45
	v_sub_nc_u32_e32 v47, 0x78, v10
	v_cmp_gt_u32_e32 vcc_lo, 0x79, v10
	v_or_b32_e32 v56, 0x800000, v46
	v_cndmask_b32_e32 v47, 0, v47, vcc_lo
	v_cmp_eq_u32_e32 vcc_lo, 0, v10
	v_add_nc_u32_e32 v10, 0xffffff89, v10
	v_cndmask_b32_e64 v47, v47, 0x77, vcc_lo
	v_cndmask_b32_e32 v46, v56, v46, vcc_lo
	v_cndmask_b32_e64 v10, v10, 0xffffff8a, vcc_lo
	v_lshl_add_u32 v56, 0x100000, v47, -1
	v_lshrrev_b32_e32 v57, v47, v46
	v_lshlrev_b32_e64 v59, v47, 0x80000
	v_add_nc_u32_e32 v47, v47, v10
	v_and_b32_e32 v46, v56, v46
	v_bfe_u32 v58, v57, 20, 1
	v_cmp_eq_u32_e64 s14, v46, v59
	v_add_nc_u32_e32 v56, -1, v58
	v_cndmask_b32_e64 v46, 0, v56, s14
	v_lshrrev_b32_e32 v56, 23, v57
	s_mov_b32 s14, exec_lo
	v_add_nc_u32_e32 v46, v46, v57
	v_xor_b32_e32 v56, 1, v56
	v_and_b32_e32 v10, 0xfffff, v46
	v_add_nc_u32_e32 v46, v10, v57
                                        ; implicit-def: $vgpr10
	v_cmpx_ne_u32_e64 v47, v56
	s_xor_b32 s14, exec_lo, s14
; %bb.1730:                             ;   in Loop: Header=BB4_1423 Depth=2
	v_cmp_lt_u32_e32 vcc_lo, 0xffffff, v46
	v_sub_nc_u32_e32 v10, v47, v56
	v_cndmask_b32_e64 v47, 0, 1, vcc_lo
	v_add_co_ci_u32_e64 v10, null, 0, v10, vcc_lo
	v_lshrrev_b32_e32 v46, v47, v46
; %bb.1731:                             ;   in Loop: Header=BB4_1423 Depth=2
	s_andn2_saveexec_b32 s14, s14
; %bb.1732:                             ;   in Loop: Header=BB4_1423 Depth=2
	v_bfe_u32 v10, v46, 23, 1
; %bb.1733:                             ;   in Loop: Header=BB4_1423 Depth=2
	s_or_b32 exec_lo, exec_lo, s14
	v_lshrrev_b32_e32 v46, 20, v46
	v_min_i32_e32 v47, 15, v10
	v_cmp_gt_i32_e32 vcc_lo, 16, v10
	v_and_b32_sdwa v45, v45, v97 dst_sel:DWORD dst_unused:UNUSED_PAD src0_sel:BYTE_3 src1_sel:DWORD
	v_lshlrev_b32_e32 v47, 3, v47
	v_cndmask_b32_e32 v46, 7, v46, vcc_lo
	v_and_b32_e32 v47, 0xf8, v47
	v_and_b32_e32 v56, 7, v46
	v_or_b32_e32 v10, v10, v46
	v_or3_b32 v45, v45, v47, v56
	v_cmp_ne_u32_e32 vcc_lo, 0, v10
	v_lshlrev_b32_e32 v45, 8, v45
	v_cndmask_b32_e32 v10, 0, v45, vcc_lo
.LBB4_1734:                             ;   in Loop: Header=BB4_1423 Depth=2
	s_or_b32 exec_lo, exec_lo, s42
.LBB4_1735:                             ;   in Loop: Header=BB4_1423 Depth=2
	s_or_b32 exec_lo, exec_lo, s41
	v_or_b32_e32 v45, v44, v42
	s_mov_b32 s14, 0
	v_cmp_gt_i16_sdwa s41, v45, v96 src0_sel:BYTE_0 src1_sel:DWORD
	s_and_saveexec_b32 s42, s41
	s_xor_b32 s41, exec_lo, s42
	s_cbranch_execz .LBB4_2021
; %bb.1736:                             ;   in Loop: Header=BB4_1423 Depth=2
	v_cmp_eq_u16_sdwa s43, v45, v97 src0_sel:BYTE_0 src1_sel:DWORD
	s_mov_b32 s14, -1
	s_and_saveexec_b32 s42, s43
; %bb.1737:                             ;   in Loop: Header=BB4_1423 Depth=2
	s_xor_b32 s14, exec_lo, -1
; %bb.1738:                             ;   in Loop: Header=BB4_1423 Depth=2
	s_or_b32 exec_lo, exec_lo, s42
	s_and_b32 s14, s14, exec_lo
	s_or_saveexec_b32 s41, s41
	v_mov_b32_e32 v42, 0x7f800001
	s_xor_b32 exec_lo, exec_lo, s41
	s_cbranch_execnz .LBB4_2022
.LBB4_1739:                             ;   in Loop: Header=BB4_1423 Depth=2
	s_or_b32 exec_lo, exec_lo, s41
	s_and_saveexec_b32 s41, s14
	s_cbranch_execz .LBB4_1741
.LBB4_1740:                             ;   in Loop: Header=BB4_1423 Depth=2
	v_and_b32_e32 v42, 7, v45
	v_bfe_u32 v47, v45, 3, 4
	v_lshlrev_b32_e32 v56, 24, v45
	v_ffbh_u32_e32 v44, v42
	v_cmp_eq_u32_e32 vcc_lo, 0, v47
	v_min_u32_e32 v44, 32, v44
	v_subrev_nc_u32_e32 v46, 28, v44
	v_sub_nc_u32_e32 v44, 29, v44
	v_lshlrev_b32_e32 v46, v46, v45
	v_cndmask_b32_e32 v44, v47, v44, vcc_lo
	v_and_b32_e32 v46, 7, v46
	v_lshl_add_u32 v44, v44, 23, 0x3b800000
	v_cndmask_b32_e32 v42, v42, v46, vcc_lo
	v_and_b32_e32 v46, 0x80000000, v56
	v_lshlrev_b32_e32 v42, 20, v42
	v_or3_b32 v42, v46, v44, v42
.LBB4_1741:                             ;   in Loop: Header=BB4_1423 Depth=2
	s_or_b32 exec_lo, exec_lo, s41
	v_cmp_gt_i16_sdwa s41, v11, v96 src0_sel:BYTE_0 src1_sel:DWORD
	s_mov_b32 s14, 0
	s_and_saveexec_b32 s42, s41
	s_xor_b32 s41, exec_lo, s42
	s_cbranch_execz .LBB4_2023
; %bb.1742:                             ;   in Loop: Header=BB4_1423 Depth=2
	v_cmp_eq_u16_sdwa s43, v11, v97 src0_sel:BYTE_0 src1_sel:DWORD
	s_mov_b32 s14, -1
	s_and_saveexec_b32 s42, s43
; %bb.1743:                             ;   in Loop: Header=BB4_1423 Depth=2
	s_xor_b32 s14, exec_lo, -1
; %bb.1744:                             ;   in Loop: Header=BB4_1423 Depth=2
	s_or_b32 exec_lo, exec_lo, s42
	s_and_b32 s14, s14, exec_lo
	s_or_saveexec_b32 s41, s41
	v_mov_b32_e32 v44, 0x7f800001
	s_xor_b32 exec_lo, exec_lo, s41
	s_cbranch_execnz .LBB4_2024
.LBB4_1745:                             ;   in Loop: Header=BB4_1423 Depth=2
	s_or_b32 exec_lo, exec_lo, s41
	s_and_saveexec_b32 s41, s14
	s_cbranch_execz .LBB4_1747
.LBB4_1746:                             ;   in Loop: Header=BB4_1423 Depth=2
	v_and_b32_e32 v44, 7, v11
	v_bfe_u32 v56, v11, 3, 4
	v_lshlrev_b32_e32 v57, 24, v11
	v_ffbh_u32_e32 v46, v44
	v_cmp_eq_u32_e32 vcc_lo, 0, v56
	v_min_u32_e32 v46, 32, v46
	v_subrev_nc_u32_e32 v47, 28, v46
	v_sub_nc_u32_e32 v46, 29, v46
	v_lshlrev_b32_e32 v47, v47, v11
	v_cndmask_b32_e32 v46, v56, v46, vcc_lo
	v_and_b32_e32 v47, 7, v47
	v_lshl_add_u32 v46, v46, 23, 0x3b800000
	v_cndmask_b32_e32 v44, v44, v47, vcc_lo
	v_and_b32_e32 v47, 0x80000000, v57
	v_lshlrev_b32_e32 v44, 20, v44
	v_or3_b32 v44, v47, v46, v44
.LBB4_1747:                             ;   in Loop: Header=BB4_1423 Depth=2
	s_or_b32 exec_lo, exec_lo, s41
	v_add_f32_e32 v44, v42, v44
	v_and_b32_e32 v42, 0x7f800000, v44
	v_cmp_ne_u32_e32 vcc_lo, 0x7f800000, v42
	v_mov_b32_e32 v42, 0x80
	s_and_saveexec_b32 s41, vcc_lo
	s_cbranch_execz .LBB4_1755
; %bb.1748:                             ;   in Loop: Header=BB4_1423 Depth=2
	v_mov_b32_e32 v42, 0
	s_mov_b32 s42, exec_lo
	v_cmpx_ne_u32_e32 0, v44
	s_cbranch_execz .LBB4_1754
; %bb.1749:                             ;   in Loop: Header=BB4_1423 Depth=2
	v_bfe_u32 v42, v44, 23, 8
	v_and_b32_e32 v46, 0x7fffff, v44
	v_sub_nc_u32_e32 v47, 0x78, v42
	v_cmp_gt_u32_e32 vcc_lo, 0x79, v42
	v_or_b32_e32 v56, 0x800000, v46
	v_cndmask_b32_e32 v47, 0, v47, vcc_lo
	v_cmp_eq_u32_e32 vcc_lo, 0, v42
	v_add_nc_u32_e32 v42, 0xffffff89, v42
	v_cndmask_b32_e64 v47, v47, 0x77, vcc_lo
	v_cndmask_b32_e32 v46, v56, v46, vcc_lo
	v_cndmask_b32_e64 v42, v42, 0xffffff8a, vcc_lo
	v_lshl_add_u32 v56, 0x100000, v47, -1
	v_lshrrev_b32_e32 v57, v47, v46
	v_lshlrev_b32_e64 v59, v47, 0x80000
	v_add_nc_u32_e32 v47, v47, v42
	v_and_b32_e32 v46, v56, v46
	v_bfe_u32 v58, v57, 20, 1
	v_cmp_eq_u32_e64 s14, v46, v59
	v_add_nc_u32_e32 v56, -1, v58
	v_cndmask_b32_e64 v46, 0, v56, s14
	v_lshrrev_b32_e32 v56, 23, v57
	s_mov_b32 s14, exec_lo
	v_add_nc_u32_e32 v46, v46, v57
	v_xor_b32_e32 v56, 1, v56
	v_and_b32_e32 v42, 0xfffff, v46
	v_add_nc_u32_e32 v46, v42, v57
                                        ; implicit-def: $vgpr42
	v_cmpx_ne_u32_e64 v47, v56
	s_xor_b32 s14, exec_lo, s14
; %bb.1750:                             ;   in Loop: Header=BB4_1423 Depth=2
	v_cmp_lt_u32_e32 vcc_lo, 0xffffff, v46
	v_sub_nc_u32_e32 v42, v47, v56
	v_cndmask_b32_e64 v47, 0, 1, vcc_lo
	v_add_co_ci_u32_e64 v42, null, 0, v42, vcc_lo
	v_lshrrev_b32_e32 v46, v47, v46
; %bb.1751:                             ;   in Loop: Header=BB4_1423 Depth=2
	s_andn2_saveexec_b32 s14, s14
; %bb.1752:                             ;   in Loop: Header=BB4_1423 Depth=2
	v_bfe_u32 v42, v46, 23, 1
; %bb.1753:                             ;   in Loop: Header=BB4_1423 Depth=2
	s_or_b32 exec_lo, exec_lo, s14
	v_lshrrev_b32_e32 v46, 20, v46
	v_min_i32_e32 v47, 15, v42
	v_cmp_gt_i32_e32 vcc_lo, 16, v42
	v_and_b32_sdwa v44, v44, v97 dst_sel:DWORD dst_unused:UNUSED_PAD src0_sel:BYTE_3 src1_sel:DWORD
	v_lshlrev_b32_e32 v47, 3, v47
	v_cndmask_b32_e32 v46, 7, v46, vcc_lo
	v_and_b32_e32 v47, 0xf8, v47
	v_and_b32_e32 v56, 7, v46
	v_or_b32_e32 v42, v42, v46
	v_or3_b32 v44, v47, v44, v56
	v_cmp_ne_u32_e32 vcc_lo, 0, v42
	v_cndmask_b32_e32 v42, 0, v44, vcc_lo
.LBB4_1754:                             ;   in Loop: Header=BB4_1423 Depth=2
	s_or_b32 exec_lo, exec_lo, s42
.LBB4_1755:                             ;   in Loop: Header=BB4_1423 Depth=2
	s_or_b32 exec_lo, exec_lo, s41
	v_cmp_gt_i16_sdwa s41, v45, v96 src0_sel:BYTE_1 src1_sel:DWORD
	s_mov_b32 s14, 0
	s_and_saveexec_b32 s42, s41
	s_xor_b32 s41, exec_lo, s42
	s_cbranch_execz .LBB4_2025
; %bb.1756:                             ;   in Loop: Header=BB4_1423 Depth=2
	v_cmp_eq_u16_sdwa s43, v45, v97 src0_sel:BYTE_1 src1_sel:DWORD
	s_mov_b32 s14, -1
	s_and_saveexec_b32 s42, s43
; %bb.1757:                             ;   in Loop: Header=BB4_1423 Depth=2
	s_xor_b32 s14, exec_lo, -1
; %bb.1758:                             ;   in Loop: Header=BB4_1423 Depth=2
	s_or_b32 exec_lo, exec_lo, s42
	s_and_b32 s14, s14, exec_lo
	s_or_saveexec_b32 s41, s41
	v_mov_b32_e32 v44, 0x7f800001
	s_xor_b32 exec_lo, exec_lo, s41
	s_cbranch_execnz .LBB4_2026
.LBB4_1759:                             ;   in Loop: Header=BB4_1423 Depth=2
	s_or_b32 exec_lo, exec_lo, s41
	s_and_saveexec_b32 s41, s14
	s_cbranch_execz .LBB4_1761
.LBB4_1760:                             ;   in Loop: Header=BB4_1423 Depth=2
	v_and_b32_sdwa v44, v98, v45 dst_sel:DWORD dst_unused:UNUSED_PAD src0_sel:DWORD src1_sel:BYTE_1
	v_and_b32_e32 v46, 7, v44
	v_bfe_u32 v57, v44, 3, 4
	v_ffbh_u32_e32 v47, v46
	v_cmp_eq_u32_e32 vcc_lo, 0, v57
	v_min_u32_e32 v47, 32, v47
	v_subrev_nc_u32_e32 v56, 28, v47
	v_sub_nc_u32_e32 v47, 29, v47
	v_lshlrev_b32_e32 v44, v56, v44
	v_lshlrev_b32_sdwa v56, v99, v45 dst_sel:DWORD dst_unused:UNUSED_PAD src0_sel:DWORD src1_sel:BYTE_1
	v_cndmask_b32_e32 v47, v57, v47, vcc_lo
	v_and_b32_e32 v44, 7, v44
	v_lshl_add_u32 v47, v47, 23, 0x3b800000
	v_cndmask_b32_e32 v44, v46, v44, vcc_lo
	v_and_b32_e32 v46, 0x80000000, v56
	v_lshlrev_b32_e32 v44, 20, v44
	v_or3_b32 v44, v46, v47, v44
.LBB4_1761:                             ;   in Loop: Header=BB4_1423 Depth=2
	s_or_b32 exec_lo, exec_lo, s41
	v_cmp_gt_i16_sdwa s41, v11, v96 src0_sel:BYTE_1 src1_sel:DWORD
	s_mov_b32 s14, 0
	s_and_saveexec_b32 s42, s41
	s_xor_b32 s41, exec_lo, s42
	s_cbranch_execz .LBB4_2027
; %bb.1762:                             ;   in Loop: Header=BB4_1423 Depth=2
	v_cmp_eq_u16_sdwa s43, v11, v97 src0_sel:BYTE_1 src1_sel:DWORD
	s_mov_b32 s14, -1
	s_and_saveexec_b32 s42, s43
; %bb.1763:                             ;   in Loop: Header=BB4_1423 Depth=2
	s_xor_b32 s14, exec_lo, -1
; %bb.1764:                             ;   in Loop: Header=BB4_1423 Depth=2
	s_or_b32 exec_lo, exec_lo, s42
	s_and_b32 s14, s14, exec_lo
	s_or_saveexec_b32 s41, s41
	v_mov_b32_e32 v46, 0x7f800001
	s_xor_b32 exec_lo, exec_lo, s41
	s_cbranch_execnz .LBB4_2028
.LBB4_1765:                             ;   in Loop: Header=BB4_1423 Depth=2
	s_or_b32 exec_lo, exec_lo, s41
	s_and_saveexec_b32 s41, s14
	s_cbranch_execz .LBB4_1767
.LBB4_1766:                             ;   in Loop: Header=BB4_1423 Depth=2
	v_and_b32_sdwa v46, v98, v11 dst_sel:DWORD dst_unused:UNUSED_PAD src0_sel:DWORD src1_sel:BYTE_1
	v_and_b32_e32 v47, 7, v46
	v_bfe_u32 v58, v46, 3, 4
	v_ffbh_u32_e32 v56, v47
	v_cmp_eq_u32_e32 vcc_lo, 0, v58
	v_min_u32_e32 v56, 32, v56
	v_subrev_nc_u32_e32 v57, 28, v56
	v_sub_nc_u32_e32 v56, 29, v56
	v_lshlrev_b32_e32 v46, v57, v46
	v_lshlrev_b32_sdwa v57, v99, v11 dst_sel:DWORD dst_unused:UNUSED_PAD src0_sel:DWORD src1_sel:BYTE_1
	v_cndmask_b32_e32 v56, v58, v56, vcc_lo
	v_and_b32_e32 v46, 7, v46
	v_lshl_add_u32 v56, v56, 23, 0x3b800000
	v_cndmask_b32_e32 v46, v47, v46, vcc_lo
	v_and_b32_e32 v47, 0x80000000, v57
	v_lshlrev_b32_e32 v46, 20, v46
	v_or3_b32 v46, v47, v56, v46
.LBB4_1767:                             ;   in Loop: Header=BB4_1423 Depth=2
	s_or_b32 exec_lo, exec_lo, s41
	v_add_f32_e32 v46, v44, v46
	v_and_b32_e32 v44, 0x7f800000, v46
	v_cmp_ne_u32_e32 vcc_lo, 0x7f800000, v44
	v_mov_b32_e32 v44, 0x8000
	s_and_saveexec_b32 s41, vcc_lo
	s_cbranch_execz .LBB4_1775
; %bb.1768:                             ;   in Loop: Header=BB4_1423 Depth=2
	v_mov_b32_e32 v44, 0
	s_mov_b32 s42, exec_lo
	v_cmpx_ne_u32_e32 0, v46
	s_cbranch_execz .LBB4_1774
; %bb.1769:                             ;   in Loop: Header=BB4_1423 Depth=2
	v_bfe_u32 v44, v46, 23, 8
	v_and_b32_e32 v47, 0x7fffff, v46
	v_sub_nc_u32_e32 v56, 0x78, v44
	v_cmp_gt_u32_e32 vcc_lo, 0x79, v44
	v_or_b32_e32 v57, 0x800000, v47
	v_cndmask_b32_e32 v56, 0, v56, vcc_lo
	v_cmp_eq_u32_e32 vcc_lo, 0, v44
	v_add_nc_u32_e32 v44, 0xffffff89, v44
	v_cndmask_b32_e64 v56, v56, 0x77, vcc_lo
	v_cndmask_b32_e32 v47, v57, v47, vcc_lo
	v_cndmask_b32_e64 v44, v44, 0xffffff8a, vcc_lo
	v_lshl_add_u32 v57, 0x100000, v56, -1
	v_lshrrev_b32_e32 v58, v56, v47
	v_lshlrev_b32_e64 v60, v56, 0x80000
	v_add_nc_u32_e32 v56, v56, v44
	v_and_b32_e32 v47, v57, v47
	v_bfe_u32 v59, v58, 20, 1
	v_cmp_eq_u32_e64 s14, v47, v60
	v_add_nc_u32_e32 v57, -1, v59
	v_cndmask_b32_e64 v47, 0, v57, s14
	v_lshrrev_b32_e32 v57, 23, v58
	s_mov_b32 s14, exec_lo
	v_add_nc_u32_e32 v47, v47, v58
	v_xor_b32_e32 v57, 1, v57
	v_and_b32_e32 v44, 0xfffff, v47
	v_add_nc_u32_e32 v47, v44, v58
                                        ; implicit-def: $vgpr44
	v_cmpx_ne_u32_e64 v56, v57
	s_xor_b32 s14, exec_lo, s14
; %bb.1770:                             ;   in Loop: Header=BB4_1423 Depth=2
	v_cmp_lt_u32_e32 vcc_lo, 0xffffff, v47
	v_sub_nc_u32_e32 v44, v56, v57
	v_cndmask_b32_e64 v56, 0, 1, vcc_lo
	v_add_co_ci_u32_e64 v44, null, 0, v44, vcc_lo
	v_lshrrev_b32_e32 v47, v56, v47
; %bb.1771:                             ;   in Loop: Header=BB4_1423 Depth=2
	s_andn2_saveexec_b32 s14, s14
; %bb.1772:                             ;   in Loop: Header=BB4_1423 Depth=2
	v_bfe_u32 v44, v47, 23, 1
; %bb.1773:                             ;   in Loop: Header=BB4_1423 Depth=2
	s_or_b32 exec_lo, exec_lo, s14
	v_lshrrev_b32_e32 v47, 20, v47
	v_min_i32_e32 v56, 15, v44
	v_cmp_gt_i32_e32 vcc_lo, 16, v44
	v_and_b32_sdwa v46, v46, v97 dst_sel:DWORD dst_unused:UNUSED_PAD src0_sel:BYTE_3 src1_sel:DWORD
	v_lshlrev_b32_e32 v56, 3, v56
	v_cndmask_b32_e32 v47, 7, v47, vcc_lo
	v_and_b32_e32 v56, 0xf8, v56
	v_and_b32_e32 v57, 7, v47
	v_or_b32_e32 v44, v44, v47
	v_or3_b32 v46, v46, v56, v57
	v_cmp_ne_u32_e32 vcc_lo, 0, v44
	v_lshlrev_b32_e32 v46, 8, v46
	v_cndmask_b32_e32 v44, 0, v46, vcc_lo
.LBB4_1774:                             ;   in Loop: Header=BB4_1423 Depth=2
	s_or_b32 exec_lo, exec_lo, s42
.LBB4_1775:                             ;   in Loop: Header=BB4_1423 Depth=2
	s_or_b32 exec_lo, exec_lo, s41
	v_or_b32_e32 v43, v43, v40
	s_mov_b32 s14, 0
	v_cmp_gt_i16_sdwa s41, v43, v96 src0_sel:BYTE_0 src1_sel:DWORD
	s_and_saveexec_b32 s42, s41
	s_xor_b32 s41, exec_lo, s42
	s_cbranch_execz .LBB4_2029
; %bb.1776:                             ;   in Loop: Header=BB4_1423 Depth=2
	v_cmp_eq_u16_sdwa s43, v43, v97 src0_sel:BYTE_0 src1_sel:DWORD
	s_mov_b32 s14, -1
	s_and_saveexec_b32 s42, s43
; %bb.1777:                             ;   in Loop: Header=BB4_1423 Depth=2
	s_xor_b32 s14, exec_lo, -1
; %bb.1778:                             ;   in Loop: Header=BB4_1423 Depth=2
	s_or_b32 exec_lo, exec_lo, s42
	s_and_b32 s14, s14, exec_lo
	s_or_saveexec_b32 s41, s41
	v_mov_b32_e32 v40, 0x7f800001
	s_xor_b32 exec_lo, exec_lo, s41
	s_cbranch_execnz .LBB4_2030
.LBB4_1779:                             ;   in Loop: Header=BB4_1423 Depth=2
	s_or_b32 exec_lo, exec_lo, s41
	v_lshl_or_b32 v43, v43, 16, v45
	s_and_saveexec_b32 s41, s14
	s_cbranch_execz .LBB4_1781
.LBB4_1780:                             ;   in Loop: Header=BB4_1423 Depth=2
	v_bfe_u32 v40, v43, 16, 3
	v_bfe_u32 v47, v43, 19, 4
	v_lshlrev_b32_e32 v56, 8, v43
	v_ffbh_u32_e32 v45, v40
	v_cmp_eq_u32_e32 vcc_lo, 0, v47
	v_min_u32_e32 v45, 32, v45
	v_subrev_nc_u32_e32 v46, 28, v45
	v_sub_nc_u32_e32 v45, 29, v45
	v_lshlrev_b32_sdwa v46, v46, v43 dst_sel:DWORD dst_unused:UNUSED_PAD src0_sel:DWORD src1_sel:WORD_1
	v_cndmask_b32_e32 v45, v47, v45, vcc_lo
	v_and_b32_e32 v46, 7, v46
	v_lshl_add_u32 v45, v45, 23, 0x3b800000
	v_cndmask_b32_e32 v40, v40, v46, vcc_lo
	v_and_b32_e32 v46, 0x80000000, v56
	v_lshlrev_b32_e32 v40, 20, v40
	v_or3_b32 v40, v46, v45, v40
.LBB4_1781:                             ;   in Loop: Header=BB4_1423 Depth=2
	s_or_b32 exec_lo, exec_lo, s41
	v_and_b32_sdwa v46, v11, v100 dst_sel:DWORD dst_unused:UNUSED_PAD src0_sel:WORD_1 src1_sel:DWORD
	s_mov_b32 s14, 0
	s_mov_b32 s41, exec_lo
	v_cmpx_lt_i16_e32 0x7f, v46
	s_xor_b32 s41, exec_lo, s41
	s_cbranch_execz .LBB4_2031
; %bb.1782:                             ;   in Loop: Header=BB4_1423 Depth=2
	s_mov_b32 s14, -1
	s_mov_b32 s42, exec_lo
	v_cmpx_eq_u16_e32 0x80, v46
; %bb.1783:                             ;   in Loop: Header=BB4_1423 Depth=2
	s_xor_b32 s14, exec_lo, -1
; %bb.1784:                             ;   in Loop: Header=BB4_1423 Depth=2
	s_or_b32 exec_lo, exec_lo, s42
	s_and_b32 s14, s14, exec_lo
                                        ; implicit-def: $vgpr46
	s_or_saveexec_b32 s41, s41
	v_mov_b32_e32 v45, 0x7f800001
	s_xor_b32 exec_lo, exec_lo, s41
	s_cbranch_execnz .LBB4_2032
.LBB4_1785:                             ;   in Loop: Header=BB4_1423 Depth=2
	s_or_b32 exec_lo, exec_lo, s41
	s_and_saveexec_b32 s41, s14
	s_cbranch_execz .LBB4_1787
.LBB4_1786:                             ;   in Loop: Header=BB4_1423 Depth=2
	v_and_b32_sdwa v45, v11, v101 dst_sel:DWORD dst_unused:UNUSED_PAD src0_sel:WORD_1 src1_sel:DWORD
	v_bfe_u32 v56, v11, 19, 4
	v_lshlrev_b32_sdwa v57, v99, v11 dst_sel:DWORD dst_unused:UNUSED_PAD src0_sel:DWORD src1_sel:WORD_1
	v_ffbh_u32_e32 v46, v45
	v_cmp_eq_u32_e32 vcc_lo, 0, v56
	v_min_u32_e32 v46, 32, v46
	v_subrev_nc_u32_e32 v47, 28, v46
	v_sub_nc_u32_e32 v46, 29, v46
	v_lshlrev_b32_sdwa v47, v47, v11 dst_sel:DWORD dst_unused:UNUSED_PAD src0_sel:DWORD src1_sel:WORD_1
	v_cndmask_b32_e32 v46, v56, v46, vcc_lo
	v_and_b32_e32 v47, 7, v47
	v_lshl_add_u32 v46, v46, 23, 0x3b800000
	v_cndmask_b32_e32 v45, v45, v47, vcc_lo
	v_and_b32_e32 v47, 0x80000000, v57
	v_lshlrev_b32_e32 v45, 20, v45
	v_or3_b32 v45, v47, v46, v45
.LBB4_1787:                             ;   in Loop: Header=BB4_1423 Depth=2
	s_or_b32 exec_lo, exec_lo, s41
	v_add_f32_e32 v45, v40, v45
	v_and_b32_e32 v40, 0x7f800000, v45
	v_cmp_ne_u32_e32 vcc_lo, 0x7f800000, v40
	v_mov_b32_e32 v40, 0x80
	s_and_saveexec_b32 s41, vcc_lo
	s_cbranch_execz .LBB4_1795
; %bb.1788:                             ;   in Loop: Header=BB4_1423 Depth=2
	v_mov_b32_e32 v40, 0
	s_mov_b32 s42, exec_lo
	v_cmpx_ne_u32_e32 0, v45
	s_cbranch_execz .LBB4_1794
; %bb.1789:                             ;   in Loop: Header=BB4_1423 Depth=2
	v_bfe_u32 v40, v45, 23, 8
	v_and_b32_e32 v46, 0x7fffff, v45
	v_sub_nc_u32_e32 v47, 0x78, v40
	v_cmp_gt_u32_e32 vcc_lo, 0x79, v40
	v_or_b32_e32 v56, 0x800000, v46
	v_cndmask_b32_e32 v47, 0, v47, vcc_lo
	v_cmp_eq_u32_e32 vcc_lo, 0, v40
	v_add_nc_u32_e32 v40, 0xffffff89, v40
	v_cndmask_b32_e64 v47, v47, 0x77, vcc_lo
	v_cndmask_b32_e32 v46, v56, v46, vcc_lo
	v_cndmask_b32_e64 v40, v40, 0xffffff8a, vcc_lo
	v_lshl_add_u32 v56, 0x100000, v47, -1
	v_lshrrev_b32_e32 v57, v47, v46
	v_lshlrev_b32_e64 v59, v47, 0x80000
	v_add_nc_u32_e32 v47, v47, v40
	v_and_b32_e32 v46, v56, v46
	v_bfe_u32 v58, v57, 20, 1
	v_cmp_eq_u32_e64 s14, v46, v59
	v_add_nc_u32_e32 v56, -1, v58
	v_cndmask_b32_e64 v46, 0, v56, s14
	v_lshrrev_b32_e32 v56, 23, v57
	s_mov_b32 s14, exec_lo
	v_add_nc_u32_e32 v46, v46, v57
	v_xor_b32_e32 v56, 1, v56
	v_and_b32_e32 v40, 0xfffff, v46
	v_add_nc_u32_e32 v46, v40, v57
                                        ; implicit-def: $vgpr40
	v_cmpx_ne_u32_e64 v47, v56
	s_xor_b32 s14, exec_lo, s14
; %bb.1790:                             ;   in Loop: Header=BB4_1423 Depth=2
	v_cmp_lt_u32_e32 vcc_lo, 0xffffff, v46
	v_sub_nc_u32_e32 v40, v47, v56
	v_cndmask_b32_e64 v47, 0, 1, vcc_lo
	v_add_co_ci_u32_e64 v40, null, 0, v40, vcc_lo
	v_lshrrev_b32_e32 v46, v47, v46
; %bb.1791:                             ;   in Loop: Header=BB4_1423 Depth=2
	s_andn2_saveexec_b32 s14, s14
; %bb.1792:                             ;   in Loop: Header=BB4_1423 Depth=2
	v_bfe_u32 v40, v46, 23, 1
; %bb.1793:                             ;   in Loop: Header=BB4_1423 Depth=2
	s_or_b32 exec_lo, exec_lo, s14
	v_lshrrev_b32_e32 v46, 20, v46
	v_min_i32_e32 v47, 15, v40
	v_cmp_gt_i32_e32 vcc_lo, 16, v40
	v_and_b32_sdwa v45, v45, v97 dst_sel:DWORD dst_unused:UNUSED_PAD src0_sel:BYTE_3 src1_sel:DWORD
	v_lshlrev_b32_e32 v47, 3, v47
	v_cndmask_b32_e32 v46, 7, v46, vcc_lo
	v_and_b32_e32 v47, 0xf8, v47
	v_and_b32_e32 v56, 7, v46
	v_or_b32_e32 v40, v40, v46
	v_or3_b32 v45, v47, v45, v56
	v_cmp_ne_u32_e32 vcc_lo, 0, v40
	v_cndmask_b32_e32 v40, 0, v45, vcc_lo
.LBB4_1794:                             ;   in Loop: Header=BB4_1423 Depth=2
	s_or_b32 exec_lo, exec_lo, s42
.LBB4_1795:                             ;   in Loop: Header=BB4_1423 Depth=2
	s_or_b32 exec_lo, exec_lo, s41
	v_cmp_gt_i16_sdwa s41, v43, v96 src0_sel:BYTE_3 src1_sel:DWORD
	s_mov_b32 s14, 0
	s_and_saveexec_b32 s42, s41
	s_xor_b32 s41, exec_lo, s42
	s_cbranch_execz .LBB4_2033
; %bb.1796:                             ;   in Loop: Header=BB4_1423 Depth=2
	v_cmp_eq_u16_sdwa s43, v43, v97 src0_sel:BYTE_3 src1_sel:DWORD
	s_mov_b32 s14, -1
	s_and_saveexec_b32 s42, s43
; %bb.1797:                             ;   in Loop: Header=BB4_1423 Depth=2
	s_xor_b32 s14, exec_lo, -1
; %bb.1798:                             ;   in Loop: Header=BB4_1423 Depth=2
	s_or_b32 exec_lo, exec_lo, s42
	s_and_b32 s14, s14, exec_lo
	s_or_saveexec_b32 s41, s41
	v_mov_b32_e32 v45, 0x7f800001
	s_xor_b32 exec_lo, exec_lo, s41
	s_cbranch_execnz .LBB4_2034
.LBB4_1799:                             ;   in Loop: Header=BB4_1423 Depth=2
	s_or_b32 exec_lo, exec_lo, s41
	s_and_saveexec_b32 s41, s14
	s_cbranch_execz .LBB4_1801
.LBB4_1800:                             ;   in Loop: Header=BB4_1423 Depth=2
	v_bfe_u32 v45, v43, 24, 3
	v_bfe_u32 v56, v43, 27, 4
	v_ffbh_u32_e32 v46, v45
	v_cmp_eq_u32_e32 vcc_lo, 0, v56
	v_min_u32_e32 v46, 32, v46
	v_subrev_nc_u32_e32 v47, 28, v46
	v_sub_nc_u32_e32 v46, 29, v46
	v_lshlrev_b32_sdwa v47, v47, v43 dst_sel:DWORD dst_unused:UNUSED_PAD src0_sel:DWORD src1_sel:BYTE_3
	v_cndmask_b32_e32 v46, v56, v46, vcc_lo
	v_and_b32_e32 v43, 0x80000000, v43
	v_and_b32_e32 v47, 7, v47
	v_lshl_add_u32 v46, v46, 23, 0x3b800000
	v_cndmask_b32_e32 v45, v45, v47, vcc_lo
	v_lshlrev_b32_e32 v45, 20, v45
	v_or3_b32 v45, v43, v46, v45
.LBB4_1801:                             ;   in Loop: Header=BB4_1423 Depth=2
	s_or_b32 exec_lo, exec_lo, s41
	v_cmp_gt_i16_sdwa s41, v11, v96 src0_sel:BYTE_3 src1_sel:DWORD
	s_mov_b32 s14, 0
	s_and_saveexec_b32 s42, s41
	s_xor_b32 s41, exec_lo, s42
	s_cbranch_execz .LBB4_2035
; %bb.1802:                             ;   in Loop: Header=BB4_1423 Depth=2
	v_cmp_eq_u16_sdwa s43, v11, v97 src0_sel:BYTE_3 src1_sel:DWORD
	s_mov_b32 s14, -1
	s_and_saveexec_b32 s42, s43
; %bb.1803:                             ;   in Loop: Header=BB4_1423 Depth=2
	s_xor_b32 s14, exec_lo, -1
; %bb.1804:                             ;   in Loop: Header=BB4_1423 Depth=2
	s_or_b32 exec_lo, exec_lo, s42
	s_and_b32 s14, s14, exec_lo
	s_or_saveexec_b32 s41, s41
	v_mov_b32_e32 v43, 0x7f800001
	s_xor_b32 exec_lo, exec_lo, s41
	s_cbranch_execnz .LBB4_2036
.LBB4_1805:                             ;   in Loop: Header=BB4_1423 Depth=2
	s_or_b32 exec_lo, exec_lo, s41
	s_and_saveexec_b32 s41, s14
	s_cbranch_execz .LBB4_1807
.LBB4_1806:                             ;   in Loop: Header=BB4_1423 Depth=2
	v_and_b32_sdwa v43, v11, v101 dst_sel:DWORD dst_unused:UNUSED_PAD src0_sel:BYTE_3 src1_sel:DWORD
	v_bfe_u32 v56, v11, 27, 4
	v_ffbh_u32_e32 v46, v43
	v_cmp_eq_u32_e32 vcc_lo, 0, v56
	v_min_u32_e32 v46, 32, v46
	v_subrev_nc_u32_e32 v47, 28, v46
	v_sub_nc_u32_e32 v46, 29, v46
	v_lshlrev_b32_sdwa v47, v47, v11 dst_sel:DWORD dst_unused:UNUSED_PAD src0_sel:DWORD src1_sel:BYTE_3
	v_cndmask_b32_e32 v46, v56, v46, vcc_lo
	v_and_b32_e32 v11, 0x80000000, v11
	v_and_b32_e32 v47, 7, v47
	v_lshl_add_u32 v46, v46, 23, 0x3b800000
	v_cndmask_b32_e32 v43, v43, v47, vcc_lo
	v_lshlrev_b32_e32 v43, 20, v43
	v_or3_b32 v43, v11, v46, v43
.LBB4_1807:                             ;   in Loop: Header=BB4_1423 Depth=2
	s_or_b32 exec_lo, exec_lo, s41
	v_add_f32_e32 v43, v45, v43
	v_and_b32_e32 v11, 0x7f800000, v43
	v_cmp_ne_u32_e32 vcc_lo, 0x7f800000, v11
	v_mov_b32_e32 v11, 0x8000
	s_and_saveexec_b32 s41, vcc_lo
	s_cbranch_execz .LBB4_1815
; %bb.1808:                             ;   in Loop: Header=BB4_1423 Depth=2
	v_mov_b32_e32 v11, 0
	s_mov_b32 s42, exec_lo
	v_cmpx_ne_u32_e32 0, v43
	s_cbranch_execz .LBB4_1814
; %bb.1809:                             ;   in Loop: Header=BB4_1423 Depth=2
	v_bfe_u32 v11, v43, 23, 8
	v_and_b32_e32 v45, 0x7fffff, v43
	v_sub_nc_u32_e32 v46, 0x78, v11
	v_cmp_gt_u32_e32 vcc_lo, 0x79, v11
	v_or_b32_e32 v47, 0x800000, v45
	v_cndmask_b32_e32 v46, 0, v46, vcc_lo
	v_cmp_eq_u32_e32 vcc_lo, 0, v11
	v_add_nc_u32_e32 v11, 0xffffff89, v11
	v_cndmask_b32_e64 v46, v46, 0x77, vcc_lo
	v_cndmask_b32_e32 v45, v47, v45, vcc_lo
	v_cndmask_b32_e64 v11, v11, 0xffffff8a, vcc_lo
	v_lshl_add_u32 v47, 0x100000, v46, -1
	v_lshrrev_b32_e32 v56, v46, v45
	v_lshlrev_b32_e64 v58, v46, 0x80000
	v_add_nc_u32_e32 v46, v46, v11
	v_and_b32_e32 v45, v47, v45
	v_bfe_u32 v57, v56, 20, 1
	v_cmp_eq_u32_e64 s14, v45, v58
	v_add_nc_u32_e32 v47, -1, v57
	v_cndmask_b32_e64 v45, 0, v47, s14
	v_lshrrev_b32_e32 v47, 23, v56
	s_mov_b32 s14, exec_lo
	v_add_nc_u32_e32 v45, v45, v56
	v_xor_b32_e32 v47, 1, v47
	v_and_b32_e32 v11, 0xfffff, v45
	v_add_nc_u32_e32 v45, v11, v56
                                        ; implicit-def: $vgpr11
	v_cmpx_ne_u32_e64 v46, v47
	s_xor_b32 s14, exec_lo, s14
; %bb.1810:                             ;   in Loop: Header=BB4_1423 Depth=2
	v_cmp_lt_u32_e32 vcc_lo, 0xffffff, v45
	v_sub_nc_u32_e32 v11, v46, v47
	v_cndmask_b32_e64 v46, 0, 1, vcc_lo
	v_add_co_ci_u32_e64 v11, null, 0, v11, vcc_lo
	v_lshrrev_b32_e32 v45, v46, v45
; %bb.1811:                             ;   in Loop: Header=BB4_1423 Depth=2
	s_andn2_saveexec_b32 s14, s14
; %bb.1812:                             ;   in Loop: Header=BB4_1423 Depth=2
	v_bfe_u32 v11, v45, 23, 1
; %bb.1813:                             ;   in Loop: Header=BB4_1423 Depth=2
	s_or_b32 exec_lo, exec_lo, s14
	v_lshrrev_b32_e32 v45, 20, v45
	v_min_i32_e32 v46, 15, v11
	v_cmp_gt_i32_e32 vcc_lo, 16, v11
	v_and_b32_sdwa v43, v43, v97 dst_sel:DWORD dst_unused:UNUSED_PAD src0_sel:BYTE_3 src1_sel:DWORD
	v_lshlrev_b32_e32 v46, 3, v46
	v_cndmask_b32_e32 v45, 7, v45, vcc_lo
	v_and_b32_e32 v46, 0xf8, v46
	v_and_b32_e32 v47, 7, v45
	v_or_b32_e32 v11, v11, v45
	v_or3_b32 v43, v43, v46, v47
	v_cmp_ne_u32_e32 vcc_lo, 0, v11
	v_lshlrev_b32_e32 v43, 8, v43
	v_cndmask_b32_e32 v11, 0, v43, vcc_lo
.LBB4_1814:                             ;   in Loop: Header=BB4_1423 Depth=2
	s_or_b32 exec_lo, exec_lo, s42
.LBB4_1815:                             ;   in Loop: Header=BB4_1423 Depth=2
	s_or_b32 exec_lo, exec_lo, s41
	v_or_b32_e32 v43, v41, v117
	s_mov_b32 s14, 0
	v_cmp_gt_i16_sdwa s41, v43, v96 src0_sel:BYTE_0 src1_sel:DWORD
	s_and_saveexec_b32 s42, s41
	s_xor_b32 s41, exec_lo, s42
	s_cbranch_execz .LBB4_2037
; %bb.1816:                             ;   in Loop: Header=BB4_1423 Depth=2
	v_cmp_eq_u16_sdwa s43, v43, v97 src0_sel:BYTE_0 src1_sel:DWORD
	s_mov_b32 s14, -1
	s_and_saveexec_b32 s42, s43
; %bb.1817:                             ;   in Loop: Header=BB4_1423 Depth=2
	s_xor_b32 s14, exec_lo, -1
; %bb.1818:                             ;   in Loop: Header=BB4_1423 Depth=2
	s_or_b32 exec_lo, exec_lo, s42
	s_and_b32 s14, s14, exec_lo
	s_or_saveexec_b32 s41, s41
	v_mov_b32_e32 v117, 0x7f800001
	s_xor_b32 exec_lo, exec_lo, s41
	s_cbranch_execnz .LBB4_2038
.LBB4_1819:                             ;   in Loop: Header=BB4_1423 Depth=2
	s_or_b32 exec_lo, exec_lo, s41
	s_and_saveexec_b32 s41, s14
	s_cbranch_execz .LBB4_1821
.LBB4_1820:                             ;   in Loop: Header=BB4_1423 Depth=2
	v_and_b32_e32 v117, 7, v43
	v_bfe_u32 v46, v43, 3, 4
	v_lshlrev_b32_e32 v47, 24, v43
	v_ffbh_u32_e32 v41, v117
	v_cmp_eq_u32_e32 vcc_lo, 0, v46
	v_min_u32_e32 v41, 32, v41
	v_subrev_nc_u32_e32 v45, 28, v41
	v_sub_nc_u32_e32 v41, 29, v41
	v_lshlrev_b32_e32 v45, v45, v43
	v_cndmask_b32_e32 v41, v46, v41, vcc_lo
	v_and_b32_e32 v45, 7, v45
	v_lshl_add_u32 v41, v41, 23, 0x3b800000
	v_cndmask_b32_e32 v117, v117, v45, vcc_lo
	v_and_b32_e32 v45, 0x80000000, v47
	v_lshlrev_b32_e32 v117, 20, v117
	v_or3_b32 v117, v45, v41, v117
.LBB4_1821:                             ;   in Loop: Header=BB4_1423 Depth=2
	s_or_b32 exec_lo, exec_lo, s41
	v_cmp_gt_i16_sdwa s41, v12, v96 src0_sel:BYTE_0 src1_sel:DWORD
	s_mov_b32 s14, 0
	s_and_saveexec_b32 s42, s41
	s_xor_b32 s41, exec_lo, s42
	s_cbranch_execz .LBB4_2039
; %bb.1822:                             ;   in Loop: Header=BB4_1423 Depth=2
	v_cmp_eq_u16_sdwa s43, v12, v97 src0_sel:BYTE_0 src1_sel:DWORD
	s_mov_b32 s14, -1
	s_and_saveexec_b32 s42, s43
; %bb.1823:                             ;   in Loop: Header=BB4_1423 Depth=2
	s_xor_b32 s14, exec_lo, -1
; %bb.1824:                             ;   in Loop: Header=BB4_1423 Depth=2
	s_or_b32 exec_lo, exec_lo, s42
	s_and_b32 s14, s14, exec_lo
	s_or_saveexec_b32 s41, s41
	v_mov_b32_e32 v41, 0x7f800001
	s_xor_b32 exec_lo, exec_lo, s41
	s_cbranch_execnz .LBB4_2040
.LBB4_1825:                             ;   in Loop: Header=BB4_1423 Depth=2
	s_or_b32 exec_lo, exec_lo, s41
	s_and_saveexec_b32 s41, s14
	s_cbranch_execz .LBB4_1827
.LBB4_1826:                             ;   in Loop: Header=BB4_1423 Depth=2
	v_and_b32_e32 v41, 7, v12
	v_bfe_u32 v47, v12, 3, 4
	v_lshlrev_b32_e32 v56, 24, v12
	v_ffbh_u32_e32 v45, v41
	v_cmp_eq_u32_e32 vcc_lo, 0, v47
	v_min_u32_e32 v45, 32, v45
	v_subrev_nc_u32_e32 v46, 28, v45
	v_sub_nc_u32_e32 v45, 29, v45
	v_lshlrev_b32_e32 v46, v46, v12
	v_cndmask_b32_e32 v45, v47, v45, vcc_lo
	v_and_b32_e32 v46, 7, v46
	v_lshl_add_u32 v45, v45, 23, 0x3b800000
	v_cndmask_b32_e32 v41, v41, v46, vcc_lo
	v_and_b32_e32 v46, 0x80000000, v56
	v_lshlrev_b32_e32 v41, 20, v41
	v_or3_b32 v41, v46, v45, v41
.LBB4_1827:                             ;   in Loop: Header=BB4_1423 Depth=2
	s_or_b32 exec_lo, exec_lo, s41
	v_add_f32_e32 v41, v117, v41
	v_and_b32_e32 v117, 0x7f800000, v41
	v_cmp_ne_u32_e32 vcc_lo, 0x7f800000, v117
	v_mov_b32_e32 v117, 0x80
	s_and_saveexec_b32 s41, vcc_lo
	s_cbranch_execz .LBB4_1835
; %bb.1828:                             ;   in Loop: Header=BB4_1423 Depth=2
	v_mov_b32_e32 v117, 0
	s_mov_b32 s42, exec_lo
	v_cmpx_ne_u32_e32 0, v41
	s_cbranch_execz .LBB4_1834
; %bb.1829:                             ;   in Loop: Header=BB4_1423 Depth=2
	v_bfe_u32 v117, v41, 23, 8
	v_and_b32_e32 v45, 0x7fffff, v41
	v_sub_nc_u32_e32 v46, 0x78, v117
	v_cmp_gt_u32_e32 vcc_lo, 0x79, v117
	v_or_b32_e32 v47, 0x800000, v45
	v_cndmask_b32_e32 v46, 0, v46, vcc_lo
	v_cmp_eq_u32_e32 vcc_lo, 0, v117
	v_add_nc_u32_e32 v117, 0xffffff89, v117
	v_cndmask_b32_e64 v46, v46, 0x77, vcc_lo
	v_cndmask_b32_e32 v45, v47, v45, vcc_lo
	v_cndmask_b32_e64 v117, v117, 0xffffff8a, vcc_lo
	v_lshl_add_u32 v47, 0x100000, v46, -1
	v_lshrrev_b32_e32 v56, v46, v45
	v_lshlrev_b32_e64 v58, v46, 0x80000
	v_add_nc_u32_e32 v46, v46, v117
	v_and_b32_e32 v45, v47, v45
	v_bfe_u32 v57, v56, 20, 1
	v_cmp_eq_u32_e64 s14, v45, v58
	v_add_nc_u32_e32 v47, -1, v57
	v_cndmask_b32_e64 v45, 0, v47, s14
	v_lshrrev_b32_e32 v47, 23, v56
	s_mov_b32 s14, exec_lo
	v_add_nc_u32_e32 v45, v45, v56
	v_xor_b32_e32 v47, 1, v47
	v_and_b32_e32 v117, 0xfffff, v45
	v_add_nc_u32_e32 v45, v117, v56
                                        ; implicit-def: $vgpr117
	v_cmpx_ne_u32_e64 v46, v47
	s_xor_b32 s14, exec_lo, s14
; %bb.1830:                             ;   in Loop: Header=BB4_1423 Depth=2
	v_cmp_lt_u32_e32 vcc_lo, 0xffffff, v45
	v_sub_nc_u32_e32 v117, v46, v47
	v_cndmask_b32_e64 v46, 0, 1, vcc_lo
	v_add_co_ci_u32_e64 v117, null, 0, v117, vcc_lo
	v_lshrrev_b32_e32 v45, v46, v45
; %bb.1831:                             ;   in Loop: Header=BB4_1423 Depth=2
	s_andn2_saveexec_b32 s14, s14
; %bb.1832:                             ;   in Loop: Header=BB4_1423 Depth=2
	v_bfe_u32 v117, v45, 23, 1
; %bb.1833:                             ;   in Loop: Header=BB4_1423 Depth=2
	s_or_b32 exec_lo, exec_lo, s14
	v_lshrrev_b32_e32 v45, 20, v45
	v_min_i32_e32 v46, 15, v117
	v_cmp_gt_i32_e32 vcc_lo, 16, v117
	v_and_b32_sdwa v41, v41, v97 dst_sel:DWORD dst_unused:UNUSED_PAD src0_sel:BYTE_3 src1_sel:DWORD
	v_lshlrev_b32_e32 v46, 3, v46
	v_cndmask_b32_e32 v45, 7, v45, vcc_lo
	v_and_b32_e32 v46, 0xf8, v46
	v_and_b32_e32 v47, 7, v45
	v_or_b32_e32 v117, v117, v45
	v_or3_b32 v41, v46, v41, v47
	v_cmp_ne_u32_e32 vcc_lo, 0, v117
	v_cndmask_b32_e32 v117, 0, v41, vcc_lo
.LBB4_1834:                             ;   in Loop: Header=BB4_1423 Depth=2
	s_or_b32 exec_lo, exec_lo, s42
.LBB4_1835:                             ;   in Loop: Header=BB4_1423 Depth=2
	s_or_b32 exec_lo, exec_lo, s41
	v_cmp_gt_i16_sdwa s41, v43, v96 src0_sel:BYTE_1 src1_sel:DWORD
	s_mov_b32 s14, 0
	s_and_saveexec_b32 s42, s41
	s_xor_b32 s41, exec_lo, s42
	s_cbranch_execz .LBB4_2041
; %bb.1836:                             ;   in Loop: Header=BB4_1423 Depth=2
	v_cmp_eq_u16_sdwa s43, v43, v97 src0_sel:BYTE_1 src1_sel:DWORD
	s_mov_b32 s14, -1
	s_and_saveexec_b32 s42, s43
; %bb.1837:                             ;   in Loop: Header=BB4_1423 Depth=2
	s_xor_b32 s14, exec_lo, -1
; %bb.1838:                             ;   in Loop: Header=BB4_1423 Depth=2
	s_or_b32 exec_lo, exec_lo, s42
	s_and_b32 s14, s14, exec_lo
	s_or_saveexec_b32 s41, s41
	v_mov_b32_e32 v41, 0x7f800001
	s_xor_b32 exec_lo, exec_lo, s41
	s_cbranch_execnz .LBB4_2042
.LBB4_1839:                             ;   in Loop: Header=BB4_1423 Depth=2
	s_or_b32 exec_lo, exec_lo, s41
	s_and_saveexec_b32 s41, s14
	s_cbranch_execz .LBB4_1841
.LBB4_1840:                             ;   in Loop: Header=BB4_1423 Depth=2
	v_and_b32_sdwa v41, v98, v43 dst_sel:DWORD dst_unused:UNUSED_PAD src0_sel:DWORD src1_sel:BYTE_1
	v_and_b32_e32 v45, 7, v41
	v_bfe_u32 v56, v41, 3, 4
	v_ffbh_u32_e32 v46, v45
	v_cmp_eq_u32_e32 vcc_lo, 0, v56
	v_min_u32_e32 v46, 32, v46
	v_subrev_nc_u32_e32 v47, 28, v46
	v_sub_nc_u32_e32 v46, 29, v46
	v_lshlrev_b32_e32 v41, v47, v41
	v_lshlrev_b32_sdwa v47, v99, v43 dst_sel:DWORD dst_unused:UNUSED_PAD src0_sel:DWORD src1_sel:BYTE_1
	v_cndmask_b32_e32 v46, v56, v46, vcc_lo
	v_and_b32_e32 v41, 7, v41
	v_lshl_add_u32 v46, v46, 23, 0x3b800000
	v_cndmask_b32_e32 v41, v45, v41, vcc_lo
	v_and_b32_e32 v45, 0x80000000, v47
	v_lshlrev_b32_e32 v41, 20, v41
	v_or3_b32 v41, v45, v46, v41
.LBB4_1841:                             ;   in Loop: Header=BB4_1423 Depth=2
	s_or_b32 exec_lo, exec_lo, s41
	v_cmp_gt_i16_sdwa s41, v12, v96 src0_sel:BYTE_1 src1_sel:DWORD
	s_mov_b32 s14, 0
	s_and_saveexec_b32 s42, s41
	s_xor_b32 s41, exec_lo, s42
	s_cbranch_execz .LBB4_2043
; %bb.1842:                             ;   in Loop: Header=BB4_1423 Depth=2
	v_cmp_eq_u16_sdwa s43, v12, v97 src0_sel:BYTE_1 src1_sel:DWORD
	s_mov_b32 s14, -1
	s_and_saveexec_b32 s42, s43
; %bb.1843:                             ;   in Loop: Header=BB4_1423 Depth=2
	s_xor_b32 s14, exec_lo, -1
; %bb.1844:                             ;   in Loop: Header=BB4_1423 Depth=2
	s_or_b32 exec_lo, exec_lo, s42
	s_and_b32 s14, s14, exec_lo
	s_or_saveexec_b32 s41, s41
	v_mov_b32_e32 v45, 0x7f800001
	s_xor_b32 exec_lo, exec_lo, s41
	s_cbranch_execnz .LBB4_2044
.LBB4_1845:                             ;   in Loop: Header=BB4_1423 Depth=2
	s_or_b32 exec_lo, exec_lo, s41
	s_and_saveexec_b32 s41, s14
	s_cbranch_execz .LBB4_1847
.LBB4_1846:                             ;   in Loop: Header=BB4_1423 Depth=2
	v_and_b32_sdwa v45, v98, v12 dst_sel:DWORD dst_unused:UNUSED_PAD src0_sel:DWORD src1_sel:BYTE_1
	v_and_b32_e32 v46, 7, v45
	v_bfe_u32 v57, v45, 3, 4
	v_ffbh_u32_e32 v47, v46
	v_cmp_eq_u32_e32 vcc_lo, 0, v57
	v_min_u32_e32 v47, 32, v47
	v_subrev_nc_u32_e32 v56, 28, v47
	v_sub_nc_u32_e32 v47, 29, v47
	v_lshlrev_b32_e32 v45, v56, v45
	v_lshlrev_b32_sdwa v56, v99, v12 dst_sel:DWORD dst_unused:UNUSED_PAD src0_sel:DWORD src1_sel:BYTE_1
	v_cndmask_b32_e32 v47, v57, v47, vcc_lo
	v_and_b32_e32 v45, 7, v45
	v_lshl_add_u32 v47, v47, 23, 0x3b800000
	v_cndmask_b32_e32 v45, v46, v45, vcc_lo
	v_and_b32_e32 v46, 0x80000000, v56
	v_lshlrev_b32_e32 v45, 20, v45
	v_or3_b32 v45, v46, v47, v45
.LBB4_1847:                             ;   in Loop: Header=BB4_1423 Depth=2
	s_or_b32 exec_lo, exec_lo, s41
	v_add_f32_e32 v45, v41, v45
	v_and_b32_e32 v41, 0x7f800000, v45
	v_cmp_ne_u32_e32 vcc_lo, 0x7f800000, v41
	v_mov_b32_e32 v41, 0x8000
	s_and_saveexec_b32 s41, vcc_lo
	s_cbranch_execz .LBB4_1855
; %bb.1848:                             ;   in Loop: Header=BB4_1423 Depth=2
	v_mov_b32_e32 v41, 0
	s_mov_b32 s42, exec_lo
	v_cmpx_ne_u32_e32 0, v45
	s_cbranch_execz .LBB4_1854
; %bb.1849:                             ;   in Loop: Header=BB4_1423 Depth=2
	v_bfe_u32 v41, v45, 23, 8
	v_and_b32_e32 v46, 0x7fffff, v45
	v_sub_nc_u32_e32 v47, 0x78, v41
	v_cmp_gt_u32_e32 vcc_lo, 0x79, v41
	v_or_b32_e32 v56, 0x800000, v46
	v_cndmask_b32_e32 v47, 0, v47, vcc_lo
	v_cmp_eq_u32_e32 vcc_lo, 0, v41
	v_add_nc_u32_e32 v41, 0xffffff89, v41
	v_cndmask_b32_e64 v47, v47, 0x77, vcc_lo
	v_cndmask_b32_e32 v46, v56, v46, vcc_lo
	v_cndmask_b32_e64 v41, v41, 0xffffff8a, vcc_lo
	v_lshl_add_u32 v56, 0x100000, v47, -1
	v_lshrrev_b32_e32 v57, v47, v46
	v_lshlrev_b32_e64 v59, v47, 0x80000
	v_add_nc_u32_e32 v47, v47, v41
	v_and_b32_e32 v46, v56, v46
	v_bfe_u32 v58, v57, 20, 1
	v_cmp_eq_u32_e64 s14, v46, v59
	v_add_nc_u32_e32 v56, -1, v58
	v_cndmask_b32_e64 v46, 0, v56, s14
	v_lshrrev_b32_e32 v56, 23, v57
	s_mov_b32 s14, exec_lo
	v_add_nc_u32_e32 v46, v46, v57
	v_xor_b32_e32 v56, 1, v56
	v_and_b32_e32 v41, 0xfffff, v46
	v_add_nc_u32_e32 v46, v41, v57
                                        ; implicit-def: $vgpr41
	v_cmpx_ne_u32_e64 v47, v56
	s_xor_b32 s14, exec_lo, s14
; %bb.1850:                             ;   in Loop: Header=BB4_1423 Depth=2
	v_cmp_lt_u32_e32 vcc_lo, 0xffffff, v46
	v_sub_nc_u32_e32 v41, v47, v56
	v_cndmask_b32_e64 v47, 0, 1, vcc_lo
	v_add_co_ci_u32_e64 v41, null, 0, v41, vcc_lo
	v_lshrrev_b32_e32 v46, v47, v46
; %bb.1851:                             ;   in Loop: Header=BB4_1423 Depth=2
	s_andn2_saveexec_b32 s14, s14
; %bb.1852:                             ;   in Loop: Header=BB4_1423 Depth=2
	v_bfe_u32 v41, v46, 23, 1
; %bb.1853:                             ;   in Loop: Header=BB4_1423 Depth=2
	s_or_b32 exec_lo, exec_lo, s14
	v_lshrrev_b32_e32 v46, 20, v46
	v_min_i32_e32 v47, 15, v41
	v_cmp_gt_i32_e32 vcc_lo, 16, v41
	v_and_b32_sdwa v45, v45, v97 dst_sel:DWORD dst_unused:UNUSED_PAD src0_sel:BYTE_3 src1_sel:DWORD
	v_lshlrev_b32_e32 v47, 3, v47
	v_cndmask_b32_e32 v46, 7, v46, vcc_lo
	v_and_b32_e32 v47, 0xf8, v47
	v_and_b32_e32 v56, 7, v46
	v_or_b32_e32 v41, v41, v46
	v_or3_b32 v45, v45, v47, v56
	v_cmp_ne_u32_e32 vcc_lo, 0, v41
	v_lshlrev_b32_e32 v45, 8, v45
	v_cndmask_b32_e32 v41, 0, v45, vcc_lo
.LBB4_1854:                             ;   in Loop: Header=BB4_1423 Depth=2
	s_or_b32 exec_lo, exec_lo, s42
.LBB4_1855:                             ;   in Loop: Header=BB4_1423 Depth=2
	s_or_b32 exec_lo, exec_lo, s41
	v_or_b32_e32 v119, v119, v115
	s_mov_b32 s14, 0
	v_cmp_gt_i16_sdwa s41, v119, v96 src0_sel:BYTE_0 src1_sel:DWORD
	s_and_saveexec_b32 s42, s41
	s_xor_b32 s41, exec_lo, s42
	s_cbranch_execz .LBB4_2045
; %bb.1856:                             ;   in Loop: Header=BB4_1423 Depth=2
	v_cmp_eq_u16_sdwa s43, v119, v97 src0_sel:BYTE_0 src1_sel:DWORD
	s_mov_b32 s14, -1
	s_and_saveexec_b32 s42, s43
; %bb.1857:                             ;   in Loop: Header=BB4_1423 Depth=2
	s_xor_b32 s14, exec_lo, -1
; %bb.1858:                             ;   in Loop: Header=BB4_1423 Depth=2
	s_or_b32 exec_lo, exec_lo, s42
	s_and_b32 s14, s14, exec_lo
	s_or_saveexec_b32 s41, s41
	v_mov_b32_e32 v115, 0x7f800001
	s_xor_b32 exec_lo, exec_lo, s41
	s_cbranch_execnz .LBB4_2046
.LBB4_1859:                             ;   in Loop: Header=BB4_1423 Depth=2
	s_or_b32 exec_lo, exec_lo, s41
	v_lshl_or_b32 v119, v119, 16, v43
	s_and_saveexec_b32 s41, s14
	s_cbranch_execz .LBB4_1861
.LBB4_1860:                             ;   in Loop: Header=BB4_1423 Depth=2
	v_bfe_u32 v115, v119, 16, 3
	v_bfe_u32 v46, v119, 19, 4
	v_lshlrev_b32_e32 v47, 8, v119
	v_ffbh_u32_e32 v43, v115
	v_cmp_eq_u32_e32 vcc_lo, 0, v46
	v_min_u32_e32 v43, 32, v43
	v_subrev_nc_u32_e32 v45, 28, v43
	v_sub_nc_u32_e32 v43, 29, v43
	v_lshlrev_b32_sdwa v45, v45, v119 dst_sel:DWORD dst_unused:UNUSED_PAD src0_sel:DWORD src1_sel:WORD_1
	v_cndmask_b32_e32 v43, v46, v43, vcc_lo
	v_and_b32_e32 v45, 7, v45
	v_lshl_add_u32 v43, v43, 23, 0x3b800000
	v_cndmask_b32_e32 v115, v115, v45, vcc_lo
	v_and_b32_e32 v45, 0x80000000, v47
	v_lshlrev_b32_e32 v115, 20, v115
	v_or3_b32 v115, v45, v43, v115
.LBB4_1861:                             ;   in Loop: Header=BB4_1423 Depth=2
	s_or_b32 exec_lo, exec_lo, s41
	v_and_b32_sdwa v45, v12, v100 dst_sel:DWORD dst_unused:UNUSED_PAD src0_sel:WORD_1 src1_sel:DWORD
	s_mov_b32 s14, 0
	s_mov_b32 s41, exec_lo
	v_cmpx_lt_i16_e32 0x7f, v45
	s_xor_b32 s41, exec_lo, s41
	s_cbranch_execz .LBB4_2047
; %bb.1862:                             ;   in Loop: Header=BB4_1423 Depth=2
	s_mov_b32 s14, -1
	s_mov_b32 s42, exec_lo
	v_cmpx_eq_u16_e32 0x80, v45
; %bb.1863:                             ;   in Loop: Header=BB4_1423 Depth=2
	s_xor_b32 s14, exec_lo, -1
; %bb.1864:                             ;   in Loop: Header=BB4_1423 Depth=2
	s_or_b32 exec_lo, exec_lo, s42
	s_and_b32 s14, s14, exec_lo
                                        ; implicit-def: $vgpr45
	s_or_saveexec_b32 s41, s41
	v_mov_b32_e32 v43, 0x7f800001
	s_xor_b32 exec_lo, exec_lo, s41
	s_cbranch_execnz .LBB4_2048
.LBB4_1865:                             ;   in Loop: Header=BB4_1423 Depth=2
	s_or_b32 exec_lo, exec_lo, s41
	s_and_saveexec_b32 s41, s14
	s_cbranch_execz .LBB4_1867
.LBB4_1866:                             ;   in Loop: Header=BB4_1423 Depth=2
	v_and_b32_sdwa v43, v12, v101 dst_sel:DWORD dst_unused:UNUSED_PAD src0_sel:WORD_1 src1_sel:DWORD
	v_bfe_u32 v47, v12, 19, 4
	v_lshlrev_b32_sdwa v56, v99, v12 dst_sel:DWORD dst_unused:UNUSED_PAD src0_sel:DWORD src1_sel:WORD_1
	v_ffbh_u32_e32 v45, v43
	v_cmp_eq_u32_e32 vcc_lo, 0, v47
	v_min_u32_e32 v45, 32, v45
	v_subrev_nc_u32_e32 v46, 28, v45
	v_sub_nc_u32_e32 v45, 29, v45
	v_lshlrev_b32_sdwa v46, v46, v12 dst_sel:DWORD dst_unused:UNUSED_PAD src0_sel:DWORD src1_sel:WORD_1
	v_cndmask_b32_e32 v45, v47, v45, vcc_lo
	v_and_b32_e32 v46, 7, v46
	v_lshl_add_u32 v45, v45, 23, 0x3b800000
	v_cndmask_b32_e32 v43, v43, v46, vcc_lo
	v_and_b32_e32 v46, 0x80000000, v56
	v_lshlrev_b32_e32 v43, 20, v43
	v_or3_b32 v43, v46, v45, v43
.LBB4_1867:                             ;   in Loop: Header=BB4_1423 Depth=2
	s_or_b32 exec_lo, exec_lo, s41
	v_add_f32_e32 v43, v115, v43
	v_and_b32_e32 v115, 0x7f800000, v43
	v_cmp_ne_u32_e32 vcc_lo, 0x7f800000, v115
	v_mov_b32_e32 v115, 0x80
	s_and_saveexec_b32 s41, vcc_lo
	s_cbranch_execz .LBB4_1875
; %bb.1868:                             ;   in Loop: Header=BB4_1423 Depth=2
	v_mov_b32_e32 v115, 0
	s_mov_b32 s42, exec_lo
	v_cmpx_ne_u32_e32 0, v43
	s_cbranch_execz .LBB4_1874
; %bb.1869:                             ;   in Loop: Header=BB4_1423 Depth=2
	v_bfe_u32 v115, v43, 23, 8
	v_and_b32_e32 v45, 0x7fffff, v43
	v_sub_nc_u32_e32 v46, 0x78, v115
	v_cmp_gt_u32_e32 vcc_lo, 0x79, v115
	v_or_b32_e32 v47, 0x800000, v45
	v_cndmask_b32_e32 v46, 0, v46, vcc_lo
	v_cmp_eq_u32_e32 vcc_lo, 0, v115
	v_add_nc_u32_e32 v115, 0xffffff89, v115
	v_cndmask_b32_e64 v46, v46, 0x77, vcc_lo
	v_cndmask_b32_e32 v45, v47, v45, vcc_lo
	v_cndmask_b32_e64 v115, v115, 0xffffff8a, vcc_lo
	v_lshl_add_u32 v47, 0x100000, v46, -1
	v_lshrrev_b32_e32 v56, v46, v45
	v_lshlrev_b32_e64 v58, v46, 0x80000
	v_add_nc_u32_e32 v46, v46, v115
	v_and_b32_e32 v45, v47, v45
	v_bfe_u32 v57, v56, 20, 1
	v_cmp_eq_u32_e64 s14, v45, v58
	v_add_nc_u32_e32 v47, -1, v57
	v_cndmask_b32_e64 v45, 0, v47, s14
	v_lshrrev_b32_e32 v47, 23, v56
	s_mov_b32 s14, exec_lo
	v_add_nc_u32_e32 v45, v45, v56
	v_xor_b32_e32 v47, 1, v47
	v_and_b32_e32 v115, 0xfffff, v45
	v_add_nc_u32_e32 v45, v115, v56
                                        ; implicit-def: $vgpr115
	v_cmpx_ne_u32_e64 v46, v47
	s_xor_b32 s14, exec_lo, s14
; %bb.1870:                             ;   in Loop: Header=BB4_1423 Depth=2
	v_cmp_lt_u32_e32 vcc_lo, 0xffffff, v45
	v_sub_nc_u32_e32 v115, v46, v47
	v_cndmask_b32_e64 v46, 0, 1, vcc_lo
	v_add_co_ci_u32_e64 v115, null, 0, v115, vcc_lo
	v_lshrrev_b32_e32 v45, v46, v45
; %bb.1871:                             ;   in Loop: Header=BB4_1423 Depth=2
	s_andn2_saveexec_b32 s14, s14
; %bb.1872:                             ;   in Loop: Header=BB4_1423 Depth=2
	v_bfe_u32 v115, v45, 23, 1
; %bb.1873:                             ;   in Loop: Header=BB4_1423 Depth=2
	s_or_b32 exec_lo, exec_lo, s14
	v_lshrrev_b32_e32 v45, 20, v45
	v_min_i32_e32 v46, 15, v115
	v_cmp_gt_i32_e32 vcc_lo, 16, v115
	v_and_b32_sdwa v43, v43, v97 dst_sel:DWORD dst_unused:UNUSED_PAD src0_sel:BYTE_3 src1_sel:DWORD
	v_lshlrev_b32_e32 v46, 3, v46
	v_cndmask_b32_e32 v45, 7, v45, vcc_lo
	v_and_b32_e32 v46, 0xf8, v46
	v_and_b32_e32 v47, 7, v45
	v_or_b32_e32 v115, v115, v45
	v_or3_b32 v43, v46, v43, v47
	v_cmp_ne_u32_e32 vcc_lo, 0, v115
	v_cndmask_b32_e32 v115, 0, v43, vcc_lo
.LBB4_1874:                             ;   in Loop: Header=BB4_1423 Depth=2
	s_or_b32 exec_lo, exec_lo, s42
.LBB4_1875:                             ;   in Loop: Header=BB4_1423 Depth=2
	s_or_b32 exec_lo, exec_lo, s41
	v_cmp_gt_i16_sdwa s41, v119, v96 src0_sel:BYTE_3 src1_sel:DWORD
	s_mov_b32 s14, 0
	s_and_saveexec_b32 s42, s41
	s_xor_b32 s41, exec_lo, s42
	s_cbranch_execz .LBB4_2049
; %bb.1876:                             ;   in Loop: Header=BB4_1423 Depth=2
	v_cmp_eq_u16_sdwa s43, v119, v97 src0_sel:BYTE_3 src1_sel:DWORD
	s_mov_b32 s14, -1
	s_and_saveexec_b32 s42, s43
; %bb.1877:                             ;   in Loop: Header=BB4_1423 Depth=2
	s_xor_b32 s14, exec_lo, -1
; %bb.1878:                             ;   in Loop: Header=BB4_1423 Depth=2
	s_or_b32 exec_lo, exec_lo, s42
	s_and_b32 s14, s14, exec_lo
	s_or_saveexec_b32 s41, s41
	v_mov_b32_e32 v43, 0x7f800001
	s_xor_b32 exec_lo, exec_lo, s41
	s_cbranch_execnz .LBB4_2050
.LBB4_1879:                             ;   in Loop: Header=BB4_1423 Depth=2
	s_or_b32 exec_lo, exec_lo, s41
	s_and_saveexec_b32 s41, s14
	s_cbranch_execz .LBB4_1881
.LBB4_1880:                             ;   in Loop: Header=BB4_1423 Depth=2
	v_bfe_u32 v43, v119, 24, 3
	v_bfe_u32 v47, v119, 27, 4
	v_ffbh_u32_e32 v45, v43
	v_cmp_eq_u32_e32 vcc_lo, 0, v47
	v_min_u32_e32 v45, 32, v45
	v_subrev_nc_u32_e32 v46, 28, v45
	v_sub_nc_u32_e32 v45, 29, v45
	v_lshlrev_b32_sdwa v46, v46, v119 dst_sel:DWORD dst_unused:UNUSED_PAD src0_sel:DWORD src1_sel:BYTE_3
	v_cndmask_b32_e32 v45, v47, v45, vcc_lo
	v_and_b32_e32 v119, 0x80000000, v119
	v_and_b32_e32 v46, 7, v46
	v_lshl_add_u32 v45, v45, 23, 0x3b800000
	v_cndmask_b32_e32 v43, v43, v46, vcc_lo
	v_lshlrev_b32_e32 v43, 20, v43
	v_or3_b32 v43, v119, v45, v43
.LBB4_1881:                             ;   in Loop: Header=BB4_1423 Depth=2
	s_or_b32 exec_lo, exec_lo, s41
	v_cmp_gt_i16_sdwa s41, v12, v96 src0_sel:BYTE_3 src1_sel:DWORD
	s_mov_b32 s14, 0
	s_and_saveexec_b32 s42, s41
	s_xor_b32 s41, exec_lo, s42
	s_cbranch_execz .LBB4_2051
; %bb.1882:                             ;   in Loop: Header=BB4_1423 Depth=2
	v_cmp_eq_u16_sdwa s43, v12, v97 src0_sel:BYTE_3 src1_sel:DWORD
	s_mov_b32 s14, -1
	s_and_saveexec_b32 s42, s43
; %bb.1883:                             ;   in Loop: Header=BB4_1423 Depth=2
	s_xor_b32 s14, exec_lo, -1
; %bb.1884:                             ;   in Loop: Header=BB4_1423 Depth=2
	s_or_b32 exec_lo, exec_lo, s42
	s_and_b32 s14, s14, exec_lo
	s_or_saveexec_b32 s41, s41
	v_mov_b32_e32 v119, 0x7f800001
	s_xor_b32 exec_lo, exec_lo, s41
	s_cbranch_execnz .LBB4_2052
.LBB4_1885:                             ;   in Loop: Header=BB4_1423 Depth=2
	s_or_b32 exec_lo, exec_lo, s41
	s_and_saveexec_b32 s41, s14
	s_cbranch_execz .LBB4_1887
.LBB4_1886:                             ;   in Loop: Header=BB4_1423 Depth=2
	v_and_b32_sdwa v119, v12, v101 dst_sel:DWORD dst_unused:UNUSED_PAD src0_sel:BYTE_3 src1_sel:DWORD
	v_bfe_u32 v47, v12, 27, 4
	v_ffbh_u32_e32 v45, v119
	v_cmp_eq_u32_e32 vcc_lo, 0, v47
	v_min_u32_e32 v45, 32, v45
	v_subrev_nc_u32_e32 v46, 28, v45
	v_sub_nc_u32_e32 v45, 29, v45
	v_lshlrev_b32_sdwa v46, v46, v12 dst_sel:DWORD dst_unused:UNUSED_PAD src0_sel:DWORD src1_sel:BYTE_3
	v_cndmask_b32_e32 v45, v47, v45, vcc_lo
	v_and_b32_e32 v12, 0x80000000, v12
	v_and_b32_e32 v46, 7, v46
	v_lshl_add_u32 v45, v45, 23, 0x3b800000
	v_cndmask_b32_e32 v119, v119, v46, vcc_lo
	v_lshlrev_b32_e32 v119, 20, v119
	v_or3_b32 v119, v12, v45, v119
.LBB4_1887:                             ;   in Loop: Header=BB4_1423 Depth=2
	s_or_b32 exec_lo, exec_lo, s41
	v_add_f32_e32 v119, v43, v119
	v_and_b32_e32 v12, 0x7f800000, v119
	v_cmp_ne_u32_e32 vcc_lo, 0x7f800000, v12
	v_mov_b32_e32 v12, 0x8000
	s_and_saveexec_b32 s41, vcc_lo
	s_cbranch_execz .LBB4_1895
; %bb.1888:                             ;   in Loop: Header=BB4_1423 Depth=2
	v_mov_b32_e32 v12, 0
	s_mov_b32 s42, exec_lo
	v_cmpx_ne_u32_e32 0, v119
	s_cbranch_execz .LBB4_1894
; %bb.1889:                             ;   in Loop: Header=BB4_1423 Depth=2
	v_bfe_u32 v12, v119, 23, 8
	v_and_b32_e32 v43, 0x7fffff, v119
	v_sub_nc_u32_e32 v45, 0x78, v12
	v_cmp_gt_u32_e32 vcc_lo, 0x79, v12
	v_or_b32_e32 v46, 0x800000, v43
	v_cndmask_b32_e32 v45, 0, v45, vcc_lo
	v_cmp_eq_u32_e32 vcc_lo, 0, v12
	v_add_nc_u32_e32 v12, 0xffffff89, v12
	v_cndmask_b32_e64 v45, v45, 0x77, vcc_lo
	v_cndmask_b32_e32 v43, v46, v43, vcc_lo
	v_cndmask_b32_e64 v12, v12, 0xffffff8a, vcc_lo
	v_lshl_add_u32 v46, 0x100000, v45, -1
	v_lshrrev_b32_e32 v47, v45, v43
	v_lshlrev_b32_e64 v57, v45, 0x80000
	v_add_nc_u32_e32 v45, v45, v12
	v_and_b32_e32 v43, v46, v43
	v_bfe_u32 v56, v47, 20, 1
	v_cmp_eq_u32_e64 s14, v43, v57
	v_add_nc_u32_e32 v46, -1, v56
	v_cndmask_b32_e64 v43, 0, v46, s14
	v_lshrrev_b32_e32 v46, 23, v47
	s_mov_b32 s14, exec_lo
	v_add_nc_u32_e32 v43, v43, v47
	v_xor_b32_e32 v46, 1, v46
	v_and_b32_e32 v12, 0xfffff, v43
	v_add_nc_u32_e32 v43, v12, v47
                                        ; implicit-def: $vgpr12
	v_cmpx_ne_u32_e64 v45, v46
	s_xor_b32 s14, exec_lo, s14
; %bb.1890:                             ;   in Loop: Header=BB4_1423 Depth=2
	v_cmp_lt_u32_e32 vcc_lo, 0xffffff, v43
	v_sub_nc_u32_e32 v12, v45, v46
	v_cndmask_b32_e64 v45, 0, 1, vcc_lo
	v_add_co_ci_u32_e64 v12, null, 0, v12, vcc_lo
	v_lshrrev_b32_e32 v43, v45, v43
; %bb.1891:                             ;   in Loop: Header=BB4_1423 Depth=2
	s_andn2_saveexec_b32 s14, s14
; %bb.1892:                             ;   in Loop: Header=BB4_1423 Depth=2
	v_bfe_u32 v12, v43, 23, 1
; %bb.1893:                             ;   in Loop: Header=BB4_1423 Depth=2
	s_or_b32 exec_lo, exec_lo, s14
	v_lshrrev_b32_e32 v43, 20, v43
	v_min_i32_e32 v45, 15, v12
	v_cmp_gt_i32_e32 vcc_lo, 16, v12
	v_and_b32_sdwa v119, v119, v97 dst_sel:DWORD dst_unused:UNUSED_PAD src0_sel:BYTE_3 src1_sel:DWORD
	v_lshlrev_b32_e32 v45, 3, v45
	v_cndmask_b32_e32 v43, 7, v43, vcc_lo
	v_and_b32_e32 v45, 0xf8, v45
	v_and_b32_e32 v46, 7, v43
	v_or_b32_e32 v12, v12, v43
	v_or3_b32 v119, v119, v45, v46
	v_cmp_ne_u32_e32 vcc_lo, 0, v12
	v_lshlrev_b32_e32 v119, 8, v119
	v_cndmask_b32_e32 v12, 0, v119, vcc_lo
.LBB4_1894:                             ;   in Loop: Header=BB4_1423 Depth=2
	s_or_b32 exec_lo, exec_lo, s42
.LBB4_1895:                             ;   in Loop: Header=BB4_1423 Depth=2
	s_or_b32 exec_lo, exec_lo, s41
	v_or_b32_e32 v116, v116, v112
	s_mov_b32 s14, 0
	v_cmp_gt_i16_sdwa s41, v116, v96 src0_sel:BYTE_0 src1_sel:DWORD
	s_and_saveexec_b32 s42, s41
	s_xor_b32 s41, exec_lo, s42
	s_cbranch_execz .LBB4_2053
; %bb.1896:                             ;   in Loop: Header=BB4_1423 Depth=2
	v_cmp_eq_u16_sdwa s43, v116, v97 src0_sel:BYTE_0 src1_sel:DWORD
	s_mov_b32 s14, -1
	s_and_saveexec_b32 s42, s43
; %bb.1897:                             ;   in Loop: Header=BB4_1423 Depth=2
	s_xor_b32 s14, exec_lo, -1
; %bb.1898:                             ;   in Loop: Header=BB4_1423 Depth=2
	s_or_b32 exec_lo, exec_lo, s42
	s_and_b32 s14, s14, exec_lo
	s_or_saveexec_b32 s41, s41
	v_mov_b32_e32 v112, 0x7f800001
	s_xor_b32 exec_lo, exec_lo, s41
	s_cbranch_execnz .LBB4_2054
.LBB4_1899:                             ;   in Loop: Header=BB4_1423 Depth=2
	s_or_b32 exec_lo, exec_lo, s41
	s_and_saveexec_b32 s41, s14
	s_cbranch_execz .LBB4_1901
.LBB4_1900:                             ;   in Loop: Header=BB4_1423 Depth=2
	v_and_b32_e32 v112, 7, v116
	v_bfe_u32 v45, v116, 3, 4
	v_lshlrev_b32_e32 v46, 24, v116
	v_ffbh_u32_e32 v119, v112
	v_cmp_eq_u32_e32 vcc_lo, 0, v45
	v_min_u32_e32 v119, 32, v119
	v_subrev_nc_u32_e32 v43, 28, v119
	v_sub_nc_u32_e32 v119, 29, v119
	v_lshlrev_b32_e32 v43, v43, v116
	v_cndmask_b32_e32 v119, v45, v119, vcc_lo
	v_and_b32_e32 v43, 7, v43
	v_lshl_add_u32 v119, v119, 23, 0x3b800000
	v_cndmask_b32_e32 v112, v112, v43, vcc_lo
	v_and_b32_e32 v43, 0x80000000, v46
	v_lshlrev_b32_e32 v112, 20, v112
	v_or3_b32 v112, v43, v119, v112
.LBB4_1901:                             ;   in Loop: Header=BB4_1423 Depth=2
	s_or_b32 exec_lo, exec_lo, s41
	v_cmp_gt_i16_sdwa s41, v13, v96 src0_sel:BYTE_0 src1_sel:DWORD
	s_mov_b32 s14, 0
	s_and_saveexec_b32 s42, s41
	s_xor_b32 s41, exec_lo, s42
	s_cbranch_execz .LBB4_2055
; %bb.1902:                             ;   in Loop: Header=BB4_1423 Depth=2
	v_cmp_eq_u16_sdwa s43, v13, v97 src0_sel:BYTE_0 src1_sel:DWORD
	s_mov_b32 s14, -1
	s_and_saveexec_b32 s42, s43
; %bb.1903:                             ;   in Loop: Header=BB4_1423 Depth=2
	s_xor_b32 s14, exec_lo, -1
; %bb.1904:                             ;   in Loop: Header=BB4_1423 Depth=2
	s_or_b32 exec_lo, exec_lo, s42
	s_and_b32 s14, s14, exec_lo
	s_or_saveexec_b32 s41, s41
	v_mov_b32_e32 v119, 0x7f800001
	s_xor_b32 exec_lo, exec_lo, s41
	s_cbranch_execnz .LBB4_2056
.LBB4_1905:                             ;   in Loop: Header=BB4_1423 Depth=2
	s_or_b32 exec_lo, exec_lo, s41
	s_and_saveexec_b32 s41, s14
	s_cbranch_execz .LBB4_1907
.LBB4_1906:                             ;   in Loop: Header=BB4_1423 Depth=2
	v_and_b32_e32 v119, 7, v13
	v_bfe_u32 v46, v13, 3, 4
	v_lshlrev_b32_e32 v47, 24, v13
	v_ffbh_u32_e32 v43, v119
	v_cmp_eq_u32_e32 vcc_lo, 0, v46
	v_min_u32_e32 v43, 32, v43
	v_subrev_nc_u32_e32 v45, 28, v43
	v_sub_nc_u32_e32 v43, 29, v43
	v_lshlrev_b32_e32 v45, v45, v13
	v_cndmask_b32_e32 v43, v46, v43, vcc_lo
	v_and_b32_e32 v45, 7, v45
	v_lshl_add_u32 v43, v43, 23, 0x3b800000
	v_cndmask_b32_e32 v119, v119, v45, vcc_lo
	v_and_b32_e32 v45, 0x80000000, v47
	v_lshlrev_b32_e32 v119, 20, v119
	v_or3_b32 v119, v45, v43, v119
.LBB4_1907:                             ;   in Loop: Header=BB4_1423 Depth=2
	s_or_b32 exec_lo, exec_lo, s41
	v_add_f32_e32 v119, v112, v119
	v_and_b32_e32 v112, 0x7f800000, v119
	v_cmp_ne_u32_e32 vcc_lo, 0x7f800000, v112
	v_mov_b32_e32 v112, 0x80
	s_and_saveexec_b32 s41, vcc_lo
	s_cbranch_execz .LBB4_1915
; %bb.1908:                             ;   in Loop: Header=BB4_1423 Depth=2
	v_mov_b32_e32 v112, 0
	s_mov_b32 s42, exec_lo
	v_cmpx_ne_u32_e32 0, v119
	s_cbranch_execz .LBB4_1914
; %bb.1909:                             ;   in Loop: Header=BB4_1423 Depth=2
	v_bfe_u32 v112, v119, 23, 8
	v_and_b32_e32 v43, 0x7fffff, v119
	v_sub_nc_u32_e32 v45, 0x78, v112
	v_cmp_gt_u32_e32 vcc_lo, 0x79, v112
	v_or_b32_e32 v46, 0x800000, v43
	v_cndmask_b32_e32 v45, 0, v45, vcc_lo
	v_cmp_eq_u32_e32 vcc_lo, 0, v112
	v_add_nc_u32_e32 v112, 0xffffff89, v112
	v_cndmask_b32_e64 v45, v45, 0x77, vcc_lo
	v_cndmask_b32_e32 v43, v46, v43, vcc_lo
	v_cndmask_b32_e64 v112, v112, 0xffffff8a, vcc_lo
	v_lshl_add_u32 v46, 0x100000, v45, -1
	v_lshrrev_b32_e32 v47, v45, v43
	v_lshlrev_b32_e64 v57, v45, 0x80000
	v_add_nc_u32_e32 v45, v45, v112
	v_and_b32_e32 v43, v46, v43
	v_bfe_u32 v56, v47, 20, 1
	v_cmp_eq_u32_e64 s14, v43, v57
	v_add_nc_u32_e32 v46, -1, v56
	v_cndmask_b32_e64 v43, 0, v46, s14
	v_lshrrev_b32_e32 v46, 23, v47
	s_mov_b32 s14, exec_lo
	v_add_nc_u32_e32 v43, v43, v47
	v_xor_b32_e32 v46, 1, v46
	v_and_b32_e32 v112, 0xfffff, v43
	v_add_nc_u32_e32 v43, v112, v47
                                        ; implicit-def: $vgpr112
	v_cmpx_ne_u32_e64 v45, v46
	s_xor_b32 s14, exec_lo, s14
; %bb.1910:                             ;   in Loop: Header=BB4_1423 Depth=2
	v_cmp_lt_u32_e32 vcc_lo, 0xffffff, v43
	v_sub_nc_u32_e32 v112, v45, v46
	v_cndmask_b32_e64 v45, 0, 1, vcc_lo
	v_add_co_ci_u32_e64 v112, null, 0, v112, vcc_lo
	v_lshrrev_b32_e32 v43, v45, v43
; %bb.1911:                             ;   in Loop: Header=BB4_1423 Depth=2
	s_andn2_saveexec_b32 s14, s14
; %bb.1912:                             ;   in Loop: Header=BB4_1423 Depth=2
	v_bfe_u32 v112, v43, 23, 1
; %bb.1913:                             ;   in Loop: Header=BB4_1423 Depth=2
	s_or_b32 exec_lo, exec_lo, s14
	v_lshrrev_b32_e32 v43, 20, v43
	v_min_i32_e32 v45, 15, v112
	v_cmp_gt_i32_e32 vcc_lo, 16, v112
	v_and_b32_sdwa v119, v119, v97 dst_sel:DWORD dst_unused:UNUSED_PAD src0_sel:BYTE_3 src1_sel:DWORD
	v_lshlrev_b32_e32 v45, 3, v45
	v_cndmask_b32_e32 v43, 7, v43, vcc_lo
	v_and_b32_e32 v45, 0xf8, v45
	v_and_b32_e32 v46, 7, v43
	v_or_b32_e32 v112, v112, v43
	v_or3_b32 v119, v45, v119, v46
	v_cmp_ne_u32_e32 vcc_lo, 0, v112
	v_cndmask_b32_e32 v112, 0, v119, vcc_lo
.LBB4_1914:                             ;   in Loop: Header=BB4_1423 Depth=2
	s_or_b32 exec_lo, exec_lo, s42
.LBB4_1915:                             ;   in Loop: Header=BB4_1423 Depth=2
	s_or_b32 exec_lo, exec_lo, s41
	v_cmp_gt_i16_sdwa s41, v116, v96 src0_sel:BYTE_1 src1_sel:DWORD
	s_mov_b32 s14, 0
	s_and_saveexec_b32 s42, s41
	s_xor_b32 s41, exec_lo, s42
	s_cbranch_execz .LBB4_2057
; %bb.1916:                             ;   in Loop: Header=BB4_1423 Depth=2
	v_cmp_eq_u16_sdwa s43, v116, v97 src0_sel:BYTE_1 src1_sel:DWORD
	s_mov_b32 s14, -1
	s_and_saveexec_b32 s42, s43
; %bb.1917:                             ;   in Loop: Header=BB4_1423 Depth=2
	s_xor_b32 s14, exec_lo, -1
; %bb.1918:                             ;   in Loop: Header=BB4_1423 Depth=2
	s_or_b32 exec_lo, exec_lo, s42
	s_and_b32 s14, s14, exec_lo
	s_or_saveexec_b32 s41, s41
	v_mov_b32_e32 v119, 0x7f800001
	s_xor_b32 exec_lo, exec_lo, s41
	s_cbranch_execnz .LBB4_2058
.LBB4_1919:                             ;   in Loop: Header=BB4_1423 Depth=2
	s_or_b32 exec_lo, exec_lo, s41
	s_and_saveexec_b32 s41, s14
	s_cbranch_execz .LBB4_1921
.LBB4_1920:                             ;   in Loop: Header=BB4_1423 Depth=2
	v_and_b32_sdwa v119, v98, v116 dst_sel:DWORD dst_unused:UNUSED_PAD src0_sel:DWORD src1_sel:BYTE_1
	v_and_b32_e32 v43, 7, v119
	v_bfe_u32 v47, v119, 3, 4
	v_ffbh_u32_e32 v45, v43
	v_cmp_eq_u32_e32 vcc_lo, 0, v47
	v_min_u32_e32 v45, 32, v45
	v_subrev_nc_u32_e32 v46, 28, v45
	v_sub_nc_u32_e32 v45, 29, v45
	v_lshlrev_b32_e32 v119, v46, v119
	v_lshlrev_b32_sdwa v46, v99, v116 dst_sel:DWORD dst_unused:UNUSED_PAD src0_sel:DWORD src1_sel:BYTE_1
	v_cndmask_b32_e32 v45, v47, v45, vcc_lo
	v_and_b32_e32 v119, 7, v119
	v_lshl_add_u32 v45, v45, 23, 0x3b800000
	v_cndmask_b32_e32 v119, v43, v119, vcc_lo
	v_and_b32_e32 v43, 0x80000000, v46
	v_lshlrev_b32_e32 v119, 20, v119
	v_or3_b32 v119, v43, v45, v119
.LBB4_1921:                             ;   in Loop: Header=BB4_1423 Depth=2
	s_or_b32 exec_lo, exec_lo, s41
	v_cmp_gt_i16_sdwa s41, v13, v96 src0_sel:BYTE_1 src1_sel:DWORD
	s_mov_b32 s14, 0
	s_and_saveexec_b32 s42, s41
	s_xor_b32 s41, exec_lo, s42
	s_cbranch_execz .LBB4_2059
; %bb.1922:                             ;   in Loop: Header=BB4_1423 Depth=2
	v_cmp_eq_u16_sdwa s43, v13, v97 src0_sel:BYTE_1 src1_sel:DWORD
	s_mov_b32 s14, -1
	s_and_saveexec_b32 s42, s43
; %bb.1923:                             ;   in Loop: Header=BB4_1423 Depth=2
	s_xor_b32 s14, exec_lo, -1
; %bb.1924:                             ;   in Loop: Header=BB4_1423 Depth=2
	s_or_b32 exec_lo, exec_lo, s42
	s_and_b32 s14, s14, exec_lo
	s_or_saveexec_b32 s41, s41
	v_mov_b32_e32 v43, 0x7f800001
	s_xor_b32 exec_lo, exec_lo, s41
	s_cbranch_execnz .LBB4_2060
.LBB4_1925:                             ;   in Loop: Header=BB4_1423 Depth=2
	s_or_b32 exec_lo, exec_lo, s41
	s_and_saveexec_b32 s41, s14
	s_cbranch_execz .LBB4_1927
.LBB4_1926:                             ;   in Loop: Header=BB4_1423 Depth=2
	v_and_b32_sdwa v43, v98, v13 dst_sel:DWORD dst_unused:UNUSED_PAD src0_sel:DWORD src1_sel:BYTE_1
	v_and_b32_e32 v45, 7, v43
	v_bfe_u32 v56, v43, 3, 4
	v_ffbh_u32_e32 v46, v45
	v_cmp_eq_u32_e32 vcc_lo, 0, v56
	v_min_u32_e32 v46, 32, v46
	v_subrev_nc_u32_e32 v47, 28, v46
	v_sub_nc_u32_e32 v46, 29, v46
	v_lshlrev_b32_e32 v43, v47, v43
	v_lshlrev_b32_sdwa v47, v99, v13 dst_sel:DWORD dst_unused:UNUSED_PAD src0_sel:DWORD src1_sel:BYTE_1
	v_cndmask_b32_e32 v46, v56, v46, vcc_lo
	v_and_b32_e32 v43, 7, v43
	v_lshl_add_u32 v46, v46, 23, 0x3b800000
	v_cndmask_b32_e32 v43, v45, v43, vcc_lo
	v_and_b32_e32 v45, 0x80000000, v47
	v_lshlrev_b32_e32 v43, 20, v43
	v_or3_b32 v43, v45, v46, v43
.LBB4_1927:                             ;   in Loop: Header=BB4_1423 Depth=2
	s_or_b32 exec_lo, exec_lo, s41
	v_add_f32_e32 v43, v119, v43
	v_and_b32_e32 v119, 0x7f800000, v43
	v_cmp_ne_u32_e32 vcc_lo, 0x7f800000, v119
	v_mov_b32_e32 v119, 0x8000
	s_and_saveexec_b32 s41, vcc_lo
	s_cbranch_execz .LBB4_1935
; %bb.1928:                             ;   in Loop: Header=BB4_1423 Depth=2
	v_mov_b32_e32 v119, 0
	s_mov_b32 s42, exec_lo
	v_cmpx_ne_u32_e32 0, v43
	s_cbranch_execz .LBB4_1934
; %bb.1929:                             ;   in Loop: Header=BB4_1423 Depth=2
	v_bfe_u32 v119, v43, 23, 8
	v_and_b32_e32 v45, 0x7fffff, v43
	v_sub_nc_u32_e32 v46, 0x78, v119
	v_cmp_gt_u32_e32 vcc_lo, 0x79, v119
	v_or_b32_e32 v47, 0x800000, v45
	v_cndmask_b32_e32 v46, 0, v46, vcc_lo
	v_cmp_eq_u32_e32 vcc_lo, 0, v119
	v_add_nc_u32_e32 v119, 0xffffff89, v119
	v_cndmask_b32_e64 v46, v46, 0x77, vcc_lo
	v_cndmask_b32_e32 v45, v47, v45, vcc_lo
	v_cndmask_b32_e64 v119, v119, 0xffffff8a, vcc_lo
	v_lshl_add_u32 v47, 0x100000, v46, -1
	v_lshrrev_b32_e32 v56, v46, v45
	v_lshlrev_b32_e64 v58, v46, 0x80000
	v_add_nc_u32_e32 v46, v46, v119
	v_and_b32_e32 v45, v47, v45
	v_bfe_u32 v57, v56, 20, 1
	v_cmp_eq_u32_e64 s14, v45, v58
	v_add_nc_u32_e32 v47, -1, v57
	v_cndmask_b32_e64 v45, 0, v47, s14
	v_lshrrev_b32_e32 v47, 23, v56
	s_mov_b32 s14, exec_lo
	v_add_nc_u32_e32 v45, v45, v56
	v_xor_b32_e32 v47, 1, v47
	v_and_b32_e32 v119, 0xfffff, v45
	v_add_nc_u32_e32 v45, v119, v56
                                        ; implicit-def: $vgpr119
	v_cmpx_ne_u32_e64 v46, v47
	s_xor_b32 s14, exec_lo, s14
; %bb.1930:                             ;   in Loop: Header=BB4_1423 Depth=2
	v_cmp_lt_u32_e32 vcc_lo, 0xffffff, v45
	v_sub_nc_u32_e32 v119, v46, v47
	v_cndmask_b32_e64 v46, 0, 1, vcc_lo
	v_add_co_ci_u32_e64 v119, null, 0, v119, vcc_lo
	v_lshrrev_b32_e32 v45, v46, v45
; %bb.1931:                             ;   in Loop: Header=BB4_1423 Depth=2
	s_andn2_saveexec_b32 s14, s14
; %bb.1932:                             ;   in Loop: Header=BB4_1423 Depth=2
	v_bfe_u32 v119, v45, 23, 1
; %bb.1933:                             ;   in Loop: Header=BB4_1423 Depth=2
	s_or_b32 exec_lo, exec_lo, s14
	v_lshrrev_b32_e32 v45, 20, v45
	v_min_i32_e32 v46, 15, v119
	v_cmp_gt_i32_e32 vcc_lo, 16, v119
	v_and_b32_sdwa v43, v43, v97 dst_sel:DWORD dst_unused:UNUSED_PAD src0_sel:BYTE_3 src1_sel:DWORD
	v_lshlrev_b32_e32 v46, 3, v46
	v_cndmask_b32_e32 v45, 7, v45, vcc_lo
	v_and_b32_e32 v46, 0xf8, v46
	v_and_b32_e32 v47, 7, v45
	v_or_b32_e32 v119, v119, v45
	v_or3_b32 v43, v43, v46, v47
	v_cmp_ne_u32_e32 vcc_lo, 0, v119
	v_lshlrev_b32_e32 v43, 8, v43
	v_cndmask_b32_e32 v119, 0, v43, vcc_lo
.LBB4_1934:                             ;   in Loop: Header=BB4_1423 Depth=2
	s_or_b32 exec_lo, exec_lo, s42
.LBB4_1935:                             ;   in Loop: Header=BB4_1423 Depth=2
	s_or_b32 exec_lo, exec_lo, s41
	v_or_b32_e32 v114, v114, v103
	s_mov_b32 s14, 0
	v_cmp_gt_i16_sdwa s41, v114, v96 src0_sel:BYTE_0 src1_sel:DWORD
	s_and_saveexec_b32 s42, s41
	s_xor_b32 s41, exec_lo, s42
	s_cbranch_execz .LBB4_2061
; %bb.1936:                             ;   in Loop: Header=BB4_1423 Depth=2
	v_cmp_eq_u16_sdwa s43, v114, v97 src0_sel:BYTE_0 src1_sel:DWORD
	s_mov_b32 s14, -1
	s_and_saveexec_b32 s42, s43
; %bb.1937:                             ;   in Loop: Header=BB4_1423 Depth=2
	s_xor_b32 s14, exec_lo, -1
; %bb.1938:                             ;   in Loop: Header=BB4_1423 Depth=2
	s_or_b32 exec_lo, exec_lo, s42
	s_and_b32 s14, s14, exec_lo
	s_or_saveexec_b32 s41, s41
	v_mov_b32_e32 v103, 0x7f800001
	s_xor_b32 exec_lo, exec_lo, s41
	s_cbranch_execnz .LBB4_2062
.LBB4_1939:                             ;   in Loop: Header=BB4_1423 Depth=2
	s_or_b32 exec_lo, exec_lo, s41
	v_lshl_or_b32 v114, v114, 16, v116
	s_and_saveexec_b32 s41, s14
	s_cbranch_execz .LBB4_1941
.LBB4_1940:                             ;   in Loop: Header=BB4_1423 Depth=2
	v_bfe_u32 v103, v114, 16, 3
	v_bfe_u32 v45, v114, 19, 4
	v_lshlrev_b32_e32 v46, 8, v114
	v_ffbh_u32_e32 v116, v103
	v_cmp_eq_u32_e32 vcc_lo, 0, v45
	v_min_u32_e32 v116, 32, v116
	v_subrev_nc_u32_e32 v43, 28, v116
	v_sub_nc_u32_e32 v116, 29, v116
	v_lshlrev_b32_sdwa v43, v43, v114 dst_sel:DWORD dst_unused:UNUSED_PAD src0_sel:DWORD src1_sel:WORD_1
	v_cndmask_b32_e32 v116, v45, v116, vcc_lo
	v_and_b32_e32 v43, 7, v43
	v_lshl_add_u32 v116, v116, 23, 0x3b800000
	v_cndmask_b32_e32 v103, v103, v43, vcc_lo
	v_and_b32_e32 v43, 0x80000000, v46
	v_lshlrev_b32_e32 v103, 20, v103
	v_or3_b32 v103, v43, v116, v103
.LBB4_1941:                             ;   in Loop: Header=BB4_1423 Depth=2
	s_or_b32 exec_lo, exec_lo, s41
	v_and_b32_sdwa v43, v13, v100 dst_sel:DWORD dst_unused:UNUSED_PAD src0_sel:WORD_1 src1_sel:DWORD
	s_mov_b32 s14, 0
	s_mov_b32 s41, exec_lo
	v_cmpx_lt_i16_e32 0x7f, v43
	s_xor_b32 s41, exec_lo, s41
	s_cbranch_execz .LBB4_2063
; %bb.1942:                             ;   in Loop: Header=BB4_1423 Depth=2
	s_mov_b32 s14, -1
	s_mov_b32 s42, exec_lo
	v_cmpx_eq_u16_e32 0x80, v43
; %bb.1943:                             ;   in Loop: Header=BB4_1423 Depth=2
	s_xor_b32 s14, exec_lo, -1
; %bb.1944:                             ;   in Loop: Header=BB4_1423 Depth=2
	s_or_b32 exec_lo, exec_lo, s42
	s_and_b32 s14, s14, exec_lo
                                        ; implicit-def: $vgpr43
	s_or_saveexec_b32 s41, s41
	v_mov_b32_e32 v116, 0x7f800001
	s_xor_b32 exec_lo, exec_lo, s41
	s_cbranch_execnz .LBB4_2064
.LBB4_1945:                             ;   in Loop: Header=BB4_1423 Depth=2
	s_or_b32 exec_lo, exec_lo, s41
	s_and_saveexec_b32 s41, s14
	s_cbranch_execz .LBB4_1947
.LBB4_1946:                             ;   in Loop: Header=BB4_1423 Depth=2
	v_and_b32_sdwa v116, v13, v101 dst_sel:DWORD dst_unused:UNUSED_PAD src0_sel:WORD_1 src1_sel:DWORD
	v_bfe_u32 v46, v13, 19, 4
	v_lshlrev_b32_sdwa v47, v99, v13 dst_sel:DWORD dst_unused:UNUSED_PAD src0_sel:DWORD src1_sel:WORD_1
	v_ffbh_u32_e32 v43, v116
	v_cmp_eq_u32_e32 vcc_lo, 0, v46
	v_min_u32_e32 v43, 32, v43
	v_subrev_nc_u32_e32 v45, 28, v43
	v_sub_nc_u32_e32 v43, 29, v43
	v_lshlrev_b32_sdwa v45, v45, v13 dst_sel:DWORD dst_unused:UNUSED_PAD src0_sel:DWORD src1_sel:WORD_1
	v_cndmask_b32_e32 v43, v46, v43, vcc_lo
	v_and_b32_e32 v45, 7, v45
	v_lshl_add_u32 v43, v43, 23, 0x3b800000
	v_cndmask_b32_e32 v116, v116, v45, vcc_lo
	v_and_b32_e32 v45, 0x80000000, v47
	v_lshlrev_b32_e32 v116, 20, v116
	v_or3_b32 v116, v45, v43, v116
.LBB4_1947:                             ;   in Loop: Header=BB4_1423 Depth=2
	s_or_b32 exec_lo, exec_lo, s41
	v_add_f32_e32 v116, v103, v116
	v_and_b32_e32 v103, 0x7f800000, v116
	v_cmp_ne_u32_e32 vcc_lo, 0x7f800000, v103
	v_mov_b32_e32 v103, 0x80
	s_and_saveexec_b32 s41, vcc_lo
	s_cbranch_execz .LBB4_1955
; %bb.1948:                             ;   in Loop: Header=BB4_1423 Depth=2
	v_mov_b32_e32 v103, 0
	s_mov_b32 s42, exec_lo
	v_cmpx_ne_u32_e32 0, v116
	s_cbranch_execz .LBB4_1954
; %bb.1949:                             ;   in Loop: Header=BB4_1423 Depth=2
	v_bfe_u32 v103, v116, 23, 8
	v_and_b32_e32 v43, 0x7fffff, v116
	v_sub_nc_u32_e32 v45, 0x78, v103
	v_cmp_gt_u32_e32 vcc_lo, 0x79, v103
	v_or_b32_e32 v46, 0x800000, v43
	v_cndmask_b32_e32 v45, 0, v45, vcc_lo
	v_cmp_eq_u32_e32 vcc_lo, 0, v103
	v_add_nc_u32_e32 v103, 0xffffff89, v103
	v_cndmask_b32_e64 v45, v45, 0x77, vcc_lo
	v_cndmask_b32_e32 v43, v46, v43, vcc_lo
	v_cndmask_b32_e64 v103, v103, 0xffffff8a, vcc_lo
	v_lshl_add_u32 v46, 0x100000, v45, -1
	v_lshrrev_b32_e32 v47, v45, v43
	v_lshlrev_b32_e64 v57, v45, 0x80000
	v_add_nc_u32_e32 v45, v45, v103
	v_and_b32_e32 v43, v46, v43
	v_bfe_u32 v56, v47, 20, 1
	v_cmp_eq_u32_e64 s14, v43, v57
	v_add_nc_u32_e32 v46, -1, v56
	v_cndmask_b32_e64 v43, 0, v46, s14
	v_lshrrev_b32_e32 v46, 23, v47
	s_mov_b32 s14, exec_lo
	v_add_nc_u32_e32 v43, v43, v47
	v_xor_b32_e32 v46, 1, v46
	v_and_b32_e32 v103, 0xfffff, v43
	v_add_nc_u32_e32 v43, v103, v47
                                        ; implicit-def: $vgpr103
	v_cmpx_ne_u32_e64 v45, v46
	s_xor_b32 s14, exec_lo, s14
; %bb.1950:                             ;   in Loop: Header=BB4_1423 Depth=2
	v_cmp_lt_u32_e32 vcc_lo, 0xffffff, v43
	v_sub_nc_u32_e32 v103, v45, v46
	v_cndmask_b32_e64 v45, 0, 1, vcc_lo
	v_add_co_ci_u32_e64 v103, null, 0, v103, vcc_lo
	v_lshrrev_b32_e32 v43, v45, v43
; %bb.1951:                             ;   in Loop: Header=BB4_1423 Depth=2
	s_andn2_saveexec_b32 s14, s14
; %bb.1952:                             ;   in Loop: Header=BB4_1423 Depth=2
	v_bfe_u32 v103, v43, 23, 1
; %bb.1953:                             ;   in Loop: Header=BB4_1423 Depth=2
	s_or_b32 exec_lo, exec_lo, s14
	v_lshrrev_b32_e32 v43, 20, v43
	v_min_i32_e32 v45, 15, v103
	v_cmp_gt_i32_e32 vcc_lo, 16, v103
	v_and_b32_sdwa v116, v116, v97 dst_sel:DWORD dst_unused:UNUSED_PAD src0_sel:BYTE_3 src1_sel:DWORD
	v_lshlrev_b32_e32 v45, 3, v45
	v_cndmask_b32_e32 v43, 7, v43, vcc_lo
	v_and_b32_e32 v45, 0xf8, v45
	v_and_b32_e32 v46, 7, v43
	v_or_b32_e32 v103, v103, v43
	v_or3_b32 v116, v45, v116, v46
	v_cmp_ne_u32_e32 vcc_lo, 0, v103
	v_cndmask_b32_e32 v103, 0, v116, vcc_lo
.LBB4_1954:                             ;   in Loop: Header=BB4_1423 Depth=2
	s_or_b32 exec_lo, exec_lo, s42
.LBB4_1955:                             ;   in Loop: Header=BB4_1423 Depth=2
	s_or_b32 exec_lo, exec_lo, s41
	v_cmp_gt_i16_sdwa s41, v114, v96 src0_sel:BYTE_3 src1_sel:DWORD
	s_mov_b32 s14, 0
	s_and_saveexec_b32 s42, s41
	s_xor_b32 s41, exec_lo, s42
	s_cbranch_execz .LBB4_2065
; %bb.1956:                             ;   in Loop: Header=BB4_1423 Depth=2
	v_cmp_eq_u16_sdwa s43, v114, v97 src0_sel:BYTE_3 src1_sel:DWORD
	s_mov_b32 s14, -1
	s_and_saveexec_b32 s42, s43
; %bb.1957:                             ;   in Loop: Header=BB4_1423 Depth=2
	s_xor_b32 s14, exec_lo, -1
; %bb.1958:                             ;   in Loop: Header=BB4_1423 Depth=2
	s_or_b32 exec_lo, exec_lo, s42
	s_and_b32 s14, s14, exec_lo
	s_or_saveexec_b32 s41, s41
	v_mov_b32_e32 v116, 0x7f800001
	s_xor_b32 exec_lo, exec_lo, s41
	s_cbranch_execnz .LBB4_2066
.LBB4_1959:                             ;   in Loop: Header=BB4_1423 Depth=2
	s_or_b32 exec_lo, exec_lo, s41
	s_and_saveexec_b32 s41, s14
	s_cbranch_execz .LBB4_1961
.LBB4_1960:                             ;   in Loop: Header=BB4_1423 Depth=2
	v_bfe_u32 v116, v114, 24, 3
	v_bfe_u32 v46, v114, 27, 4
	v_ffbh_u32_e32 v43, v116
	v_cmp_eq_u32_e32 vcc_lo, 0, v46
	v_min_u32_e32 v43, 32, v43
	v_subrev_nc_u32_e32 v45, 28, v43
	v_sub_nc_u32_e32 v43, 29, v43
	v_lshlrev_b32_sdwa v45, v45, v114 dst_sel:DWORD dst_unused:UNUSED_PAD src0_sel:DWORD src1_sel:BYTE_3
	v_cndmask_b32_e32 v43, v46, v43, vcc_lo
	v_and_b32_e32 v114, 0x80000000, v114
	v_and_b32_e32 v45, 7, v45
	v_lshl_add_u32 v43, v43, 23, 0x3b800000
	v_cndmask_b32_e32 v116, v116, v45, vcc_lo
	v_lshlrev_b32_e32 v116, 20, v116
	v_or3_b32 v116, v114, v43, v116
.LBB4_1961:                             ;   in Loop: Header=BB4_1423 Depth=2
	s_or_b32 exec_lo, exec_lo, s41
	v_cmp_gt_i16_sdwa s41, v13, v96 src0_sel:BYTE_3 src1_sel:DWORD
	s_mov_b32 s14, 0
	s_and_saveexec_b32 s42, s41
	s_xor_b32 s41, exec_lo, s42
	s_cbranch_execz .LBB4_2067
; %bb.1962:                             ;   in Loop: Header=BB4_1423 Depth=2
	v_cmp_eq_u16_sdwa s43, v13, v97 src0_sel:BYTE_3 src1_sel:DWORD
	s_mov_b32 s14, -1
	s_and_saveexec_b32 s42, s43
; %bb.1963:                             ;   in Loop: Header=BB4_1423 Depth=2
	s_xor_b32 s14, exec_lo, -1
; %bb.1964:                             ;   in Loop: Header=BB4_1423 Depth=2
	s_or_b32 exec_lo, exec_lo, s42
	s_and_b32 s14, s14, exec_lo
	s_or_saveexec_b32 s41, s41
	v_mov_b32_e32 v114, 0x7f800001
	s_xor_b32 exec_lo, exec_lo, s41
	s_cbranch_execnz .LBB4_2068
.LBB4_1965:                             ;   in Loop: Header=BB4_1423 Depth=2
	s_or_b32 exec_lo, exec_lo, s41
	s_and_saveexec_b32 s41, s14
	s_cbranch_execz .LBB4_1967
.LBB4_1966:                             ;   in Loop: Header=BB4_1423 Depth=2
	v_and_b32_sdwa v114, v13, v101 dst_sel:DWORD dst_unused:UNUSED_PAD src0_sel:BYTE_3 src1_sel:DWORD
	v_bfe_u32 v46, v13, 27, 4
	v_ffbh_u32_e32 v43, v114
	v_cmp_eq_u32_e32 vcc_lo, 0, v46
	v_min_u32_e32 v43, 32, v43
	v_subrev_nc_u32_e32 v45, 28, v43
	v_sub_nc_u32_e32 v43, 29, v43
	v_lshlrev_b32_sdwa v45, v45, v13 dst_sel:DWORD dst_unused:UNUSED_PAD src0_sel:DWORD src1_sel:BYTE_3
	v_cndmask_b32_e32 v43, v46, v43, vcc_lo
	v_and_b32_e32 v13, 0x80000000, v13
	v_and_b32_e32 v45, 7, v45
	v_lshl_add_u32 v43, v43, 23, 0x3b800000
	v_cndmask_b32_e32 v114, v114, v45, vcc_lo
	v_lshlrev_b32_e32 v114, 20, v114
	v_or3_b32 v114, v13, v43, v114
.LBB4_1967:                             ;   in Loop: Header=BB4_1423 Depth=2
	s_or_b32 exec_lo, exec_lo, s41
	v_add_f32_e32 v13, v116, v114
	v_and_b32_e32 v114, 0x7f800000, v13
	v_cmp_ne_u32_e32 vcc_lo, 0x7f800000, v114
	v_mov_b32_e32 v114, 0x8000
	s_and_saveexec_b32 s41, vcc_lo
	s_cbranch_execz .LBB4_1422
; %bb.1968:                             ;   in Loop: Header=BB4_1423 Depth=2
	v_mov_b32_e32 v114, 0
	s_mov_b32 s42, exec_lo
	v_cmpx_ne_u32_e32 0, v13
	s_cbranch_execz .LBB4_1421
; %bb.1969:                             ;   in Loop: Header=BB4_1423 Depth=2
	v_bfe_u32 v114, v13, 23, 8
	v_and_b32_e32 v116, 0x7fffff, v13
	v_sub_nc_u32_e32 v43, 0x78, v114
	v_cmp_gt_u32_e32 vcc_lo, 0x79, v114
	v_or_b32_e32 v45, 0x800000, v116
	v_cndmask_b32_e32 v43, 0, v43, vcc_lo
	v_cmp_eq_u32_e32 vcc_lo, 0, v114
	v_add_nc_u32_e32 v114, 0xffffff89, v114
	v_cndmask_b32_e64 v43, v43, 0x77, vcc_lo
	v_cndmask_b32_e32 v116, v45, v116, vcc_lo
	v_cndmask_b32_e64 v114, v114, 0xffffff8a, vcc_lo
	v_lshl_add_u32 v45, 0x100000, v43, -1
	v_lshrrev_b32_e32 v46, v43, v116
	v_lshlrev_b32_e64 v56, v43, 0x80000
	v_add_nc_u32_e32 v43, v43, v114
	v_and_b32_e32 v116, v45, v116
	v_bfe_u32 v47, v46, 20, 1
	v_cmp_eq_u32_e64 s14, v116, v56
	v_add_nc_u32_e32 v45, -1, v47
	v_cndmask_b32_e64 v116, 0, v45, s14
	v_lshrrev_b32_e32 v45, 23, v46
	s_mov_b32 s14, exec_lo
	v_add_nc_u32_e32 v116, v116, v46
	v_xor_b32_e32 v45, 1, v45
	v_and_b32_e32 v114, 0xfffff, v116
	v_add_nc_u32_e32 v116, v114, v46
                                        ; implicit-def: $vgpr114
	v_cmpx_ne_u32_e64 v43, v45
	s_xor_b32 s14, exec_lo, s14
; %bb.1970:                             ;   in Loop: Header=BB4_1423 Depth=2
	v_cmp_lt_u32_e32 vcc_lo, 0xffffff, v116
	v_sub_nc_u32_e32 v114, v43, v45
	v_cndmask_b32_e64 v43, 0, 1, vcc_lo
	v_add_co_ci_u32_e64 v114, null, 0, v114, vcc_lo
	v_lshrrev_b32_e32 v116, v43, v116
; %bb.1971:                             ;   in Loop: Header=BB4_1423 Depth=2
	s_andn2_saveexec_b32 s14, s14
	s_cbranch_execz .LBB4_1420
; %bb.1972:                             ;   in Loop: Header=BB4_1423 Depth=2
	v_bfe_u32 v114, v116, 23, 1
	s_branch .LBB4_1420
.LBB4_1973:                             ;   in Loop: Header=BB4_1423 Depth=2
	s_or_saveexec_b32 s42, s42
	v_mov_b32_e32 v102, 0x7f800001
	s_xor_b32 exec_lo, exec_lo, s42
	s_cbranch_execz .LBB4_1435
.LBB4_1974:                             ;   in Loop: Header=BB4_1423 Depth=2
	v_cmp_ne_u16_sdwa s43, v10, v36 src0_sel:BYTE_0 src1_sel:DWORD
	v_mov_b32_e32 v102, 0
	s_andn2_b32 s14, s14, exec_lo
	s_and_b32 s43, s43, exec_lo
	s_or_b32 s14, s14, s43
	s_or_b32 exec_lo, exec_lo, s42
	s_and_saveexec_b32 s42, s14
	s_cbranch_execnz .LBB4_1436
	s_branch .LBB4_1437
.LBB4_1975:                             ;   in Loop: Header=BB4_1423 Depth=2
	s_or_saveexec_b32 s42, s42
	v_mov_b32_e32 v103, 0x7f800001
	s_xor_b32 exec_lo, exec_lo, s42
	s_cbranch_execz .LBB4_1449
.LBB4_1976:                             ;   in Loop: Header=BB4_1423 Depth=2
	v_cmp_ne_u16_sdwa s43, v10, v36 src0_sel:BYTE_1 src1_sel:DWORD
	v_mov_b32_e32 v103, 0
	s_andn2_b32 s14, s14, exec_lo
	s_and_b32 s43, s43, exec_lo
	s_or_b32 s14, s14, s43
	s_or_b32 exec_lo, exec_lo, s42
	s_and_saveexec_b32 s42, s14
	s_cbranch_execnz .LBB4_1450
	s_branch .LBB4_1451
.LBB4_1977:                             ;   in Loop: Header=BB4_1423 Depth=2
	s_or_saveexec_b32 s42, s42
	v_mov_b32_e32 v103, 0x7f800001
	s_xor_b32 exec_lo, exec_lo, s42
	s_cbranch_execz .LBB4_1463
.LBB4_1978:                             ;   in Loop: Header=BB4_1423 Depth=2
	v_cmp_ne_u16_e32 vcc_lo, 0, v112
	v_mov_b32_e32 v103, 0
	s_andn2_b32 s14, s14, exec_lo
	s_and_b32 s43, vcc_lo, exec_lo
	s_or_b32 s14, s14, s43
	s_or_b32 exec_lo, exec_lo, s42
	s_and_saveexec_b32 s42, s14
	s_cbranch_execnz .LBB4_1464
	s_branch .LBB4_1465
.LBB4_1979:                             ;   in Loop: Header=BB4_1423 Depth=2
	s_or_saveexec_b32 s42, s42
	v_mov_b32_e32 v103, 0x7f800001
	s_xor_b32 exec_lo, exec_lo, s42
	s_cbranch_execz .LBB4_1477
.LBB4_1980:                             ;   in Loop: Header=BB4_1423 Depth=2
	v_cmp_ne_u16_sdwa s43, v10, v36 src0_sel:BYTE_3 src1_sel:DWORD
	v_mov_b32_e32 v103, 0
	s_andn2_b32 s14, s14, exec_lo
	s_and_b32 s43, s43, exec_lo
	s_or_b32 s14, s14, s43
	s_or_b32 exec_lo, exec_lo, s42
	s_and_saveexec_b32 s42, s14
	s_cbranch_execnz .LBB4_1478
	s_branch .LBB4_1479
.LBB4_1981:                             ;   in Loop: Header=BB4_1423 Depth=2
	s_or_saveexec_b32 s42, s42
	v_mov_b32_e32 v10, 0x7f800001
	s_xor_b32 exec_lo, exec_lo, s42
	s_cbranch_execz .LBB4_1491
.LBB4_1982:                             ;   in Loop: Header=BB4_1423 Depth=2
	v_cmp_ne_u16_sdwa s43, v11, v36 src0_sel:BYTE_0 src1_sel:DWORD
	v_mov_b32_e32 v10, 0
	s_andn2_b32 s14, s14, exec_lo
	s_and_b32 s43, s43, exec_lo
	s_or_b32 s14, s14, s43
	s_or_b32 exec_lo, exec_lo, s42
	s_and_saveexec_b32 s42, s14
	s_cbranch_execnz .LBB4_1492
	s_branch .LBB4_1493
.LBB4_1983:                             ;   in Loop: Header=BB4_1423 Depth=2
	s_or_saveexec_b32 s42, s42
	v_mov_b32_e32 v10, 0x7f800001
	s_xor_b32 exec_lo, exec_lo, s42
	s_cbranch_execz .LBB4_1505
.LBB4_1984:                             ;   in Loop: Header=BB4_1423 Depth=2
	v_cmp_ne_u16_sdwa s43, v11, v36 src0_sel:BYTE_1 src1_sel:DWORD
	v_mov_b32_e32 v10, 0
	s_andn2_b32 s14, s14, exec_lo
	s_and_b32 s43, s43, exec_lo
	s_or_b32 s14, s14, s43
	s_or_b32 exec_lo, exec_lo, s42
	s_and_saveexec_b32 s42, s14
	s_cbranch_execnz .LBB4_1506
	s_branch .LBB4_1507
.LBB4_1985:                             ;   in Loop: Header=BB4_1423 Depth=2
	s_or_saveexec_b32 s42, s42
	v_mov_b32_e32 v10, 0x7f800001
	s_xor_b32 exec_lo, exec_lo, s42
	s_cbranch_execz .LBB4_1519
.LBB4_1986:                             ;   in Loop: Header=BB4_1423 Depth=2
	v_cmp_ne_u16_e32 vcc_lo, 0, v103
	v_mov_b32_e32 v10, 0
	s_andn2_b32 s14, s14, exec_lo
	s_and_b32 s43, vcc_lo, exec_lo
	s_or_b32 s14, s14, s43
	s_or_b32 exec_lo, exec_lo, s42
	s_and_saveexec_b32 s42, s14
	s_cbranch_execnz .LBB4_1520
	s_branch .LBB4_1521
.LBB4_1987:                             ;   in Loop: Header=BB4_1423 Depth=2
	s_or_saveexec_b32 s42, s42
	v_mov_b32_e32 v10, 0x7f800001
	s_xor_b32 exec_lo, exec_lo, s42
	s_cbranch_execz .LBB4_1533
.LBB4_1988:                             ;   in Loop: Header=BB4_1423 Depth=2
	v_cmp_ne_u16_sdwa s43, v11, v36 src0_sel:BYTE_3 src1_sel:DWORD
	v_mov_b32_e32 v10, 0
	s_andn2_b32 s14, s14, exec_lo
	s_and_b32 s43, s43, exec_lo
	s_or_b32 s14, s14, s43
	s_or_b32 exec_lo, exec_lo, s42
	s_and_saveexec_b32 s42, s14
	s_cbranch_execnz .LBB4_1534
	s_branch .LBB4_1535
.LBB4_1989:                             ;   in Loop: Header=BB4_1423 Depth=2
	s_or_saveexec_b32 s42, s42
	v_mov_b32_e32 v10, 0x7f800001
	s_xor_b32 exec_lo, exec_lo, s42
	s_cbranch_execz .LBB4_1547
.LBB4_1990:                             ;   in Loop: Header=BB4_1423 Depth=2
	v_cmp_ne_u16_sdwa s43, v12, v36 src0_sel:BYTE_0 src1_sel:DWORD
	v_mov_b32_e32 v10, 0
	s_andn2_b32 s14, s14, exec_lo
	s_and_b32 s43, s43, exec_lo
	s_or_b32 s14, s14, s43
	s_or_b32 exec_lo, exec_lo, s42
	s_and_saveexec_b32 s42, s14
	s_cbranch_execnz .LBB4_1548
	s_branch .LBB4_1549
.LBB4_1991:                             ;   in Loop: Header=BB4_1423 Depth=2
	s_or_saveexec_b32 s42, s42
	v_mov_b32_e32 v10, 0x7f800001
	s_xor_b32 exec_lo, exec_lo, s42
	s_cbranch_execz .LBB4_1561
.LBB4_1992:                             ;   in Loop: Header=BB4_1423 Depth=2
	v_cmp_ne_u16_sdwa s43, v12, v36 src0_sel:BYTE_1 src1_sel:DWORD
	v_mov_b32_e32 v10, 0
	s_andn2_b32 s14, s14, exec_lo
	s_and_b32 s43, s43, exec_lo
	s_or_b32 s14, s14, s43
	s_or_b32 exec_lo, exec_lo, s42
	s_and_saveexec_b32 s42, s14
	s_cbranch_execnz .LBB4_1562
	s_branch .LBB4_1563
.LBB4_1993:                             ;   in Loop: Header=BB4_1423 Depth=2
	s_or_saveexec_b32 s42, s42
	v_mov_b32_e32 v10, 0x7f800001
	s_xor_b32 exec_lo, exec_lo, s42
	s_cbranch_execz .LBB4_1575
.LBB4_1994:                             ;   in Loop: Header=BB4_1423 Depth=2
	v_cmp_ne_u16_e32 vcc_lo, 0, v11
	v_mov_b32_e32 v10, 0
	s_andn2_b32 s14, s14, exec_lo
	s_and_b32 s43, vcc_lo, exec_lo
	s_or_b32 s14, s14, s43
	s_or_b32 exec_lo, exec_lo, s42
	s_and_saveexec_b32 s42, s14
	s_cbranch_execnz .LBB4_1576
	s_branch .LBB4_1577
.LBB4_1995:                             ;   in Loop: Header=BB4_1423 Depth=2
	s_or_saveexec_b32 s42, s42
	v_mov_b32_e32 v10, 0x7f800001
	s_xor_b32 exec_lo, exec_lo, s42
	s_cbranch_execz .LBB4_1589
.LBB4_1996:                             ;   in Loop: Header=BB4_1423 Depth=2
	v_cmp_ne_u16_sdwa s43, v12, v36 src0_sel:BYTE_3 src1_sel:DWORD
	v_mov_b32_e32 v10, 0
	s_andn2_b32 s14, s14, exec_lo
	s_and_b32 s43, s43, exec_lo
	s_or_b32 s14, s14, s43
	s_or_b32 exec_lo, exec_lo, s42
	s_and_saveexec_b32 s42, s14
	s_cbranch_execnz .LBB4_1590
	s_branch .LBB4_1591
.LBB4_1997:                             ;   in Loop: Header=BB4_1423 Depth=2
	s_or_saveexec_b32 s42, s42
	v_mov_b32_e32 v10, 0x7f800001
	s_xor_b32 exec_lo, exec_lo, s42
	s_cbranch_execz .LBB4_1603
.LBB4_1998:                             ;   in Loop: Header=BB4_1423 Depth=2
	v_cmp_ne_u16_sdwa s43, v13, v36 src0_sel:BYTE_0 src1_sel:DWORD
	v_mov_b32_e32 v10, 0
	s_andn2_b32 s14, s14, exec_lo
	s_and_b32 s43, s43, exec_lo
	s_or_b32 s14, s14, s43
	s_or_b32 exec_lo, exec_lo, s42
	s_and_saveexec_b32 s42, s14
	s_cbranch_execnz .LBB4_1604
	s_branch .LBB4_1605
.LBB4_1999:                             ;   in Loop: Header=BB4_1423 Depth=2
	s_or_saveexec_b32 s42, s42
	v_mov_b32_e32 v10, 0x7f800001
	s_xor_b32 exec_lo, exec_lo, s42
	s_cbranch_execz .LBB4_1617
.LBB4_2000:                             ;   in Loop: Header=BB4_1423 Depth=2
	v_cmp_ne_u16_sdwa s43, v13, v36 src0_sel:BYTE_1 src1_sel:DWORD
	v_mov_b32_e32 v10, 0
	s_andn2_b32 s14, s14, exec_lo
	s_and_b32 s43, s43, exec_lo
	s_or_b32 s14, s14, s43
	s_or_b32 exec_lo, exec_lo, s42
	s_and_saveexec_b32 s42, s14
	s_cbranch_execnz .LBB4_1618
	s_branch .LBB4_1619
.LBB4_2001:                             ;   in Loop: Header=BB4_1423 Depth=2
	s_or_saveexec_b32 s42, s42
	v_mov_b32_e32 v10, 0x7f800001
	s_xor_b32 exec_lo, exec_lo, s42
	s_cbranch_execz .LBB4_1631
.LBB4_2002:                             ;   in Loop: Header=BB4_1423 Depth=2
	v_cmp_ne_u16_e32 vcc_lo, 0, v11
	v_mov_b32_e32 v10, 0
	s_andn2_b32 s14, s14, exec_lo
	s_and_b32 s43, vcc_lo, exec_lo
	s_or_b32 s14, s14, s43
	s_or_b32 exec_lo, exec_lo, s42
	s_and_saveexec_b32 s42, s14
	s_cbranch_execnz .LBB4_1632
	s_branch .LBB4_1633
.LBB4_2003:                             ;   in Loop: Header=BB4_1423 Depth=2
	s_or_saveexec_b32 s42, s42
	v_mov_b32_e32 v10, 0x7f800001
	s_xor_b32 exec_lo, exec_lo, s42
	s_cbranch_execz .LBB4_1645
.LBB4_2004:                             ;   in Loop: Header=BB4_1423 Depth=2
	v_cmp_ne_u16_sdwa s43, v13, v36 src0_sel:BYTE_3 src1_sel:DWORD
	v_mov_b32_e32 v10, 0
	s_andn2_b32 s14, s14, exec_lo
	s_and_b32 s43, s43, exec_lo
	s_or_b32 s14, s14, s43
	s_or_b32 exec_lo, exec_lo, s42
	s_and_saveexec_b32 s42, s14
	s_cbranch_execnz .LBB4_1646
	s_branch .LBB4_1647
.LBB4_2005:                             ;   in Loop: Header=BB4_1423 Depth=2
	s_or_saveexec_b32 s41, s41
	v_mov_b32_e32 v102, 0x7f800001
	s_xor_b32 exec_lo, exec_lo, s41
	s_cbranch_execz .LBB4_1659
.LBB4_2006:                             ;   in Loop: Header=BB4_1423 Depth=2
	v_cmp_ne_u16_sdwa s42, v46, v36 src0_sel:BYTE_0 src1_sel:DWORD
	v_mov_b32_e32 v102, 0
	s_andn2_b32 s14, s14, exec_lo
	s_and_b32 s42, s42, exec_lo
	s_or_b32 s14, s14, s42
	s_or_b32 exec_lo, exec_lo, s41
	s_and_saveexec_b32 s41, s14
	s_cbranch_execnz .LBB4_1660
	s_branch .LBB4_1661
.LBB4_2007:                             ;   in Loop: Header=BB4_1423 Depth=2
	s_or_saveexec_b32 s41, s41
	v_mov_b32_e32 v113, 0x7f800001
	s_xor_b32 exec_lo, exec_lo, s41
	s_cbranch_execz .LBB4_1665
.LBB4_2008:                             ;   in Loop: Header=BB4_1423 Depth=2
	v_cmp_ne_u16_sdwa s42, v10, v36 src0_sel:BYTE_0 src1_sel:DWORD
	v_mov_b32_e32 v113, 0
	s_andn2_b32 s14, s14, exec_lo
	s_and_b32 s42, s42, exec_lo
	s_or_b32 s14, s14, s42
	s_or_b32 exec_lo, exec_lo, s41
	s_and_saveexec_b32 s41, s14
	s_cbranch_execnz .LBB4_1666
	s_branch .LBB4_1667
.LBB4_2009:                             ;   in Loop: Header=BB4_1423 Depth=2
	s_or_saveexec_b32 s41, s41
	v_mov_b32_e32 v113, 0x7f800001
	s_xor_b32 exec_lo, exec_lo, s41
	s_cbranch_execz .LBB4_1679
.LBB4_2010:                             ;   in Loop: Header=BB4_1423 Depth=2
	v_cmp_ne_u16_sdwa s42, v46, v36 src0_sel:BYTE_1 src1_sel:DWORD
	v_mov_b32_e32 v113, 0
	s_andn2_b32 s14, s14, exec_lo
	s_and_b32 s42, s42, exec_lo
	s_or_b32 s14, s14, s42
	s_or_b32 exec_lo, exec_lo, s41
	s_and_saveexec_b32 s41, s14
	s_cbranch_execnz .LBB4_1680
	s_branch .LBB4_1681
.LBB4_2011:                             ;   in Loop: Header=BB4_1423 Depth=2
	s_or_saveexec_b32 s41, s41
	v_mov_b32_e32 v47, 0x7f800001
	s_xor_b32 exec_lo, exec_lo, s41
	s_cbranch_execz .LBB4_1685
.LBB4_2012:                             ;   in Loop: Header=BB4_1423 Depth=2
	v_cmp_ne_u16_sdwa s42, v10, v36 src0_sel:BYTE_1 src1_sel:DWORD
	v_mov_b32_e32 v47, 0
	s_andn2_b32 s14, s14, exec_lo
	s_and_b32 s42, s42, exec_lo
	s_or_b32 s14, s14, s42
	s_or_b32 exec_lo, exec_lo, s41
	s_and_saveexec_b32 s41, s14
	s_cbranch_execnz .LBB4_1686
	s_branch .LBB4_1687
.LBB4_2013:                             ;   in Loop: Header=BB4_1423 Depth=2
	s_or_saveexec_b32 s41, s41
	v_mov_b32_e32 v118, 0x7f800001
	s_xor_b32 exec_lo, exec_lo, s41
	s_cbranch_execz .LBB4_1699
.LBB4_2014:                             ;   in Loop: Header=BB4_1423 Depth=2
	v_cmp_ne_u16_sdwa s42, v45, v36 src0_sel:BYTE_0 src1_sel:DWORD
	v_mov_b32_e32 v118, 0
	s_andn2_b32 s14, s14, exec_lo
	s_and_b32 s42, s42, exec_lo
	s_or_b32 s14, s14, s42
	s_or_b32 exec_lo, exec_lo, s41
	v_lshl_or_b32 v45, v45, 16, v46
	s_and_saveexec_b32 s41, s14
	s_cbranch_execnz .LBB4_1700
	s_branch .LBB4_1701
.LBB4_2015:                             ;   in Loop: Header=BB4_1423 Depth=2
	s_or_saveexec_b32 s41, s41
	v_mov_b32_e32 v46, 0x7f800001
	s_xor_b32 exec_lo, exec_lo, s41
	s_cbranch_execz .LBB4_1705
.LBB4_2016:                             ;   in Loop: Header=BB4_1423 Depth=2
	v_cmp_ne_u16_e32 vcc_lo, 0, v47
	v_mov_b32_e32 v46, 0
	s_andn2_b32 s14, s14, exec_lo
	s_and_b32 s42, vcc_lo, exec_lo
	s_or_b32 s14, s14, s42
	s_or_b32 exec_lo, exec_lo, s41
	s_and_saveexec_b32 s41, s14
	s_cbranch_execnz .LBB4_1706
	s_branch .LBB4_1707
.LBB4_2017:                             ;   in Loop: Header=BB4_1423 Depth=2
	s_or_saveexec_b32 s41, s41
	v_mov_b32_e32 v46, 0x7f800001
	s_xor_b32 exec_lo, exec_lo, s41
	s_cbranch_execz .LBB4_1719
.LBB4_2018:                             ;   in Loop: Header=BB4_1423 Depth=2
	v_cmp_ne_u16_sdwa s42, v45, v36 src0_sel:BYTE_3 src1_sel:DWORD
	v_mov_b32_e32 v46, 0
	s_andn2_b32 s14, s14, exec_lo
	s_and_b32 s42, s42, exec_lo
	s_or_b32 s14, s14, s42
	s_or_b32 exec_lo, exec_lo, s41
	s_and_saveexec_b32 s41, s14
	s_cbranch_execnz .LBB4_1720
	s_branch .LBB4_1721
.LBB4_2019:                             ;   in Loop: Header=BB4_1423 Depth=2
	s_or_saveexec_b32 s41, s41
	v_mov_b32_e32 v45, 0x7f800001
	s_xor_b32 exec_lo, exec_lo, s41
	s_cbranch_execz .LBB4_1725
.LBB4_2020:                             ;   in Loop: Header=BB4_1423 Depth=2
	v_cmp_ne_u16_sdwa s42, v10, v36 src0_sel:BYTE_3 src1_sel:DWORD
	v_mov_b32_e32 v45, 0
	s_andn2_b32 s14, s14, exec_lo
	s_and_b32 s42, s42, exec_lo
	s_or_b32 s14, s14, s42
	s_or_b32 exec_lo, exec_lo, s41
	s_and_saveexec_b32 s41, s14
	s_cbranch_execnz .LBB4_1726
	s_branch .LBB4_1727
.LBB4_2021:                             ;   in Loop: Header=BB4_1423 Depth=2
	s_or_saveexec_b32 s41, s41
	v_mov_b32_e32 v42, 0x7f800001
	s_xor_b32 exec_lo, exec_lo, s41
	s_cbranch_execz .LBB4_1739
.LBB4_2022:                             ;   in Loop: Header=BB4_1423 Depth=2
	v_cmp_ne_u16_sdwa s42, v45, v36 src0_sel:BYTE_0 src1_sel:DWORD
	v_mov_b32_e32 v42, 0
	s_andn2_b32 s14, s14, exec_lo
	s_and_b32 s42, s42, exec_lo
	s_or_b32 s14, s14, s42
	s_or_b32 exec_lo, exec_lo, s41
	s_and_saveexec_b32 s41, s14
	s_cbranch_execnz .LBB4_1740
	s_branch .LBB4_1741
.LBB4_2023:                             ;   in Loop: Header=BB4_1423 Depth=2
	s_or_saveexec_b32 s41, s41
	v_mov_b32_e32 v44, 0x7f800001
	s_xor_b32 exec_lo, exec_lo, s41
	s_cbranch_execz .LBB4_1745
.LBB4_2024:                             ;   in Loop: Header=BB4_1423 Depth=2
	v_cmp_ne_u16_sdwa s42, v11, v36 src0_sel:BYTE_0 src1_sel:DWORD
	v_mov_b32_e32 v44, 0
	s_andn2_b32 s14, s14, exec_lo
	s_and_b32 s42, s42, exec_lo
	s_or_b32 s14, s14, s42
	s_or_b32 exec_lo, exec_lo, s41
	s_and_saveexec_b32 s41, s14
	s_cbranch_execnz .LBB4_1746
	s_branch .LBB4_1747
.LBB4_2025:                             ;   in Loop: Header=BB4_1423 Depth=2
	s_or_saveexec_b32 s41, s41
	v_mov_b32_e32 v44, 0x7f800001
	s_xor_b32 exec_lo, exec_lo, s41
	s_cbranch_execz .LBB4_1759
.LBB4_2026:                             ;   in Loop: Header=BB4_1423 Depth=2
	v_cmp_ne_u16_sdwa s42, v45, v36 src0_sel:BYTE_1 src1_sel:DWORD
	v_mov_b32_e32 v44, 0
	s_andn2_b32 s14, s14, exec_lo
	s_and_b32 s42, s42, exec_lo
	s_or_b32 s14, s14, s42
	s_or_b32 exec_lo, exec_lo, s41
	s_and_saveexec_b32 s41, s14
	s_cbranch_execnz .LBB4_1760
	s_branch .LBB4_1761
.LBB4_2027:                             ;   in Loop: Header=BB4_1423 Depth=2
	s_or_saveexec_b32 s41, s41
	v_mov_b32_e32 v46, 0x7f800001
	s_xor_b32 exec_lo, exec_lo, s41
	s_cbranch_execz .LBB4_1765
.LBB4_2028:                             ;   in Loop: Header=BB4_1423 Depth=2
	v_cmp_ne_u16_sdwa s42, v11, v36 src0_sel:BYTE_1 src1_sel:DWORD
	v_mov_b32_e32 v46, 0
	s_andn2_b32 s14, s14, exec_lo
	s_and_b32 s42, s42, exec_lo
	s_or_b32 s14, s14, s42
	s_or_b32 exec_lo, exec_lo, s41
	s_and_saveexec_b32 s41, s14
	s_cbranch_execnz .LBB4_1766
	s_branch .LBB4_1767
.LBB4_2029:                             ;   in Loop: Header=BB4_1423 Depth=2
	s_or_saveexec_b32 s41, s41
	v_mov_b32_e32 v40, 0x7f800001
	s_xor_b32 exec_lo, exec_lo, s41
	s_cbranch_execz .LBB4_1779
.LBB4_2030:                             ;   in Loop: Header=BB4_1423 Depth=2
	v_cmp_ne_u16_sdwa s42, v43, v36 src0_sel:BYTE_0 src1_sel:DWORD
	v_mov_b32_e32 v40, 0
	s_andn2_b32 s14, s14, exec_lo
	s_and_b32 s42, s42, exec_lo
	s_or_b32 s14, s14, s42
	s_or_b32 exec_lo, exec_lo, s41
	v_lshl_or_b32 v43, v43, 16, v45
	s_and_saveexec_b32 s41, s14
	s_cbranch_execnz .LBB4_1780
	s_branch .LBB4_1781
.LBB4_2031:                             ;   in Loop: Header=BB4_1423 Depth=2
	s_or_saveexec_b32 s41, s41
	v_mov_b32_e32 v45, 0x7f800001
	s_xor_b32 exec_lo, exec_lo, s41
	s_cbranch_execz .LBB4_1785
.LBB4_2032:                             ;   in Loop: Header=BB4_1423 Depth=2
	v_cmp_ne_u16_e32 vcc_lo, 0, v46
	v_mov_b32_e32 v45, 0
	s_andn2_b32 s14, s14, exec_lo
	s_and_b32 s42, vcc_lo, exec_lo
	s_or_b32 s14, s14, s42
	s_or_b32 exec_lo, exec_lo, s41
	s_and_saveexec_b32 s41, s14
	s_cbranch_execnz .LBB4_1786
	s_branch .LBB4_1787
.LBB4_2033:                             ;   in Loop: Header=BB4_1423 Depth=2
	s_or_saveexec_b32 s41, s41
	v_mov_b32_e32 v45, 0x7f800001
	s_xor_b32 exec_lo, exec_lo, s41
	s_cbranch_execz .LBB4_1799
.LBB4_2034:                             ;   in Loop: Header=BB4_1423 Depth=2
	v_cmp_ne_u16_sdwa s42, v43, v36 src0_sel:BYTE_3 src1_sel:DWORD
	v_mov_b32_e32 v45, 0
	s_andn2_b32 s14, s14, exec_lo
	s_and_b32 s42, s42, exec_lo
	s_or_b32 s14, s14, s42
	s_or_b32 exec_lo, exec_lo, s41
	s_and_saveexec_b32 s41, s14
	s_cbranch_execnz .LBB4_1800
	s_branch .LBB4_1801
.LBB4_2035:                             ;   in Loop: Header=BB4_1423 Depth=2
	s_or_saveexec_b32 s41, s41
	v_mov_b32_e32 v43, 0x7f800001
	s_xor_b32 exec_lo, exec_lo, s41
	s_cbranch_execz .LBB4_1805
.LBB4_2036:                             ;   in Loop: Header=BB4_1423 Depth=2
	v_cmp_ne_u16_sdwa s42, v11, v36 src0_sel:BYTE_3 src1_sel:DWORD
	v_mov_b32_e32 v43, 0
	s_andn2_b32 s14, s14, exec_lo
	s_and_b32 s42, s42, exec_lo
	s_or_b32 s14, s14, s42
	s_or_b32 exec_lo, exec_lo, s41
	s_and_saveexec_b32 s41, s14
	s_cbranch_execnz .LBB4_1806
	s_branch .LBB4_1807
.LBB4_2037:                             ;   in Loop: Header=BB4_1423 Depth=2
	s_or_saveexec_b32 s41, s41
	v_mov_b32_e32 v117, 0x7f800001
	s_xor_b32 exec_lo, exec_lo, s41
	s_cbranch_execz .LBB4_1819
.LBB4_2038:                             ;   in Loop: Header=BB4_1423 Depth=2
	v_cmp_ne_u16_sdwa s42, v43, v36 src0_sel:BYTE_0 src1_sel:DWORD
	v_mov_b32_e32 v117, 0
	s_andn2_b32 s14, s14, exec_lo
	s_and_b32 s42, s42, exec_lo
	s_or_b32 s14, s14, s42
	s_or_b32 exec_lo, exec_lo, s41
	s_and_saveexec_b32 s41, s14
	s_cbranch_execnz .LBB4_1820
	s_branch .LBB4_1821
.LBB4_2039:                             ;   in Loop: Header=BB4_1423 Depth=2
	s_or_saveexec_b32 s41, s41
	v_mov_b32_e32 v41, 0x7f800001
	s_xor_b32 exec_lo, exec_lo, s41
	s_cbranch_execz .LBB4_1825
.LBB4_2040:                             ;   in Loop: Header=BB4_1423 Depth=2
	v_cmp_ne_u16_sdwa s42, v12, v36 src0_sel:BYTE_0 src1_sel:DWORD
	v_mov_b32_e32 v41, 0
	s_andn2_b32 s14, s14, exec_lo
	s_and_b32 s42, s42, exec_lo
	s_or_b32 s14, s14, s42
	s_or_b32 exec_lo, exec_lo, s41
	s_and_saveexec_b32 s41, s14
	s_cbranch_execnz .LBB4_1826
	s_branch .LBB4_1827
.LBB4_2041:                             ;   in Loop: Header=BB4_1423 Depth=2
	s_or_saveexec_b32 s41, s41
	v_mov_b32_e32 v41, 0x7f800001
	s_xor_b32 exec_lo, exec_lo, s41
	s_cbranch_execz .LBB4_1839
.LBB4_2042:                             ;   in Loop: Header=BB4_1423 Depth=2
	v_cmp_ne_u16_sdwa s42, v43, v36 src0_sel:BYTE_1 src1_sel:DWORD
	v_mov_b32_e32 v41, 0
	s_andn2_b32 s14, s14, exec_lo
	s_and_b32 s42, s42, exec_lo
	s_or_b32 s14, s14, s42
	s_or_b32 exec_lo, exec_lo, s41
	s_and_saveexec_b32 s41, s14
	s_cbranch_execnz .LBB4_1840
	s_branch .LBB4_1841
.LBB4_2043:                             ;   in Loop: Header=BB4_1423 Depth=2
	s_or_saveexec_b32 s41, s41
	v_mov_b32_e32 v45, 0x7f800001
	s_xor_b32 exec_lo, exec_lo, s41
	s_cbranch_execz .LBB4_1845
.LBB4_2044:                             ;   in Loop: Header=BB4_1423 Depth=2
	v_cmp_ne_u16_sdwa s42, v12, v36 src0_sel:BYTE_1 src1_sel:DWORD
	v_mov_b32_e32 v45, 0
	s_andn2_b32 s14, s14, exec_lo
	s_and_b32 s42, s42, exec_lo
	s_or_b32 s14, s14, s42
	s_or_b32 exec_lo, exec_lo, s41
	s_and_saveexec_b32 s41, s14
	s_cbranch_execnz .LBB4_1846
	s_branch .LBB4_1847
.LBB4_2045:                             ;   in Loop: Header=BB4_1423 Depth=2
	s_or_saveexec_b32 s41, s41
	v_mov_b32_e32 v115, 0x7f800001
	s_xor_b32 exec_lo, exec_lo, s41
	s_cbranch_execz .LBB4_1859
.LBB4_2046:                             ;   in Loop: Header=BB4_1423 Depth=2
	v_cmp_ne_u16_sdwa s42, v119, v36 src0_sel:BYTE_0 src1_sel:DWORD
	v_mov_b32_e32 v115, 0
	s_andn2_b32 s14, s14, exec_lo
	s_and_b32 s42, s42, exec_lo
	s_or_b32 s14, s14, s42
	s_or_b32 exec_lo, exec_lo, s41
	v_lshl_or_b32 v119, v119, 16, v43
	s_and_saveexec_b32 s41, s14
	s_cbranch_execnz .LBB4_1860
	s_branch .LBB4_1861
.LBB4_2047:                             ;   in Loop: Header=BB4_1423 Depth=2
	s_or_saveexec_b32 s41, s41
	v_mov_b32_e32 v43, 0x7f800001
	s_xor_b32 exec_lo, exec_lo, s41
	s_cbranch_execz .LBB4_1865
.LBB4_2048:                             ;   in Loop: Header=BB4_1423 Depth=2
	v_cmp_ne_u16_e32 vcc_lo, 0, v45
	v_mov_b32_e32 v43, 0
	s_andn2_b32 s14, s14, exec_lo
	s_and_b32 s42, vcc_lo, exec_lo
	s_or_b32 s14, s14, s42
	s_or_b32 exec_lo, exec_lo, s41
	s_and_saveexec_b32 s41, s14
	s_cbranch_execnz .LBB4_1866
	s_branch .LBB4_1867
.LBB4_2049:                             ;   in Loop: Header=BB4_1423 Depth=2
	s_or_saveexec_b32 s41, s41
	v_mov_b32_e32 v43, 0x7f800001
	s_xor_b32 exec_lo, exec_lo, s41
	s_cbranch_execz .LBB4_1879
.LBB4_2050:                             ;   in Loop: Header=BB4_1423 Depth=2
	v_cmp_ne_u16_sdwa s42, v119, v36 src0_sel:BYTE_3 src1_sel:DWORD
	v_mov_b32_e32 v43, 0
	s_andn2_b32 s14, s14, exec_lo
	s_and_b32 s42, s42, exec_lo
	s_or_b32 s14, s14, s42
	s_or_b32 exec_lo, exec_lo, s41
	s_and_saveexec_b32 s41, s14
	s_cbranch_execnz .LBB4_1880
	s_branch .LBB4_1881
.LBB4_2051:                             ;   in Loop: Header=BB4_1423 Depth=2
	s_or_saveexec_b32 s41, s41
	v_mov_b32_e32 v119, 0x7f800001
	s_xor_b32 exec_lo, exec_lo, s41
	s_cbranch_execz .LBB4_1885
.LBB4_2052:                             ;   in Loop: Header=BB4_1423 Depth=2
	v_cmp_ne_u16_sdwa s42, v12, v36 src0_sel:BYTE_3 src1_sel:DWORD
	v_mov_b32_e32 v119, 0
	s_andn2_b32 s14, s14, exec_lo
	s_and_b32 s42, s42, exec_lo
	s_or_b32 s14, s14, s42
	s_or_b32 exec_lo, exec_lo, s41
	s_and_saveexec_b32 s41, s14
	s_cbranch_execnz .LBB4_1886
	s_branch .LBB4_1887
.LBB4_2053:                             ;   in Loop: Header=BB4_1423 Depth=2
	s_or_saveexec_b32 s41, s41
	v_mov_b32_e32 v112, 0x7f800001
	s_xor_b32 exec_lo, exec_lo, s41
	s_cbranch_execz .LBB4_1899
.LBB4_2054:                             ;   in Loop: Header=BB4_1423 Depth=2
	v_cmp_ne_u16_sdwa s42, v116, v36 src0_sel:BYTE_0 src1_sel:DWORD
	v_mov_b32_e32 v112, 0
	s_andn2_b32 s14, s14, exec_lo
	s_and_b32 s42, s42, exec_lo
	s_or_b32 s14, s14, s42
	s_or_b32 exec_lo, exec_lo, s41
	s_and_saveexec_b32 s41, s14
	s_cbranch_execnz .LBB4_1900
	s_branch .LBB4_1901
.LBB4_2055:                             ;   in Loop: Header=BB4_1423 Depth=2
	s_or_saveexec_b32 s41, s41
	v_mov_b32_e32 v119, 0x7f800001
	s_xor_b32 exec_lo, exec_lo, s41
	s_cbranch_execz .LBB4_1905
.LBB4_2056:                             ;   in Loop: Header=BB4_1423 Depth=2
	v_cmp_ne_u16_sdwa s42, v13, v36 src0_sel:BYTE_0 src1_sel:DWORD
	v_mov_b32_e32 v119, 0
	s_andn2_b32 s14, s14, exec_lo
	s_and_b32 s42, s42, exec_lo
	s_or_b32 s14, s14, s42
	s_or_b32 exec_lo, exec_lo, s41
	s_and_saveexec_b32 s41, s14
	s_cbranch_execnz .LBB4_1906
	s_branch .LBB4_1907
.LBB4_2057:                             ;   in Loop: Header=BB4_1423 Depth=2
	s_or_saveexec_b32 s41, s41
	v_mov_b32_e32 v119, 0x7f800001
	s_xor_b32 exec_lo, exec_lo, s41
	s_cbranch_execz .LBB4_1919
.LBB4_2058:                             ;   in Loop: Header=BB4_1423 Depth=2
	v_cmp_ne_u16_sdwa s42, v116, v36 src0_sel:BYTE_1 src1_sel:DWORD
	v_mov_b32_e32 v119, 0
	s_andn2_b32 s14, s14, exec_lo
	s_and_b32 s42, s42, exec_lo
	s_or_b32 s14, s14, s42
	s_or_b32 exec_lo, exec_lo, s41
	s_and_saveexec_b32 s41, s14
	s_cbranch_execnz .LBB4_1920
	s_branch .LBB4_1921
.LBB4_2059:                             ;   in Loop: Header=BB4_1423 Depth=2
	s_or_saveexec_b32 s41, s41
	v_mov_b32_e32 v43, 0x7f800001
	s_xor_b32 exec_lo, exec_lo, s41
	s_cbranch_execz .LBB4_1925
.LBB4_2060:                             ;   in Loop: Header=BB4_1423 Depth=2
	v_cmp_ne_u16_sdwa s42, v13, v36 src0_sel:BYTE_1 src1_sel:DWORD
	v_mov_b32_e32 v43, 0
	s_andn2_b32 s14, s14, exec_lo
	s_and_b32 s42, s42, exec_lo
	s_or_b32 s14, s14, s42
	s_or_b32 exec_lo, exec_lo, s41
	s_and_saveexec_b32 s41, s14
	s_cbranch_execnz .LBB4_1926
	s_branch .LBB4_1927
.LBB4_2061:                             ;   in Loop: Header=BB4_1423 Depth=2
	s_or_saveexec_b32 s41, s41
	v_mov_b32_e32 v103, 0x7f800001
	s_xor_b32 exec_lo, exec_lo, s41
	s_cbranch_execz .LBB4_1939
.LBB4_2062:                             ;   in Loop: Header=BB4_1423 Depth=2
	v_cmp_ne_u16_sdwa s42, v114, v36 src0_sel:BYTE_0 src1_sel:DWORD
	v_mov_b32_e32 v103, 0
	s_andn2_b32 s14, s14, exec_lo
	s_and_b32 s42, s42, exec_lo
	s_or_b32 s14, s14, s42
	s_or_b32 exec_lo, exec_lo, s41
	v_lshl_or_b32 v114, v114, 16, v116
	s_and_saveexec_b32 s41, s14
	s_cbranch_execnz .LBB4_1940
	s_branch .LBB4_1941
.LBB4_2063:                             ;   in Loop: Header=BB4_1423 Depth=2
	s_or_saveexec_b32 s41, s41
	v_mov_b32_e32 v116, 0x7f800001
	s_xor_b32 exec_lo, exec_lo, s41
	s_cbranch_execz .LBB4_1945
.LBB4_2064:                             ;   in Loop: Header=BB4_1423 Depth=2
	v_cmp_ne_u16_e32 vcc_lo, 0, v43
	v_mov_b32_e32 v116, 0
	s_andn2_b32 s14, s14, exec_lo
	s_and_b32 s42, vcc_lo, exec_lo
	s_or_b32 s14, s14, s42
	s_or_b32 exec_lo, exec_lo, s41
	s_and_saveexec_b32 s41, s14
	s_cbranch_execnz .LBB4_1946
	s_branch .LBB4_1947
.LBB4_2065:                             ;   in Loop: Header=BB4_1423 Depth=2
	s_or_saveexec_b32 s41, s41
	v_mov_b32_e32 v116, 0x7f800001
	s_xor_b32 exec_lo, exec_lo, s41
	s_cbranch_execz .LBB4_1959
.LBB4_2066:                             ;   in Loop: Header=BB4_1423 Depth=2
	v_cmp_ne_u16_sdwa s42, v114, v36 src0_sel:BYTE_3 src1_sel:DWORD
	v_mov_b32_e32 v116, 0
	s_andn2_b32 s14, s14, exec_lo
	s_and_b32 s42, s42, exec_lo
	s_or_b32 s14, s14, s42
	s_or_b32 exec_lo, exec_lo, s41
	s_and_saveexec_b32 s41, s14
	s_cbranch_execnz .LBB4_1960
	s_branch .LBB4_1961
.LBB4_2067:                             ;   in Loop: Header=BB4_1423 Depth=2
	s_or_saveexec_b32 s41, s41
	v_mov_b32_e32 v114, 0x7f800001
	s_xor_b32 exec_lo, exec_lo, s41
	s_cbranch_execz .LBB4_1965
.LBB4_2068:                             ;   in Loop: Header=BB4_1423 Depth=2
	v_cmp_ne_u16_sdwa s42, v13, v36 src0_sel:BYTE_3 src1_sel:DWORD
	v_mov_b32_e32 v114, 0
	s_andn2_b32 s14, s14, exec_lo
	s_and_b32 s42, s42, exec_lo
	s_or_b32 s14, s14, s42
	s_or_b32 exec_lo, exec_lo, s41
	s_and_saveexec_b32 s41, s14
	s_cbranch_execnz .LBB4_1966
	s_branch .LBB4_1967
.LBB4_2069:                             ;   in Loop: Header=BB4_49 Depth=1
	s_or_b32 exec_lo, exec_lo, s28
.LBB4_2070:                             ;   in Loop: Header=BB4_49 Depth=1
	s_or_b32 exec_lo, exec_lo, s27
	v_cmp_lt_i32_e32 vcc_lo, 0, v66
	v_and_b32_e32 v10, 15, v37
	v_and_b32_e32 v11, 0x1f0, v37
	v_cndmask_b32_e32 v12, 0, v81, vcc_lo
	v_cndmask_b32_e64 v55, v65, v10, s13
	v_cndmask_b32_e64 v10, 0, v11, s13
	v_sub_nc_u32_e32 v11, v12, v66
	v_cmp_ne_u32_e32 vcc_lo, 0, v55
	v_and_or_b32 v54, 0x3ffffe00, v37, v10
	v_lshl_add_u32 v64, v11, 5, v64
	s_and_b32 s13, vcc_lo, exec_lo
.LBB4_2071:                             ;   in Loop: Header=BB4_49 Depth=1
	s_or_b32 exec_lo, exec_lo, s26
	s_and_saveexec_b32 s14, s13
	s_cbranch_execz .LBB4_2776
.LBB4_2072:                             ;   in Loop: Header=BB4_49 Depth=1
	v_ashrrev_i32_e32 v10, 31, v64
	v_lshrrev_b32_e32 v11, 9, v55
	s_mov_b32 s26, exec_lo
	v_lshrrev_b32_e32 v10, 27, v10
	v_add_nc_u32_e32 v10, v64, v10
	v_ashrrev_i32_e32 v65, 5, v10
	v_sub_nc_u32_e32 v66, v11, v65
	v_cmpx_lt_i32_e32 0, v66
	s_cbranch_execz .LBB4_2724
; %bb.2073:                             ;   in Loop: Header=BB4_49 Depth=1
	v_and_b32_e32 v10, 0xffffffe0, v10
	s_trap 2
	ds_read_b64 v[12:13], v0
	v_lshlrev_b32_e32 v11, 9, v65
	v_add_co_u32 v16, vcc_lo, 0x1e0, v52
	v_sub_nc_u32_e32 v10, v64, v10
	v_add_co_ci_u32_e64 v17, null, 0, v53, vcc_lo
	s_mov_b32 s27, 0
	v_add3_u32 v14, v54, v10, v11
	v_ashrrev_i32_e32 v15, 31, v14
	v_add_co_u32 v10, vcc_lo, v14, v50
	v_add_co_ci_u32_e64 v11, null, v15, v51, vcc_lo
	s_waitcnt lgkmcnt(0)
	v_add_co_u32 v12, vcc_lo, v12, v14
	v_add_co_ci_u32_e64 v13, null, v13, v15, vcc_lo
	v_add_co_u32 v14, vcc_lo, v16, v14
	v_add_co_ci_u32_e64 v15, null, v17, v15, vcc_lo
	s_branch .LBB4_2077
.LBB4_2074:                             ;   in Loop: Header=BB4_2077 Depth=2
	s_or_b32 exec_lo, exec_lo, s13
	v_lshrrev_b32_e32 v53, 20, v53
	v_cmp_gt_i32_e32 vcc_lo, 16, v16
	v_min_i32_e32 v114, 15, v16
	v_and_b32_sdwa v17, v17, v97 dst_sel:DWORD dst_unused:UNUSED_PAD src0_sel:BYTE_3 src1_sel:DWORD
	v_cndmask_b32_e32 v53, 7, v53, vcc_lo
	v_lshlrev_b32_e32 v114, 3, v114
	v_and_b32_e32 v119, 7, v53
	v_or_b32_e32 v16, v16, v53
	v_or3_b32 v17, v114, v17, v119
	v_cmp_ne_u32_e32 vcc_lo, 0, v16
	v_cndmask_b32_e32 v16, 0, v17, vcc_lo
.LBB4_2075:                             ;   in Loop: Header=BB4_2077 Depth=2
	s_or_b32 exec_lo, exec_lo, s29
.LBB4_2076:                             ;   in Loop: Header=BB4_2077 Depth=2
	s_or_b32 exec_lo, exec_lo, s28
	v_add_co_u32 v43, vcc_lo, 0xfffffe20, v14
	v_add_co_ci_u32_e64 v44, null, -1, v15, vcc_lo
	v_add_co_u32 v45, vcc_lo, 0xfffffe40, v14
	v_add_co_ci_u32_e64 v46, null, -1, v15, vcc_lo
	;; [unrolled: 2-line block ×5, first 2 shown]
	flat_store_byte v[43:44], v50 glc slc
	flat_store_byte v[45:46], v103 glc slc
	;; [unrolled: 1-line block ×5, first 2 shown]
	v_add_co_u32 v41, vcc_lo, 0xfffffec0, v14
	v_add_co_ci_u32_e64 v42, null, -1, v15, vcc_lo
	v_add_co_u32 v43, vcc_lo, 0xfffffee0, v14
	v_add_co_ci_u32_e64 v44, null, -1, v15, vcc_lo
	;; [unrolled: 2-line block ×5, first 2 shown]
	flat_store_byte v[41:42], v40 glc slc
	flat_store_byte v[43:44], v118 glc slc
	;; [unrolled: 1-line block ×5, first 2 shown]
	v_add_co_u32 v113, vcc_lo, 0xffffff60, v14
	v_add_co_ci_u32_e64 v114, null, -1, v15, vcc_lo
	v_add_co_u32 v115, vcc_lo, 0xffffff80, v14
	v_add_co_ci_u32_e64 v116, null, -1, v15, vcc_lo
	;; [unrolled: 2-line block ×4, first 2 shown]
	v_add_co_u32 v42, vcc_lo, 0xffffffe0, v14
	v_sub_nc_u32_e32 v66, v66, v81
	v_add_co_ci_u32_e64 v43, null, -1, v15, vcc_lo
	v_add_co_u32 v10, vcc_lo, v10, v84
	v_add_co_ci_u32_e64 v11, null, 0, v11, vcc_lo
	v_add_co_u32 v12, vcc_lo, v12, v84
	flat_store_byte v[113:114], v112 glc slc
	flat_store_byte v[115:116], v102 glc slc
	flat_store_byte v[117:118], v67 glc slc
	flat_store_byte v[40:41], v52 glc slc
	flat_store_byte v[42:43], v51 glc slc
	flat_store_byte v[14:15], v16 glc slc
	v_add_co_ci_u32_e64 v13, null, 0, v13, vcc_lo
	v_cmp_gt_i32_e32 vcc_lo, 1, v66
	v_add_co_u32 v14, s13, v14, v84
	v_add_co_ci_u32_e64 v15, null, 0, v15, s13
	s_or_b32 s27, vcc_lo, s27
	s_andn2_b32 exec_lo, exec_lo, s27
	s_cbranch_execz .LBB4_2723
.LBB4_2077:                             ;   Parent Loop BB4_49 Depth=1
                                        ; =>  This Inner Loop Header: Depth=2
	s_trap 2
	ds_read_b64 v[16:17], v0
	s_waitcnt lgkmcnt(0)
	v_readfirstlane_b32 s13, v16
	s_and_b32 s28, s13, 0xff
	s_cmpk_lt_i32 s28, 0x80
	s_cbranch_scc1 .LBB4_2081
; %bb.2078:                             ;   in Loop: Header=BB4_2077 Depth=2
	s_and_b32 s29, 0xffff, s28
	s_cmpk_eq_i32 s29, 0x80
	s_mov_b32 s29, -1
	s_cbranch_scc0 .LBB4_2080
; %bb.2079:                             ;   in Loop: Header=BB4_2077 Depth=2
	s_mov_b32 s29, 0
.LBB4_2080:                             ;   in Loop: Header=BB4_2077 Depth=2
	s_mov_b32 s40, 0x7f800001
	s_branch .LBB4_2083
.LBB4_2081:                             ;   in Loop: Header=BB4_2077 Depth=2
	s_mov_b32 s29, 0
	s_mov_b32 s40, 0x7f800001
	s_cbranch_execz .LBB4_2083
; %bb.2082:                             ;   in Loop: Header=BB4_2077 Depth=2
	s_and_b32 s28, 0xffff, s28
	s_mov_b32 s40, 0
	s_cmp_lg_u32 s28, 0
	s_cselect_b32 s29, -1, 0
.LBB4_2083:                             ;   in Loop: Header=BB4_2077 Depth=2
	v_mov_b32_e32 v17, s40
	s_andn2_b32 vcc_lo, exec_lo, s29
	s_cbranch_vccnz .LBB4_2085
; %bb.2084:                             ;   in Loop: Header=BB4_2077 Depth=2
	s_and_b32 s28, s13, 7
	s_bfe_u32 s40, s13, 0x40003
	s_flbit_i32_b32 s29, s28
	v_lshlrev_b32_e32 v16, 24, v16
	s_min_u32 s29, s29, 32
	s_sub_i32 s41, s29, 28
	s_sub_i32 s29, 29, s29
	s_lshl_b32 s13, s13, s41
	v_and_b32_e32 v16, 0x80000000, v16
	s_and_b32 s13, s13, 7
	s_cmp_eq_u32 s40, 0
	s_cselect_b32 s29, s29, s40
	s_cselect_b32 s13, s13, s28
	s_lshl_b32 s28, s29, 23
	s_lshl_b32 s13, s13, 20
	s_add_i32 s28, s28, 0x3b800000
	v_or_b32_e32 v16, s28, v16
	v_or_b32_e32 v17, s13, v16
.LBB4_2085:                             ;   in Loop: Header=BB4_2077 Depth=2
	flat_load_ubyte v16, v[10:11] slc
	s_mov_b32 s13, 0
	s_mov_b32 s28, exec_lo
	s_waitcnt vmcnt(0) lgkmcnt(0)
	v_cmpx_lt_i16_e32 0x7f, v16
	s_xor_b32 s28, exec_lo, s28
	s_cbranch_execz .LBB4_2627
; %bb.2086:                             ;   in Loop: Header=BB4_2077 Depth=2
	s_mov_b32 s13, -1
	s_mov_b32 s29, exec_lo
	v_cmpx_eq_u16_e32 0x80, v16
; %bb.2087:                             ;   in Loop: Header=BB4_2077 Depth=2
	s_xor_b32 s13, exec_lo, -1
; %bb.2088:                             ;   in Loop: Header=BB4_2077 Depth=2
	s_or_b32 exec_lo, exec_lo, s29
	s_and_b32 s13, s13, exec_lo
	s_or_saveexec_b32 s28, s28
	v_mov_b32_e32 v50, 0x7f800001
	s_xor_b32 exec_lo, exec_lo, s28
	s_cbranch_execnz .LBB4_2628
.LBB4_2089:                             ;   in Loop: Header=BB4_2077 Depth=2
	s_or_b32 exec_lo, exec_lo, s28
	s_and_saveexec_b32 s28, s13
	s_cbranch_execz .LBB4_2091
.LBB4_2090:                             ;   in Loop: Header=BB4_2077 Depth=2
	v_and_b32_e32 v50, 0xffff, v16
	v_lshlrev_b32_e32 v16, 24, v16
	v_and_b32_e32 v51, 7, v50
	v_bfe_u32 v67, v50, 3, 4
	v_and_b32_e32 v16, 0x80000000, v16
	v_ffbh_u32_e32 v52, v51
	v_cmp_eq_u32_e32 vcc_lo, 0, v67
	v_min_u32_e32 v52, 32, v52
	v_subrev_nc_u32_e32 v53, 28, v52
	v_sub_nc_u32_e32 v52, 29, v52
	v_lshlrev_b32_e32 v50, v53, v50
	v_cndmask_b32_e32 v52, v67, v52, vcc_lo
	v_and_b32_e32 v50, 7, v50
	v_cndmask_b32_e32 v50, v51, v50, vcc_lo
	v_lshl_add_u32 v51, v52, 23, 0x3b800000
	v_lshlrev_b32_e32 v50, 20, v50
	v_or3_b32 v50, v16, v51, v50
.LBB4_2091:                             ;   in Loop: Header=BB4_2077 Depth=2
	s_or_b32 exec_lo, exec_lo, s28
	v_mul_f32_e32 v16, v17, v50
	v_and_b32_e32 v50, 0x7f800000, v16
	v_cmp_ne_u32_e32 vcc_lo, 0x7f800000, v50
	v_mov_b32_e32 v50, 0x80
	s_and_saveexec_b32 s28, vcc_lo
	s_cbranch_execz .LBB4_2099
; %bb.2092:                             ;   in Loop: Header=BB4_2077 Depth=2
	v_mov_b32_e32 v50, 0
	s_mov_b32 s29, exec_lo
	v_cmpx_ne_u32_e32 0, v16
	s_cbranch_execz .LBB4_2098
; %bb.2093:                             ;   in Loop: Header=BB4_2077 Depth=2
	v_bfe_u32 v50, v16, 23, 8
	v_and_b32_e32 v51, 0x7fffff, v16
	v_sub_nc_u32_e32 v52, 0x78, v50
	v_cmp_gt_u32_e32 vcc_lo, 0x79, v50
	v_or_b32_e32 v53, 0x800000, v51
	v_cndmask_b32_e32 v52, 0, v52, vcc_lo
	v_cmp_eq_u32_e32 vcc_lo, 0, v50
	v_add_nc_u32_e32 v50, 0xffffff89, v50
	v_cndmask_b32_e64 v52, v52, 0x77, vcc_lo
	v_cndmask_b32_e32 v51, v53, v51, vcc_lo
	v_cndmask_b32_e64 v50, v50, 0xffffff8a, vcc_lo
	v_lshl_add_u32 v53, 0x100000, v52, -1
	v_lshrrev_b32_e32 v67, v52, v51
	v_lshlrev_b32_e64 v103, v52, 0x80000
	v_add_nc_u32_e32 v52, v52, v50
	v_and_b32_e32 v51, v53, v51
	v_bfe_u32 v102, v67, 20, 1
	v_cmp_eq_u32_e64 s13, v51, v103
	v_add_nc_u32_e32 v53, -1, v102
	v_cndmask_b32_e64 v51, 0, v53, s13
	v_lshrrev_b32_e32 v53, 23, v67
	s_mov_b32 s13, exec_lo
	v_add_nc_u32_e32 v51, v51, v67
	v_xor_b32_e32 v53, 1, v53
	v_and_b32_e32 v50, 0xfffff, v51
	v_add_nc_u32_e32 v51, v50, v67
                                        ; implicit-def: $vgpr50
	v_cmpx_ne_u32_e64 v52, v53
	s_xor_b32 s13, exec_lo, s13
; %bb.2094:                             ;   in Loop: Header=BB4_2077 Depth=2
	v_cmp_lt_u32_e32 vcc_lo, 0xffffff, v51
	v_sub_nc_u32_e32 v50, v52, v53
	v_cndmask_b32_e64 v52, 0, 1, vcc_lo
	v_add_co_ci_u32_e64 v50, null, 0, v50, vcc_lo
	v_lshrrev_b32_e32 v51, v52, v51
; %bb.2095:                             ;   in Loop: Header=BB4_2077 Depth=2
	s_andn2_saveexec_b32 s13, s13
; %bb.2096:                             ;   in Loop: Header=BB4_2077 Depth=2
	v_bfe_u32 v50, v51, 23, 1
; %bb.2097:                             ;   in Loop: Header=BB4_2077 Depth=2
	s_or_b32 exec_lo, exec_lo, s13
	v_lshrrev_b32_e32 v51, 20, v51
	v_cmp_gt_i32_e32 vcc_lo, 16, v50
	v_min_i32_e32 v52, 15, v50
	v_and_b32_sdwa v16, v16, v97 dst_sel:DWORD dst_unused:UNUSED_PAD src0_sel:BYTE_3 src1_sel:DWORD
	v_cndmask_b32_e32 v51, 7, v51, vcc_lo
	v_lshlrev_b32_e32 v52, 3, v52
	v_and_b32_e32 v53, 7, v51
	v_or_b32_e32 v50, v50, v51
	v_or3_b32 v16, v52, v16, v53
	v_cmp_ne_u32_e32 vcc_lo, 0, v50
	v_cndmask_b32_e32 v50, 0, v16, vcc_lo
.LBB4_2098:                             ;   in Loop: Header=BB4_2077 Depth=2
	s_or_b32 exec_lo, exec_lo, s29
.LBB4_2099:                             ;   in Loop: Header=BB4_2077 Depth=2
	s_or_b32 exec_lo, exec_lo, s28
	flat_load_ubyte v16, v[10:11] offset:32 slc
	s_mov_b32 s13, 0
	s_mov_b32 s28, exec_lo
	s_waitcnt vmcnt(0) lgkmcnt(0)
	v_cmpx_lt_i16_e32 0x7f, v16
	s_xor_b32 s28, exec_lo, s28
	s_cbranch_execz .LBB4_2629
; %bb.2100:                             ;   in Loop: Header=BB4_2077 Depth=2
	s_mov_b32 s13, -1
	s_mov_b32 s29, exec_lo
	v_cmpx_eq_u16_e32 0x80, v16
; %bb.2101:                             ;   in Loop: Header=BB4_2077 Depth=2
	s_xor_b32 s13, exec_lo, -1
; %bb.2102:                             ;   in Loop: Header=BB4_2077 Depth=2
	s_or_b32 exec_lo, exec_lo, s29
	s_and_b32 s13, s13, exec_lo
	s_or_saveexec_b32 s28, s28
	v_mov_b32_e32 v51, 0x7f800001
	s_xor_b32 exec_lo, exec_lo, s28
	s_cbranch_execnz .LBB4_2630
.LBB4_2103:                             ;   in Loop: Header=BB4_2077 Depth=2
	s_or_b32 exec_lo, exec_lo, s28
	s_and_saveexec_b32 s28, s13
	s_cbranch_execz .LBB4_2105
.LBB4_2104:                             ;   in Loop: Header=BB4_2077 Depth=2
	v_and_b32_e32 v51, 0xffff, v16
	v_lshlrev_b32_e32 v16, 24, v16
	v_and_b32_e32 v52, 7, v51
	v_bfe_u32 v102, v51, 3, 4
	v_and_b32_e32 v16, 0x80000000, v16
	v_ffbh_u32_e32 v53, v52
	v_cmp_eq_u32_e32 vcc_lo, 0, v102
	v_min_u32_e32 v53, 32, v53
	v_subrev_nc_u32_e32 v67, 28, v53
	v_sub_nc_u32_e32 v53, 29, v53
	v_lshlrev_b32_e32 v51, v67, v51
	v_cndmask_b32_e32 v53, v102, v53, vcc_lo
	v_and_b32_e32 v51, 7, v51
	v_cndmask_b32_e32 v51, v52, v51, vcc_lo
	v_lshl_add_u32 v52, v53, 23, 0x3b800000
	v_lshlrev_b32_e32 v51, 20, v51
	v_or3_b32 v51, v16, v52, v51
.LBB4_2105:                             ;   in Loop: Header=BB4_2077 Depth=2
	s_or_b32 exec_lo, exec_lo, s28
	v_mul_f32_e32 v16, v17, v51
	v_mov_b32_e32 v103, 0x80
	s_mov_b32 s28, exec_lo
	v_and_b32_e32 v51, 0x7f800000, v16
	v_cmpx_ne_u32_e32 0x7f800000, v51
	s_cbranch_execz .LBB4_2113
; %bb.2106:                             ;   in Loop: Header=BB4_2077 Depth=2
	v_mov_b32_e32 v103, 0
	s_mov_b32 s29, exec_lo
	v_cmpx_ne_u32_e32 0, v16
	s_cbranch_execz .LBB4_2112
; %bb.2107:                             ;   in Loop: Header=BB4_2077 Depth=2
	v_bfe_u32 v51, v16, 23, 8
	v_and_b32_e32 v52, 0x7fffff, v16
	v_sub_nc_u32_e32 v53, 0x78, v51
	v_cmp_gt_u32_e32 vcc_lo, 0x79, v51
	v_or_b32_e32 v67, 0x800000, v52
	v_cndmask_b32_e32 v53, 0, v53, vcc_lo
	v_cmp_eq_u32_e32 vcc_lo, 0, v51
	v_add_nc_u32_e32 v51, 0xffffff89, v51
	v_cndmask_b32_e64 v53, v53, 0x77, vcc_lo
	v_cndmask_b32_e32 v52, v67, v52, vcc_lo
	v_cndmask_b32_e64 v51, v51, 0xffffff8a, vcc_lo
	v_lshl_add_u32 v67, 0x100000, v53, -1
	v_lshrrev_b32_e32 v102, v53, v52
	v_lshlrev_b32_e64 v112, v53, 0x80000
	v_add_nc_u32_e32 v53, v53, v51
	v_and_b32_e32 v52, v67, v52
	v_bfe_u32 v103, v102, 20, 1
	v_cmp_eq_u32_e64 s13, v52, v112
	v_add_nc_u32_e32 v67, -1, v103
	v_cndmask_b32_e64 v52, 0, v67, s13
	v_lshrrev_b32_e32 v67, 23, v102
	s_mov_b32 s13, exec_lo
	v_add_nc_u32_e32 v52, v52, v102
	v_xor_b32_e32 v67, 1, v67
	v_and_b32_e32 v51, 0xfffff, v52
	v_add_nc_u32_e32 v52, v51, v102
                                        ; implicit-def: $vgpr51
	v_cmpx_ne_u32_e64 v53, v67
	s_xor_b32 s13, exec_lo, s13
; %bb.2108:                             ;   in Loop: Header=BB4_2077 Depth=2
	v_cmp_lt_u32_e32 vcc_lo, 0xffffff, v52
	v_sub_nc_u32_e32 v51, v53, v67
	v_cndmask_b32_e64 v53, 0, 1, vcc_lo
	v_add_co_ci_u32_e64 v51, null, 0, v51, vcc_lo
	v_lshrrev_b32_e32 v52, v53, v52
; %bb.2109:                             ;   in Loop: Header=BB4_2077 Depth=2
	s_andn2_saveexec_b32 s13, s13
; %bb.2110:                             ;   in Loop: Header=BB4_2077 Depth=2
	v_bfe_u32 v51, v52, 23, 1
; %bb.2111:                             ;   in Loop: Header=BB4_2077 Depth=2
	s_or_b32 exec_lo, exec_lo, s13
	v_lshrrev_b32_e32 v52, 20, v52
	v_cmp_gt_i32_e32 vcc_lo, 16, v51
	v_min_i32_e32 v53, 15, v51
	v_and_b32_sdwa v16, v16, v97 dst_sel:DWORD dst_unused:UNUSED_PAD src0_sel:BYTE_3 src1_sel:DWORD
	v_cndmask_b32_e32 v52, 7, v52, vcc_lo
	v_lshlrev_b32_e32 v53, 3, v53
	v_and_b32_e32 v67, 7, v52
	v_or_b32_e32 v51, v51, v52
	v_or3_b32 v16, v53, v16, v67
	v_cmp_ne_u32_e32 vcc_lo, 0, v51
	v_cndmask_b32_e32 v103, 0, v16, vcc_lo
.LBB4_2112:                             ;   in Loop: Header=BB4_2077 Depth=2
	s_or_b32 exec_lo, exec_lo, s29
.LBB4_2113:                             ;   in Loop: Header=BB4_2077 Depth=2
	s_or_b32 exec_lo, exec_lo, s28
	flat_load_ubyte v16, v[10:11] offset:64 slc
	s_mov_b32 s13, 0
	s_mov_b32 s28, exec_lo
	s_waitcnt vmcnt(0) lgkmcnt(0)
	v_cmpx_lt_i16_e32 0x7f, v16
	s_xor_b32 s28, exec_lo, s28
	s_cbranch_execz .LBB4_2631
; %bb.2114:                             ;   in Loop: Header=BB4_2077 Depth=2
	s_mov_b32 s13, -1
	s_mov_b32 s29, exec_lo
	v_cmpx_eq_u16_e32 0x80, v16
; %bb.2115:                             ;   in Loop: Header=BB4_2077 Depth=2
	s_xor_b32 s13, exec_lo, -1
; %bb.2116:                             ;   in Loop: Header=BB4_2077 Depth=2
	s_or_b32 exec_lo, exec_lo, s29
	s_and_b32 s13, s13, exec_lo
	s_or_saveexec_b32 s28, s28
	v_mov_b32_e32 v51, 0x7f800001
	s_xor_b32 exec_lo, exec_lo, s28
	s_cbranch_execnz .LBB4_2632
.LBB4_2117:                             ;   in Loop: Header=BB4_2077 Depth=2
	s_or_b32 exec_lo, exec_lo, s28
	s_and_saveexec_b32 s28, s13
	s_cbranch_execz .LBB4_2119
.LBB4_2118:                             ;   in Loop: Header=BB4_2077 Depth=2
	v_and_b32_e32 v51, 0xffff, v16
	v_lshlrev_b32_e32 v16, 24, v16
	v_and_b32_e32 v52, 7, v51
	v_bfe_u32 v102, v51, 3, 4
	v_and_b32_e32 v16, 0x80000000, v16
	v_ffbh_u32_e32 v53, v52
	v_cmp_eq_u32_e32 vcc_lo, 0, v102
	v_min_u32_e32 v53, 32, v53
	v_subrev_nc_u32_e32 v67, 28, v53
	v_sub_nc_u32_e32 v53, 29, v53
	v_lshlrev_b32_e32 v51, v67, v51
	v_cndmask_b32_e32 v53, v102, v53, vcc_lo
	v_and_b32_e32 v51, 7, v51
	v_cndmask_b32_e32 v51, v52, v51, vcc_lo
	v_lshl_add_u32 v52, v53, 23, 0x3b800000
	v_lshlrev_b32_e32 v51, 20, v51
	v_or3_b32 v51, v16, v52, v51
.LBB4_2119:                             ;   in Loop: Header=BB4_2077 Depth=2
	s_or_b32 exec_lo, exec_lo, s28
	v_mul_f32_e32 v16, v17, v51
	v_mov_b32_e32 v116, 0x80
	s_mov_b32 s28, exec_lo
	v_and_b32_e32 v51, 0x7f800000, v16
	v_cmpx_ne_u32_e32 0x7f800000, v51
	s_cbranch_execz .LBB4_2127
; %bb.2120:                             ;   in Loop: Header=BB4_2077 Depth=2
	v_mov_b32_e32 v116, 0
	s_mov_b32 s29, exec_lo
	v_cmpx_ne_u32_e32 0, v16
	s_cbranch_execz .LBB4_2126
; %bb.2121:                             ;   in Loop: Header=BB4_2077 Depth=2
	v_bfe_u32 v51, v16, 23, 8
	v_and_b32_e32 v52, 0x7fffff, v16
	v_sub_nc_u32_e32 v53, 0x78, v51
	v_cmp_gt_u32_e32 vcc_lo, 0x79, v51
	v_or_b32_e32 v67, 0x800000, v52
	v_cndmask_b32_e32 v53, 0, v53, vcc_lo
	v_cmp_eq_u32_e32 vcc_lo, 0, v51
	v_add_nc_u32_e32 v51, 0xffffff89, v51
	v_cndmask_b32_e64 v53, v53, 0x77, vcc_lo
	v_cndmask_b32_e32 v52, v67, v52, vcc_lo
	v_cndmask_b32_e64 v51, v51, 0xffffff8a, vcc_lo
	v_lshl_add_u32 v67, 0x100000, v53, -1
	v_lshrrev_b32_e32 v102, v53, v52
	v_lshlrev_b32_e64 v113, v53, 0x80000
	v_add_nc_u32_e32 v53, v53, v51
	v_and_b32_e32 v52, v67, v52
	v_bfe_u32 v112, v102, 20, 1
	v_cmp_eq_u32_e64 s13, v52, v113
	v_add_nc_u32_e32 v67, -1, v112
	v_cndmask_b32_e64 v52, 0, v67, s13
	v_lshrrev_b32_e32 v67, 23, v102
	s_mov_b32 s13, exec_lo
	v_add_nc_u32_e32 v52, v52, v102
	v_xor_b32_e32 v67, 1, v67
	v_and_b32_e32 v51, 0xfffff, v52
	v_add_nc_u32_e32 v52, v51, v102
                                        ; implicit-def: $vgpr51
	v_cmpx_ne_u32_e64 v53, v67
	s_xor_b32 s13, exec_lo, s13
; %bb.2122:                             ;   in Loop: Header=BB4_2077 Depth=2
	v_cmp_lt_u32_e32 vcc_lo, 0xffffff, v52
	v_sub_nc_u32_e32 v51, v53, v67
	v_cndmask_b32_e64 v53, 0, 1, vcc_lo
	v_add_co_ci_u32_e64 v51, null, 0, v51, vcc_lo
	v_lshrrev_b32_e32 v52, v53, v52
; %bb.2123:                             ;   in Loop: Header=BB4_2077 Depth=2
	s_andn2_saveexec_b32 s13, s13
; %bb.2124:                             ;   in Loop: Header=BB4_2077 Depth=2
	v_bfe_u32 v51, v52, 23, 1
; %bb.2125:                             ;   in Loop: Header=BB4_2077 Depth=2
	s_or_b32 exec_lo, exec_lo, s13
	v_lshrrev_b32_e32 v52, 20, v52
	v_cmp_gt_i32_e32 vcc_lo, 16, v51
	v_min_i32_e32 v53, 15, v51
	v_and_b32_sdwa v16, v16, v97 dst_sel:DWORD dst_unused:UNUSED_PAD src0_sel:BYTE_3 src1_sel:DWORD
	v_cndmask_b32_e32 v52, 7, v52, vcc_lo
	v_lshlrev_b32_e32 v53, 3, v53
	v_and_b32_e32 v67, 7, v52
	v_or_b32_e32 v51, v51, v52
	v_or3_b32 v16, v53, v16, v67
	v_cmp_ne_u32_e32 vcc_lo, 0, v51
	v_cndmask_b32_e32 v116, 0, v16, vcc_lo
.LBB4_2126:                             ;   in Loop: Header=BB4_2077 Depth=2
	s_or_b32 exec_lo, exec_lo, s29
.LBB4_2127:                             ;   in Loop: Header=BB4_2077 Depth=2
	s_or_b32 exec_lo, exec_lo, s28
	flat_load_ubyte v16, v[10:11] offset:96 slc
	s_mov_b32 s13, 0
	s_mov_b32 s28, exec_lo
	s_waitcnt vmcnt(0) lgkmcnt(0)
	v_cmpx_lt_i16_e32 0x7f, v16
	s_xor_b32 s28, exec_lo, s28
	s_cbranch_execz .LBB4_2633
; %bb.2128:                             ;   in Loop: Header=BB4_2077 Depth=2
	s_mov_b32 s13, -1
	s_mov_b32 s29, exec_lo
	v_cmpx_eq_u16_e32 0x80, v16
; %bb.2129:                             ;   in Loop: Header=BB4_2077 Depth=2
	s_xor_b32 s13, exec_lo, -1
; %bb.2130:                             ;   in Loop: Header=BB4_2077 Depth=2
	s_or_b32 exec_lo, exec_lo, s29
	s_and_b32 s13, s13, exec_lo
	s_or_saveexec_b32 s28, s28
	v_mov_b32_e32 v51, 0x7f800001
	s_xor_b32 exec_lo, exec_lo, s28
	s_cbranch_execnz .LBB4_2634
.LBB4_2131:                             ;   in Loop: Header=BB4_2077 Depth=2
	s_or_b32 exec_lo, exec_lo, s28
	s_and_saveexec_b32 s28, s13
	s_cbranch_execz .LBB4_2133
.LBB4_2132:                             ;   in Loop: Header=BB4_2077 Depth=2
	v_and_b32_e32 v51, 0xffff, v16
	v_lshlrev_b32_e32 v16, 24, v16
	v_and_b32_e32 v52, 7, v51
	v_bfe_u32 v102, v51, 3, 4
	v_and_b32_e32 v16, 0x80000000, v16
	v_ffbh_u32_e32 v53, v52
	v_cmp_eq_u32_e32 vcc_lo, 0, v102
	v_min_u32_e32 v53, 32, v53
	v_subrev_nc_u32_e32 v67, 28, v53
	v_sub_nc_u32_e32 v53, 29, v53
	v_lshlrev_b32_e32 v51, v67, v51
	v_cndmask_b32_e32 v53, v102, v53, vcc_lo
	v_and_b32_e32 v51, 7, v51
	v_cndmask_b32_e32 v51, v52, v51, vcc_lo
	v_lshl_add_u32 v52, v53, 23, 0x3b800000
	v_lshlrev_b32_e32 v51, 20, v51
	v_or3_b32 v51, v16, v52, v51
.LBB4_2133:                             ;   in Loop: Header=BB4_2077 Depth=2
	s_or_b32 exec_lo, exec_lo, s28
	v_mul_f32_e32 v16, v17, v51
	v_mov_b32_e32 v41, 0x80
	s_mov_b32 s28, exec_lo
	v_and_b32_e32 v51, 0x7f800000, v16
	v_cmpx_ne_u32_e32 0x7f800000, v51
	s_cbranch_execz .LBB4_2141
; %bb.2134:                             ;   in Loop: Header=BB4_2077 Depth=2
	v_mov_b32_e32 v41, 0
	s_mov_b32 s29, exec_lo
	v_cmpx_ne_u32_e32 0, v16
	s_cbranch_execz .LBB4_2140
; %bb.2135:                             ;   in Loop: Header=BB4_2077 Depth=2
	v_bfe_u32 v51, v16, 23, 8
	v_and_b32_e32 v52, 0x7fffff, v16
	v_sub_nc_u32_e32 v53, 0x78, v51
	v_cmp_gt_u32_e32 vcc_lo, 0x79, v51
	v_or_b32_e32 v67, 0x800000, v52
	v_cndmask_b32_e32 v53, 0, v53, vcc_lo
	v_cmp_eq_u32_e32 vcc_lo, 0, v51
	v_add_nc_u32_e32 v51, 0xffffff89, v51
	v_cndmask_b32_e64 v53, v53, 0x77, vcc_lo
	v_cndmask_b32_e32 v52, v67, v52, vcc_lo
	v_cndmask_b32_e64 v51, v51, 0xffffff8a, vcc_lo
	v_lshl_add_u32 v67, 0x100000, v53, -1
	v_lshrrev_b32_e32 v102, v53, v52
	v_lshlrev_b32_e64 v113, v53, 0x80000
	v_add_nc_u32_e32 v53, v53, v51
	v_and_b32_e32 v52, v67, v52
	v_bfe_u32 v112, v102, 20, 1
	v_cmp_eq_u32_e64 s13, v52, v113
	v_add_nc_u32_e32 v67, -1, v112
	v_cndmask_b32_e64 v52, 0, v67, s13
	v_lshrrev_b32_e32 v67, 23, v102
	s_mov_b32 s13, exec_lo
	v_add_nc_u32_e32 v52, v52, v102
	v_xor_b32_e32 v67, 1, v67
	v_and_b32_e32 v51, 0xfffff, v52
	v_add_nc_u32_e32 v52, v51, v102
                                        ; implicit-def: $vgpr51
	v_cmpx_ne_u32_e64 v53, v67
	s_xor_b32 s13, exec_lo, s13
; %bb.2136:                             ;   in Loop: Header=BB4_2077 Depth=2
	v_cmp_lt_u32_e32 vcc_lo, 0xffffff, v52
	v_sub_nc_u32_e32 v51, v53, v67
	v_cndmask_b32_e64 v53, 0, 1, vcc_lo
	v_add_co_ci_u32_e64 v51, null, 0, v51, vcc_lo
	v_lshrrev_b32_e32 v52, v53, v52
; %bb.2137:                             ;   in Loop: Header=BB4_2077 Depth=2
	s_andn2_saveexec_b32 s13, s13
; %bb.2138:                             ;   in Loop: Header=BB4_2077 Depth=2
	v_bfe_u32 v51, v52, 23, 1
; %bb.2139:                             ;   in Loop: Header=BB4_2077 Depth=2
	s_or_b32 exec_lo, exec_lo, s13
	v_lshrrev_b32_e32 v52, 20, v52
	v_cmp_gt_i32_e32 vcc_lo, 16, v51
	v_min_i32_e32 v53, 15, v51
	v_and_b32_sdwa v16, v16, v97 dst_sel:DWORD dst_unused:UNUSED_PAD src0_sel:BYTE_3 src1_sel:DWORD
	v_cndmask_b32_e32 v52, 7, v52, vcc_lo
	v_lshlrev_b32_e32 v53, 3, v53
	v_and_b32_e32 v67, 7, v52
	v_or_b32_e32 v51, v51, v52
	v_or3_b32 v16, v53, v16, v67
	v_cmp_ne_u32_e32 vcc_lo, 0, v51
	v_cndmask_b32_e32 v41, 0, v16, vcc_lo
.LBB4_2140:                             ;   in Loop: Header=BB4_2077 Depth=2
	s_or_b32 exec_lo, exec_lo, s29
.LBB4_2141:                             ;   in Loop: Header=BB4_2077 Depth=2
	s_or_b32 exec_lo, exec_lo, s28
	flat_load_ubyte v16, v[10:11] offset:128 slc
	s_mov_b32 s13, 0
	s_mov_b32 s28, exec_lo
	s_waitcnt vmcnt(0) lgkmcnt(0)
	v_cmpx_lt_i16_e32 0x7f, v16
	s_xor_b32 s28, exec_lo, s28
	s_cbranch_execz .LBB4_2635
; %bb.2142:                             ;   in Loop: Header=BB4_2077 Depth=2
	s_mov_b32 s13, -1
	s_mov_b32 s29, exec_lo
	v_cmpx_eq_u16_e32 0x80, v16
; %bb.2143:                             ;   in Loop: Header=BB4_2077 Depth=2
	s_xor_b32 s13, exec_lo, -1
; %bb.2144:                             ;   in Loop: Header=BB4_2077 Depth=2
	s_or_b32 exec_lo, exec_lo, s29
	s_and_b32 s13, s13, exec_lo
	s_or_saveexec_b32 s28, s28
	v_mov_b32_e32 v51, 0x7f800001
	s_xor_b32 exec_lo, exec_lo, s28
	s_cbranch_execnz .LBB4_2636
.LBB4_2145:                             ;   in Loop: Header=BB4_2077 Depth=2
	s_or_b32 exec_lo, exec_lo, s28
	s_and_saveexec_b32 s28, s13
	s_cbranch_execz .LBB4_2147
.LBB4_2146:                             ;   in Loop: Header=BB4_2077 Depth=2
	v_and_b32_e32 v51, 0xffff, v16
	v_lshlrev_b32_e32 v16, 24, v16
	v_and_b32_e32 v52, 7, v51
	v_bfe_u32 v102, v51, 3, 4
	v_and_b32_e32 v16, 0x80000000, v16
	v_ffbh_u32_e32 v53, v52
	v_cmp_eq_u32_e32 vcc_lo, 0, v102
	v_min_u32_e32 v53, 32, v53
	v_subrev_nc_u32_e32 v67, 28, v53
	v_sub_nc_u32_e32 v53, 29, v53
	v_lshlrev_b32_e32 v51, v67, v51
	v_cndmask_b32_e32 v53, v102, v53, vcc_lo
	v_and_b32_e32 v51, 7, v51
	v_cndmask_b32_e32 v51, v52, v51, vcc_lo
	v_lshl_add_u32 v52, v53, 23, 0x3b800000
	v_lshlrev_b32_e32 v51, 20, v51
	v_or3_b32 v51, v16, v52, v51
.LBB4_2147:                             ;   in Loop: Header=BB4_2077 Depth=2
	s_or_b32 exec_lo, exec_lo, s28
	v_mul_f32_e32 v16, v17, v51
	v_mov_b32_e32 v42, 0x80
	s_mov_b32 s28, exec_lo
	v_and_b32_e32 v51, 0x7f800000, v16
	v_cmpx_ne_u32_e32 0x7f800000, v51
	s_cbranch_execz .LBB4_2155
; %bb.2148:                             ;   in Loop: Header=BB4_2077 Depth=2
	v_mov_b32_e32 v42, 0
	s_mov_b32 s29, exec_lo
	v_cmpx_ne_u32_e32 0, v16
	s_cbranch_execz .LBB4_2154
; %bb.2149:                             ;   in Loop: Header=BB4_2077 Depth=2
	v_bfe_u32 v51, v16, 23, 8
	v_and_b32_e32 v52, 0x7fffff, v16
	v_sub_nc_u32_e32 v53, 0x78, v51
	v_cmp_gt_u32_e32 vcc_lo, 0x79, v51
	v_or_b32_e32 v67, 0x800000, v52
	v_cndmask_b32_e32 v53, 0, v53, vcc_lo
	v_cmp_eq_u32_e32 vcc_lo, 0, v51
	v_add_nc_u32_e32 v51, 0xffffff89, v51
	v_cndmask_b32_e64 v53, v53, 0x77, vcc_lo
	v_cndmask_b32_e32 v52, v67, v52, vcc_lo
	v_cndmask_b32_e64 v51, v51, 0xffffff8a, vcc_lo
	v_lshl_add_u32 v67, 0x100000, v53, -1
	v_lshrrev_b32_e32 v102, v53, v52
	v_lshlrev_b32_e64 v113, v53, 0x80000
	v_add_nc_u32_e32 v53, v53, v51
	v_and_b32_e32 v52, v67, v52
	v_bfe_u32 v112, v102, 20, 1
	v_cmp_eq_u32_e64 s13, v52, v113
	v_add_nc_u32_e32 v67, -1, v112
	v_cndmask_b32_e64 v52, 0, v67, s13
	v_lshrrev_b32_e32 v67, 23, v102
	s_mov_b32 s13, exec_lo
	v_add_nc_u32_e32 v52, v52, v102
	v_xor_b32_e32 v67, 1, v67
	v_and_b32_e32 v51, 0xfffff, v52
	v_add_nc_u32_e32 v52, v51, v102
                                        ; implicit-def: $vgpr51
	v_cmpx_ne_u32_e64 v53, v67
	s_xor_b32 s13, exec_lo, s13
; %bb.2150:                             ;   in Loop: Header=BB4_2077 Depth=2
	v_cmp_lt_u32_e32 vcc_lo, 0xffffff, v52
	v_sub_nc_u32_e32 v51, v53, v67
	v_cndmask_b32_e64 v53, 0, 1, vcc_lo
	v_add_co_ci_u32_e64 v51, null, 0, v51, vcc_lo
	v_lshrrev_b32_e32 v52, v53, v52
; %bb.2151:                             ;   in Loop: Header=BB4_2077 Depth=2
	s_andn2_saveexec_b32 s13, s13
; %bb.2152:                             ;   in Loop: Header=BB4_2077 Depth=2
	v_bfe_u32 v51, v52, 23, 1
; %bb.2153:                             ;   in Loop: Header=BB4_2077 Depth=2
	s_or_b32 exec_lo, exec_lo, s13
	v_lshrrev_b32_e32 v52, 20, v52
	v_cmp_gt_i32_e32 vcc_lo, 16, v51
	v_min_i32_e32 v53, 15, v51
	v_and_b32_sdwa v16, v16, v97 dst_sel:DWORD dst_unused:UNUSED_PAD src0_sel:BYTE_3 src1_sel:DWORD
	v_cndmask_b32_e32 v52, 7, v52, vcc_lo
	v_lshlrev_b32_e32 v53, 3, v53
	v_and_b32_e32 v67, 7, v52
	v_or_b32_e32 v51, v51, v52
	v_or3_b32 v16, v53, v16, v67
	v_cmp_ne_u32_e32 vcc_lo, 0, v51
	v_cndmask_b32_e32 v42, 0, v16, vcc_lo
.LBB4_2154:                             ;   in Loop: Header=BB4_2077 Depth=2
	s_or_b32 exec_lo, exec_lo, s29
.LBB4_2155:                             ;   in Loop: Header=BB4_2077 Depth=2
	s_or_b32 exec_lo, exec_lo, s28
	flat_load_ubyte v16, v[10:11] offset:160 slc
	s_mov_b32 s13, 0
	s_mov_b32 s28, exec_lo
	s_waitcnt vmcnt(0) lgkmcnt(0)
	v_cmpx_lt_i16_e32 0x7f, v16
	s_xor_b32 s28, exec_lo, s28
	s_cbranch_execz .LBB4_2637
; %bb.2156:                             ;   in Loop: Header=BB4_2077 Depth=2
	s_mov_b32 s13, -1
	s_mov_b32 s29, exec_lo
	v_cmpx_eq_u16_e32 0x80, v16
; %bb.2157:                             ;   in Loop: Header=BB4_2077 Depth=2
	s_xor_b32 s13, exec_lo, -1
; %bb.2158:                             ;   in Loop: Header=BB4_2077 Depth=2
	s_or_b32 exec_lo, exec_lo, s29
	s_and_b32 s13, s13, exec_lo
	s_or_saveexec_b32 s28, s28
	v_mov_b32_e32 v51, 0x7f800001
	s_xor_b32 exec_lo, exec_lo, s28
	s_cbranch_execnz .LBB4_2638
.LBB4_2159:                             ;   in Loop: Header=BB4_2077 Depth=2
	s_or_b32 exec_lo, exec_lo, s28
	s_and_saveexec_b32 s28, s13
	s_cbranch_execz .LBB4_2161
.LBB4_2160:                             ;   in Loop: Header=BB4_2077 Depth=2
	v_and_b32_e32 v51, 0xffff, v16
	v_lshlrev_b32_e32 v16, 24, v16
	v_and_b32_e32 v52, 7, v51
	v_bfe_u32 v102, v51, 3, 4
	v_and_b32_e32 v16, 0x80000000, v16
	v_ffbh_u32_e32 v53, v52
	v_cmp_eq_u32_e32 vcc_lo, 0, v102
	v_min_u32_e32 v53, 32, v53
	v_subrev_nc_u32_e32 v67, 28, v53
	v_sub_nc_u32_e32 v53, 29, v53
	v_lshlrev_b32_e32 v51, v67, v51
	v_cndmask_b32_e32 v53, v102, v53, vcc_lo
	v_and_b32_e32 v51, 7, v51
	v_cndmask_b32_e32 v51, v52, v51, vcc_lo
	v_lshl_add_u32 v52, v53, 23, 0x3b800000
	v_lshlrev_b32_e32 v51, 20, v51
	v_or3_b32 v51, v16, v52, v51
.LBB4_2161:                             ;   in Loop: Header=BB4_2077 Depth=2
	s_or_b32 exec_lo, exec_lo, s28
	v_mul_f32_e32 v16, v17, v51
	v_mov_b32_e32 v40, 0x80
	s_mov_b32 s28, exec_lo
	v_and_b32_e32 v51, 0x7f800000, v16
	v_cmpx_ne_u32_e32 0x7f800000, v51
	s_cbranch_execz .LBB4_2169
; %bb.2162:                             ;   in Loop: Header=BB4_2077 Depth=2
	v_mov_b32_e32 v40, 0
	s_mov_b32 s29, exec_lo
	v_cmpx_ne_u32_e32 0, v16
	s_cbranch_execz .LBB4_2168
; %bb.2163:                             ;   in Loop: Header=BB4_2077 Depth=2
	v_bfe_u32 v51, v16, 23, 8
	v_and_b32_e32 v52, 0x7fffff, v16
	v_sub_nc_u32_e32 v53, 0x78, v51
	v_cmp_gt_u32_e32 vcc_lo, 0x79, v51
	v_or_b32_e32 v67, 0x800000, v52
	v_cndmask_b32_e32 v53, 0, v53, vcc_lo
	v_cmp_eq_u32_e32 vcc_lo, 0, v51
	v_add_nc_u32_e32 v51, 0xffffff89, v51
	v_cndmask_b32_e64 v53, v53, 0x77, vcc_lo
	v_cndmask_b32_e32 v52, v67, v52, vcc_lo
	v_cndmask_b32_e64 v51, v51, 0xffffff8a, vcc_lo
	v_lshl_add_u32 v67, 0x100000, v53, -1
	v_lshrrev_b32_e32 v102, v53, v52
	v_lshlrev_b32_e64 v113, v53, 0x80000
	v_add_nc_u32_e32 v53, v53, v51
	v_and_b32_e32 v52, v67, v52
	v_bfe_u32 v112, v102, 20, 1
	v_cmp_eq_u32_e64 s13, v52, v113
	v_add_nc_u32_e32 v67, -1, v112
	v_cndmask_b32_e64 v52, 0, v67, s13
	v_lshrrev_b32_e32 v67, 23, v102
	s_mov_b32 s13, exec_lo
	v_add_nc_u32_e32 v52, v52, v102
	v_xor_b32_e32 v67, 1, v67
	v_and_b32_e32 v51, 0xfffff, v52
	v_add_nc_u32_e32 v52, v51, v102
                                        ; implicit-def: $vgpr51
	v_cmpx_ne_u32_e64 v53, v67
	s_xor_b32 s13, exec_lo, s13
; %bb.2164:                             ;   in Loop: Header=BB4_2077 Depth=2
	v_cmp_lt_u32_e32 vcc_lo, 0xffffff, v52
	v_sub_nc_u32_e32 v51, v53, v67
	v_cndmask_b32_e64 v53, 0, 1, vcc_lo
	v_add_co_ci_u32_e64 v51, null, 0, v51, vcc_lo
	v_lshrrev_b32_e32 v52, v53, v52
; %bb.2165:                             ;   in Loop: Header=BB4_2077 Depth=2
	s_andn2_saveexec_b32 s13, s13
; %bb.2166:                             ;   in Loop: Header=BB4_2077 Depth=2
	v_bfe_u32 v51, v52, 23, 1
; %bb.2167:                             ;   in Loop: Header=BB4_2077 Depth=2
	s_or_b32 exec_lo, exec_lo, s13
	v_lshrrev_b32_e32 v52, 20, v52
	v_cmp_gt_i32_e32 vcc_lo, 16, v51
	v_min_i32_e32 v53, 15, v51
	v_and_b32_sdwa v16, v16, v97 dst_sel:DWORD dst_unused:UNUSED_PAD src0_sel:BYTE_3 src1_sel:DWORD
	v_cndmask_b32_e32 v52, 7, v52, vcc_lo
	v_lshlrev_b32_e32 v53, 3, v53
	v_and_b32_e32 v67, 7, v52
	v_or_b32_e32 v51, v51, v52
	v_or3_b32 v16, v53, v16, v67
	v_cmp_ne_u32_e32 vcc_lo, 0, v51
	v_cndmask_b32_e32 v40, 0, v16, vcc_lo
.LBB4_2168:                             ;   in Loop: Header=BB4_2077 Depth=2
	s_or_b32 exec_lo, exec_lo, s29
.LBB4_2169:                             ;   in Loop: Header=BB4_2077 Depth=2
	s_or_b32 exec_lo, exec_lo, s28
	flat_load_ubyte v16, v[10:11] offset:192 slc
	s_mov_b32 s13, 0
	s_mov_b32 s28, exec_lo
	s_waitcnt vmcnt(0) lgkmcnt(0)
	v_cmpx_lt_i16_e32 0x7f, v16
	s_xor_b32 s28, exec_lo, s28
	s_cbranch_execz .LBB4_2639
; %bb.2170:                             ;   in Loop: Header=BB4_2077 Depth=2
	s_mov_b32 s13, -1
	s_mov_b32 s29, exec_lo
	v_cmpx_eq_u16_e32 0x80, v16
; %bb.2171:                             ;   in Loop: Header=BB4_2077 Depth=2
	s_xor_b32 s13, exec_lo, -1
; %bb.2172:                             ;   in Loop: Header=BB4_2077 Depth=2
	s_or_b32 exec_lo, exec_lo, s29
	s_and_b32 s13, s13, exec_lo
	s_or_saveexec_b32 s28, s28
	v_mov_b32_e32 v51, 0x7f800001
	s_xor_b32 exec_lo, exec_lo, s28
	s_cbranch_execnz .LBB4_2640
.LBB4_2173:                             ;   in Loop: Header=BB4_2077 Depth=2
	s_or_b32 exec_lo, exec_lo, s28
	s_and_saveexec_b32 s28, s13
	s_cbranch_execz .LBB4_2175
.LBB4_2174:                             ;   in Loop: Header=BB4_2077 Depth=2
	v_and_b32_e32 v51, 0xffff, v16
	v_lshlrev_b32_e32 v16, 24, v16
	v_and_b32_e32 v52, 7, v51
	v_bfe_u32 v102, v51, 3, 4
	v_and_b32_e32 v16, 0x80000000, v16
	v_ffbh_u32_e32 v53, v52
	v_cmp_eq_u32_e32 vcc_lo, 0, v102
	v_min_u32_e32 v53, 32, v53
	v_subrev_nc_u32_e32 v67, 28, v53
	v_sub_nc_u32_e32 v53, 29, v53
	v_lshlrev_b32_e32 v51, v67, v51
	v_cndmask_b32_e32 v53, v102, v53, vcc_lo
	v_and_b32_e32 v51, 7, v51
	v_cndmask_b32_e32 v51, v52, v51, vcc_lo
	v_lshl_add_u32 v52, v53, 23, 0x3b800000
	v_lshlrev_b32_e32 v51, 20, v51
	v_or3_b32 v51, v16, v52, v51
.LBB4_2175:                             ;   in Loop: Header=BB4_2077 Depth=2
	s_or_b32 exec_lo, exec_lo, s28
	v_mul_f32_e32 v16, v17, v51
	v_mov_b32_e32 v118, 0x80
	s_mov_b32 s28, exec_lo
	v_and_b32_e32 v51, 0x7f800000, v16
	v_cmpx_ne_u32_e32 0x7f800000, v51
	s_cbranch_execz .LBB4_2183
; %bb.2176:                             ;   in Loop: Header=BB4_2077 Depth=2
	v_mov_b32_e32 v118, 0
	s_mov_b32 s29, exec_lo
	v_cmpx_ne_u32_e32 0, v16
	s_cbranch_execz .LBB4_2182
; %bb.2177:                             ;   in Loop: Header=BB4_2077 Depth=2
	v_bfe_u32 v51, v16, 23, 8
	v_and_b32_e32 v52, 0x7fffff, v16
	v_sub_nc_u32_e32 v53, 0x78, v51
	v_cmp_gt_u32_e32 vcc_lo, 0x79, v51
	v_or_b32_e32 v67, 0x800000, v52
	v_cndmask_b32_e32 v53, 0, v53, vcc_lo
	v_cmp_eq_u32_e32 vcc_lo, 0, v51
	v_add_nc_u32_e32 v51, 0xffffff89, v51
	v_cndmask_b32_e64 v53, v53, 0x77, vcc_lo
	v_cndmask_b32_e32 v52, v67, v52, vcc_lo
	v_cndmask_b32_e64 v51, v51, 0xffffff8a, vcc_lo
	v_lshl_add_u32 v67, 0x100000, v53, -1
	v_lshrrev_b32_e32 v102, v53, v52
	v_lshlrev_b32_e64 v113, v53, 0x80000
	v_add_nc_u32_e32 v53, v53, v51
	v_and_b32_e32 v52, v67, v52
	v_bfe_u32 v112, v102, 20, 1
	v_cmp_eq_u32_e64 s13, v52, v113
	v_add_nc_u32_e32 v67, -1, v112
	v_cndmask_b32_e64 v52, 0, v67, s13
	v_lshrrev_b32_e32 v67, 23, v102
	s_mov_b32 s13, exec_lo
	v_add_nc_u32_e32 v52, v52, v102
	v_xor_b32_e32 v67, 1, v67
	v_and_b32_e32 v51, 0xfffff, v52
	v_add_nc_u32_e32 v52, v51, v102
                                        ; implicit-def: $vgpr51
	v_cmpx_ne_u32_e64 v53, v67
	s_xor_b32 s13, exec_lo, s13
; %bb.2178:                             ;   in Loop: Header=BB4_2077 Depth=2
	v_cmp_lt_u32_e32 vcc_lo, 0xffffff, v52
	v_sub_nc_u32_e32 v51, v53, v67
	v_cndmask_b32_e64 v53, 0, 1, vcc_lo
	v_add_co_ci_u32_e64 v51, null, 0, v51, vcc_lo
	v_lshrrev_b32_e32 v52, v53, v52
; %bb.2179:                             ;   in Loop: Header=BB4_2077 Depth=2
	s_andn2_saveexec_b32 s13, s13
; %bb.2180:                             ;   in Loop: Header=BB4_2077 Depth=2
	v_bfe_u32 v51, v52, 23, 1
; %bb.2181:                             ;   in Loop: Header=BB4_2077 Depth=2
	s_or_b32 exec_lo, exec_lo, s13
	v_lshrrev_b32_e32 v52, 20, v52
	v_cmp_gt_i32_e32 vcc_lo, 16, v51
	v_min_i32_e32 v53, 15, v51
	v_and_b32_sdwa v16, v16, v97 dst_sel:DWORD dst_unused:UNUSED_PAD src0_sel:BYTE_3 src1_sel:DWORD
	v_cndmask_b32_e32 v52, 7, v52, vcc_lo
	v_lshlrev_b32_e32 v53, 3, v53
	v_and_b32_e32 v67, 7, v52
	v_or_b32_e32 v51, v51, v52
	v_or3_b32 v16, v53, v16, v67
	v_cmp_ne_u32_e32 vcc_lo, 0, v51
	v_cndmask_b32_e32 v118, 0, v16, vcc_lo
.LBB4_2182:                             ;   in Loop: Header=BB4_2077 Depth=2
	s_or_b32 exec_lo, exec_lo, s29
.LBB4_2183:                             ;   in Loop: Header=BB4_2077 Depth=2
	s_or_b32 exec_lo, exec_lo, s28
	flat_load_ubyte v16, v[10:11] offset:224 slc
	s_mov_b32 s13, 0
	s_mov_b32 s28, exec_lo
	s_waitcnt vmcnt(0) lgkmcnt(0)
	v_cmpx_lt_i16_e32 0x7f, v16
	s_xor_b32 s28, exec_lo, s28
	s_cbranch_execz .LBB4_2641
; %bb.2184:                             ;   in Loop: Header=BB4_2077 Depth=2
	s_mov_b32 s13, -1
	s_mov_b32 s29, exec_lo
	v_cmpx_eq_u16_e32 0x80, v16
; %bb.2185:                             ;   in Loop: Header=BB4_2077 Depth=2
	s_xor_b32 s13, exec_lo, -1
; %bb.2186:                             ;   in Loop: Header=BB4_2077 Depth=2
	s_or_b32 exec_lo, exec_lo, s29
	s_and_b32 s13, s13, exec_lo
	s_or_saveexec_b32 s28, s28
	v_mov_b32_e32 v51, 0x7f800001
	s_xor_b32 exec_lo, exec_lo, s28
	s_cbranch_execnz .LBB4_2642
.LBB4_2187:                             ;   in Loop: Header=BB4_2077 Depth=2
	s_or_b32 exec_lo, exec_lo, s28
	s_and_saveexec_b32 s28, s13
	s_cbranch_execz .LBB4_2189
.LBB4_2188:                             ;   in Loop: Header=BB4_2077 Depth=2
	v_and_b32_e32 v51, 0xffff, v16
	v_lshlrev_b32_e32 v16, 24, v16
	v_and_b32_e32 v52, 7, v51
	v_bfe_u32 v102, v51, 3, 4
	v_and_b32_e32 v16, 0x80000000, v16
	v_ffbh_u32_e32 v53, v52
	v_cmp_eq_u32_e32 vcc_lo, 0, v102
	v_min_u32_e32 v53, 32, v53
	v_subrev_nc_u32_e32 v67, 28, v53
	v_sub_nc_u32_e32 v53, 29, v53
	v_lshlrev_b32_e32 v51, v67, v51
	v_cndmask_b32_e32 v53, v102, v53, vcc_lo
	v_and_b32_e32 v51, 7, v51
	v_cndmask_b32_e32 v51, v52, v51, vcc_lo
	v_lshl_add_u32 v52, v53, 23, 0x3b800000
	v_lshlrev_b32_e32 v51, 20, v51
	v_or3_b32 v51, v16, v52, v51
.LBB4_2189:                             ;   in Loop: Header=BB4_2077 Depth=2
	s_or_b32 exec_lo, exec_lo, s28
	v_mul_f32_e32 v16, v17, v51
	v_mov_b32_e32 v117, 0x80
	s_mov_b32 s28, exec_lo
	v_and_b32_e32 v51, 0x7f800000, v16
	v_cmpx_ne_u32_e32 0x7f800000, v51
	s_cbranch_execz .LBB4_2197
; %bb.2190:                             ;   in Loop: Header=BB4_2077 Depth=2
	v_mov_b32_e32 v117, 0
	s_mov_b32 s29, exec_lo
	v_cmpx_ne_u32_e32 0, v16
	s_cbranch_execz .LBB4_2196
; %bb.2191:                             ;   in Loop: Header=BB4_2077 Depth=2
	v_bfe_u32 v51, v16, 23, 8
	v_and_b32_e32 v52, 0x7fffff, v16
	v_sub_nc_u32_e32 v53, 0x78, v51
	v_cmp_gt_u32_e32 vcc_lo, 0x79, v51
	v_or_b32_e32 v67, 0x800000, v52
	v_cndmask_b32_e32 v53, 0, v53, vcc_lo
	v_cmp_eq_u32_e32 vcc_lo, 0, v51
	v_add_nc_u32_e32 v51, 0xffffff89, v51
	v_cndmask_b32_e64 v53, v53, 0x77, vcc_lo
	v_cndmask_b32_e32 v52, v67, v52, vcc_lo
	v_cndmask_b32_e64 v51, v51, 0xffffff8a, vcc_lo
	v_lshl_add_u32 v67, 0x100000, v53, -1
	v_lshrrev_b32_e32 v102, v53, v52
	v_lshlrev_b32_e64 v113, v53, 0x80000
	v_add_nc_u32_e32 v53, v53, v51
	v_and_b32_e32 v52, v67, v52
	v_bfe_u32 v112, v102, 20, 1
	v_cmp_eq_u32_e64 s13, v52, v113
	v_add_nc_u32_e32 v67, -1, v112
	v_cndmask_b32_e64 v52, 0, v67, s13
	v_lshrrev_b32_e32 v67, 23, v102
	s_mov_b32 s13, exec_lo
	v_add_nc_u32_e32 v52, v52, v102
	v_xor_b32_e32 v67, 1, v67
	v_and_b32_e32 v51, 0xfffff, v52
	v_add_nc_u32_e32 v52, v51, v102
                                        ; implicit-def: $vgpr51
	v_cmpx_ne_u32_e64 v53, v67
	s_xor_b32 s13, exec_lo, s13
; %bb.2192:                             ;   in Loop: Header=BB4_2077 Depth=2
	v_cmp_lt_u32_e32 vcc_lo, 0xffffff, v52
	v_sub_nc_u32_e32 v51, v53, v67
	v_cndmask_b32_e64 v53, 0, 1, vcc_lo
	v_add_co_ci_u32_e64 v51, null, 0, v51, vcc_lo
	v_lshrrev_b32_e32 v52, v53, v52
; %bb.2193:                             ;   in Loop: Header=BB4_2077 Depth=2
	s_andn2_saveexec_b32 s13, s13
; %bb.2194:                             ;   in Loop: Header=BB4_2077 Depth=2
	v_bfe_u32 v51, v52, 23, 1
; %bb.2195:                             ;   in Loop: Header=BB4_2077 Depth=2
	s_or_b32 exec_lo, exec_lo, s13
	v_lshrrev_b32_e32 v52, 20, v52
	v_cmp_gt_i32_e32 vcc_lo, 16, v51
	v_min_i32_e32 v53, 15, v51
	v_and_b32_sdwa v16, v16, v97 dst_sel:DWORD dst_unused:UNUSED_PAD src0_sel:BYTE_3 src1_sel:DWORD
	v_cndmask_b32_e32 v52, 7, v52, vcc_lo
	v_lshlrev_b32_e32 v53, 3, v53
	v_and_b32_e32 v67, 7, v52
	v_or_b32_e32 v51, v51, v52
	v_or3_b32 v16, v53, v16, v67
	v_cmp_ne_u32_e32 vcc_lo, 0, v51
	v_cndmask_b32_e32 v117, 0, v16, vcc_lo
.LBB4_2196:                             ;   in Loop: Header=BB4_2077 Depth=2
	s_or_b32 exec_lo, exec_lo, s29
.LBB4_2197:                             ;   in Loop: Header=BB4_2077 Depth=2
	s_or_b32 exec_lo, exec_lo, s28
	flat_load_ubyte v16, v[10:11] offset:256 slc
	s_mov_b32 s13, 0
	s_mov_b32 s28, exec_lo
	s_waitcnt vmcnt(0) lgkmcnt(0)
	v_cmpx_lt_i16_e32 0x7f, v16
	s_xor_b32 s28, exec_lo, s28
	s_cbranch_execz .LBB4_2643
; %bb.2198:                             ;   in Loop: Header=BB4_2077 Depth=2
	s_mov_b32 s13, -1
	s_mov_b32 s29, exec_lo
	v_cmpx_eq_u16_e32 0x80, v16
; %bb.2199:                             ;   in Loop: Header=BB4_2077 Depth=2
	s_xor_b32 s13, exec_lo, -1
; %bb.2200:                             ;   in Loop: Header=BB4_2077 Depth=2
	s_or_b32 exec_lo, exec_lo, s29
	s_and_b32 s13, s13, exec_lo
	s_or_saveexec_b32 s28, s28
	v_mov_b32_e32 v51, 0x7f800001
	s_xor_b32 exec_lo, exec_lo, s28
	s_cbranch_execnz .LBB4_2644
.LBB4_2201:                             ;   in Loop: Header=BB4_2077 Depth=2
	s_or_b32 exec_lo, exec_lo, s28
	s_and_saveexec_b32 s28, s13
	s_cbranch_execz .LBB4_2203
.LBB4_2202:                             ;   in Loop: Header=BB4_2077 Depth=2
	v_and_b32_e32 v51, 0xffff, v16
	v_lshlrev_b32_e32 v16, 24, v16
	v_and_b32_e32 v52, 7, v51
	v_bfe_u32 v102, v51, 3, 4
	v_and_b32_e32 v16, 0x80000000, v16
	v_ffbh_u32_e32 v53, v52
	v_cmp_eq_u32_e32 vcc_lo, 0, v102
	v_min_u32_e32 v53, 32, v53
	v_subrev_nc_u32_e32 v67, 28, v53
	v_sub_nc_u32_e32 v53, 29, v53
	v_lshlrev_b32_e32 v51, v67, v51
	v_cndmask_b32_e32 v53, v102, v53, vcc_lo
	v_and_b32_e32 v51, 7, v51
	v_cndmask_b32_e32 v51, v52, v51, vcc_lo
	v_lshl_add_u32 v52, v53, 23, 0x3b800000
	v_lshlrev_b32_e32 v51, 20, v51
	v_or3_b32 v51, v16, v52, v51
.LBB4_2203:                             ;   in Loop: Header=BB4_2077 Depth=2
	s_or_b32 exec_lo, exec_lo, s28
	v_mul_f32_e32 v16, v17, v51
	v_mov_b32_e32 v115, 0x80
	s_mov_b32 s28, exec_lo
	v_and_b32_e32 v51, 0x7f800000, v16
	v_cmpx_ne_u32_e32 0x7f800000, v51
	s_cbranch_execz .LBB4_2211
; %bb.2204:                             ;   in Loop: Header=BB4_2077 Depth=2
	v_mov_b32_e32 v115, 0
	s_mov_b32 s29, exec_lo
	v_cmpx_ne_u32_e32 0, v16
	s_cbranch_execz .LBB4_2210
; %bb.2205:                             ;   in Loop: Header=BB4_2077 Depth=2
	v_bfe_u32 v51, v16, 23, 8
	v_and_b32_e32 v52, 0x7fffff, v16
	v_sub_nc_u32_e32 v53, 0x78, v51
	v_cmp_gt_u32_e32 vcc_lo, 0x79, v51
	v_or_b32_e32 v67, 0x800000, v52
	v_cndmask_b32_e32 v53, 0, v53, vcc_lo
	v_cmp_eq_u32_e32 vcc_lo, 0, v51
	v_add_nc_u32_e32 v51, 0xffffff89, v51
	v_cndmask_b32_e64 v53, v53, 0x77, vcc_lo
	v_cndmask_b32_e32 v52, v67, v52, vcc_lo
	v_cndmask_b32_e64 v51, v51, 0xffffff8a, vcc_lo
	v_lshl_add_u32 v67, 0x100000, v53, -1
	v_lshrrev_b32_e32 v102, v53, v52
	v_lshlrev_b32_e64 v113, v53, 0x80000
	v_add_nc_u32_e32 v53, v53, v51
	v_and_b32_e32 v52, v67, v52
	v_bfe_u32 v112, v102, 20, 1
	v_cmp_eq_u32_e64 s13, v52, v113
	v_add_nc_u32_e32 v67, -1, v112
	v_cndmask_b32_e64 v52, 0, v67, s13
	v_lshrrev_b32_e32 v67, 23, v102
	s_mov_b32 s13, exec_lo
	v_add_nc_u32_e32 v52, v52, v102
	v_xor_b32_e32 v67, 1, v67
	v_and_b32_e32 v51, 0xfffff, v52
	v_add_nc_u32_e32 v52, v51, v102
                                        ; implicit-def: $vgpr51
	v_cmpx_ne_u32_e64 v53, v67
	s_xor_b32 s13, exec_lo, s13
; %bb.2206:                             ;   in Loop: Header=BB4_2077 Depth=2
	v_cmp_lt_u32_e32 vcc_lo, 0xffffff, v52
	v_sub_nc_u32_e32 v51, v53, v67
	v_cndmask_b32_e64 v53, 0, 1, vcc_lo
	v_add_co_ci_u32_e64 v51, null, 0, v51, vcc_lo
	v_lshrrev_b32_e32 v52, v53, v52
; %bb.2207:                             ;   in Loop: Header=BB4_2077 Depth=2
	s_andn2_saveexec_b32 s13, s13
; %bb.2208:                             ;   in Loop: Header=BB4_2077 Depth=2
	v_bfe_u32 v51, v52, 23, 1
; %bb.2209:                             ;   in Loop: Header=BB4_2077 Depth=2
	s_or_b32 exec_lo, exec_lo, s13
	v_lshrrev_b32_e32 v52, 20, v52
	v_cmp_gt_i32_e32 vcc_lo, 16, v51
	v_min_i32_e32 v53, 15, v51
	v_and_b32_sdwa v16, v16, v97 dst_sel:DWORD dst_unused:UNUSED_PAD src0_sel:BYTE_3 src1_sel:DWORD
	v_cndmask_b32_e32 v52, 7, v52, vcc_lo
	v_lshlrev_b32_e32 v53, 3, v53
	v_and_b32_e32 v67, 7, v52
	v_or_b32_e32 v51, v51, v52
	v_or3_b32 v16, v53, v16, v67
	v_cmp_ne_u32_e32 vcc_lo, 0, v51
	v_cndmask_b32_e32 v115, 0, v16, vcc_lo
.LBB4_2210:                             ;   in Loop: Header=BB4_2077 Depth=2
	s_or_b32 exec_lo, exec_lo, s29
.LBB4_2211:                             ;   in Loop: Header=BB4_2077 Depth=2
	s_or_b32 exec_lo, exec_lo, s28
	flat_load_ubyte v16, v[10:11] offset:288 slc
	s_mov_b32 s13, 0
	s_mov_b32 s28, exec_lo
	s_waitcnt vmcnt(0) lgkmcnt(0)
	v_cmpx_lt_i16_e32 0x7f, v16
	s_xor_b32 s28, exec_lo, s28
	s_cbranch_execz .LBB4_2645
; %bb.2212:                             ;   in Loop: Header=BB4_2077 Depth=2
	s_mov_b32 s13, -1
	s_mov_b32 s29, exec_lo
	v_cmpx_eq_u16_e32 0x80, v16
; %bb.2213:                             ;   in Loop: Header=BB4_2077 Depth=2
	s_xor_b32 s13, exec_lo, -1
; %bb.2214:                             ;   in Loop: Header=BB4_2077 Depth=2
	s_or_b32 exec_lo, exec_lo, s29
	s_and_b32 s13, s13, exec_lo
	s_or_saveexec_b32 s28, s28
	v_mov_b32_e32 v51, 0x7f800001
	s_xor_b32 exec_lo, exec_lo, s28
	s_cbranch_execnz .LBB4_2646
.LBB4_2215:                             ;   in Loop: Header=BB4_2077 Depth=2
	s_or_b32 exec_lo, exec_lo, s28
	s_and_saveexec_b32 s28, s13
	s_cbranch_execz .LBB4_2217
.LBB4_2216:                             ;   in Loop: Header=BB4_2077 Depth=2
	v_and_b32_e32 v51, 0xffff, v16
	v_lshlrev_b32_e32 v16, 24, v16
	v_and_b32_e32 v52, 7, v51
	v_bfe_u32 v102, v51, 3, 4
	v_and_b32_e32 v16, 0x80000000, v16
	v_ffbh_u32_e32 v53, v52
	v_cmp_eq_u32_e32 vcc_lo, 0, v102
	v_min_u32_e32 v53, 32, v53
	v_subrev_nc_u32_e32 v67, 28, v53
	v_sub_nc_u32_e32 v53, 29, v53
	v_lshlrev_b32_e32 v51, v67, v51
	v_cndmask_b32_e32 v53, v102, v53, vcc_lo
	v_and_b32_e32 v51, 7, v51
	v_cndmask_b32_e32 v51, v52, v51, vcc_lo
	v_lshl_add_u32 v52, v53, 23, 0x3b800000
	v_lshlrev_b32_e32 v51, 20, v51
	v_or3_b32 v51, v16, v52, v51
.LBB4_2217:                             ;   in Loop: Header=BB4_2077 Depth=2
	s_or_b32 exec_lo, exec_lo, s28
	v_mul_f32_e32 v16, v17, v51
	v_mov_b32_e32 v113, 0x80
	s_mov_b32 s28, exec_lo
	v_and_b32_e32 v51, 0x7f800000, v16
	v_cmpx_ne_u32_e32 0x7f800000, v51
	s_cbranch_execz .LBB4_2225
; %bb.2218:                             ;   in Loop: Header=BB4_2077 Depth=2
	v_mov_b32_e32 v113, 0
	s_mov_b32 s29, exec_lo
	v_cmpx_ne_u32_e32 0, v16
	s_cbranch_execz .LBB4_2224
; %bb.2219:                             ;   in Loop: Header=BB4_2077 Depth=2
	v_bfe_u32 v51, v16, 23, 8
	v_and_b32_e32 v52, 0x7fffff, v16
	v_sub_nc_u32_e32 v53, 0x78, v51
	v_cmp_gt_u32_e32 vcc_lo, 0x79, v51
	v_or_b32_e32 v67, 0x800000, v52
	v_cndmask_b32_e32 v53, 0, v53, vcc_lo
	v_cmp_eq_u32_e32 vcc_lo, 0, v51
	v_add_nc_u32_e32 v51, 0xffffff89, v51
	v_cndmask_b32_e64 v53, v53, 0x77, vcc_lo
	v_cndmask_b32_e32 v52, v67, v52, vcc_lo
	v_cndmask_b32_e64 v51, v51, 0xffffff8a, vcc_lo
	v_lshl_add_u32 v67, 0x100000, v53, -1
	v_lshrrev_b32_e32 v102, v53, v52
	v_lshlrev_b32_e64 v113, v53, 0x80000
	v_add_nc_u32_e32 v53, v53, v51
	v_and_b32_e32 v52, v67, v52
	v_bfe_u32 v112, v102, 20, 1
	v_cmp_eq_u32_e64 s13, v52, v113
	v_add_nc_u32_e32 v67, -1, v112
	v_cndmask_b32_e64 v52, 0, v67, s13
	v_lshrrev_b32_e32 v67, 23, v102
	s_mov_b32 s13, exec_lo
	v_add_nc_u32_e32 v52, v52, v102
	v_xor_b32_e32 v67, 1, v67
	v_and_b32_e32 v51, 0xfffff, v52
	v_add_nc_u32_e32 v52, v51, v102
                                        ; implicit-def: $vgpr51
	v_cmpx_ne_u32_e64 v53, v67
	s_xor_b32 s13, exec_lo, s13
; %bb.2220:                             ;   in Loop: Header=BB4_2077 Depth=2
	v_cmp_lt_u32_e32 vcc_lo, 0xffffff, v52
	v_sub_nc_u32_e32 v51, v53, v67
	v_cndmask_b32_e64 v53, 0, 1, vcc_lo
	v_add_co_ci_u32_e64 v51, null, 0, v51, vcc_lo
	v_lshrrev_b32_e32 v52, v53, v52
; %bb.2221:                             ;   in Loop: Header=BB4_2077 Depth=2
	s_andn2_saveexec_b32 s13, s13
; %bb.2222:                             ;   in Loop: Header=BB4_2077 Depth=2
	v_bfe_u32 v51, v52, 23, 1
; %bb.2223:                             ;   in Loop: Header=BB4_2077 Depth=2
	s_or_b32 exec_lo, exec_lo, s13
	v_lshrrev_b32_e32 v52, 20, v52
	v_cmp_gt_i32_e32 vcc_lo, 16, v51
	v_min_i32_e32 v53, 15, v51
	v_and_b32_sdwa v16, v16, v97 dst_sel:DWORD dst_unused:UNUSED_PAD src0_sel:BYTE_3 src1_sel:DWORD
	v_cndmask_b32_e32 v52, 7, v52, vcc_lo
	v_lshlrev_b32_e32 v53, 3, v53
	v_and_b32_e32 v67, 7, v52
	v_or_b32_e32 v51, v51, v52
	v_or3_b32 v16, v53, v16, v67
	v_cmp_ne_u32_e32 vcc_lo, 0, v51
	v_cndmask_b32_e32 v113, 0, v16, vcc_lo
.LBB4_2224:                             ;   in Loop: Header=BB4_2077 Depth=2
	s_or_b32 exec_lo, exec_lo, s29
.LBB4_2225:                             ;   in Loop: Header=BB4_2077 Depth=2
	s_or_b32 exec_lo, exec_lo, s28
	flat_load_ubyte v16, v[10:11] offset:320 slc
	s_mov_b32 s13, 0
	s_mov_b32 s28, exec_lo
	s_waitcnt vmcnt(0) lgkmcnt(0)
	v_cmpx_lt_i16_e32 0x7f, v16
	s_xor_b32 s28, exec_lo, s28
	s_cbranch_execz .LBB4_2647
; %bb.2226:                             ;   in Loop: Header=BB4_2077 Depth=2
	s_mov_b32 s13, -1
	s_mov_b32 s29, exec_lo
	v_cmpx_eq_u16_e32 0x80, v16
; %bb.2227:                             ;   in Loop: Header=BB4_2077 Depth=2
	s_xor_b32 s13, exec_lo, -1
; %bb.2228:                             ;   in Loop: Header=BB4_2077 Depth=2
	s_or_b32 exec_lo, exec_lo, s29
	s_and_b32 s13, s13, exec_lo
	s_or_saveexec_b32 s28, s28
	v_mov_b32_e32 v51, 0x7f800001
	s_xor_b32 exec_lo, exec_lo, s28
	s_cbranch_execnz .LBB4_2648
.LBB4_2229:                             ;   in Loop: Header=BB4_2077 Depth=2
	s_or_b32 exec_lo, exec_lo, s28
	s_and_saveexec_b32 s28, s13
	s_cbranch_execz .LBB4_2231
.LBB4_2230:                             ;   in Loop: Header=BB4_2077 Depth=2
	v_and_b32_e32 v51, 0xffff, v16
	v_lshlrev_b32_e32 v16, 24, v16
	v_and_b32_e32 v52, 7, v51
	v_bfe_u32 v102, v51, 3, 4
	v_and_b32_e32 v16, 0x80000000, v16
	v_ffbh_u32_e32 v53, v52
	v_cmp_eq_u32_e32 vcc_lo, 0, v102
	v_min_u32_e32 v53, 32, v53
	v_subrev_nc_u32_e32 v67, 28, v53
	v_sub_nc_u32_e32 v53, 29, v53
	v_lshlrev_b32_e32 v51, v67, v51
	v_cndmask_b32_e32 v53, v102, v53, vcc_lo
	v_and_b32_e32 v51, 7, v51
	v_cndmask_b32_e32 v51, v52, v51, vcc_lo
	v_lshl_add_u32 v52, v53, 23, 0x3b800000
	v_lshlrev_b32_e32 v51, 20, v51
	v_or3_b32 v51, v16, v52, v51
.LBB4_2231:                             ;   in Loop: Header=BB4_2077 Depth=2
	s_or_b32 exec_lo, exec_lo, s28
	v_mul_f32_e32 v16, v17, v51
	v_mov_b32_e32 v112, 0x80
	s_mov_b32 s28, exec_lo
	v_and_b32_e32 v51, 0x7f800000, v16
	v_cmpx_ne_u32_e32 0x7f800000, v51
	s_cbranch_execz .LBB4_2239
; %bb.2232:                             ;   in Loop: Header=BB4_2077 Depth=2
	v_mov_b32_e32 v112, 0
	s_mov_b32 s29, exec_lo
	v_cmpx_ne_u32_e32 0, v16
	s_cbranch_execz .LBB4_2238
; %bb.2233:                             ;   in Loop: Header=BB4_2077 Depth=2
	v_bfe_u32 v51, v16, 23, 8
	v_and_b32_e32 v52, 0x7fffff, v16
	v_sub_nc_u32_e32 v53, 0x78, v51
	v_cmp_gt_u32_e32 vcc_lo, 0x79, v51
	v_or_b32_e32 v67, 0x800000, v52
	v_cndmask_b32_e32 v53, 0, v53, vcc_lo
	v_cmp_eq_u32_e32 vcc_lo, 0, v51
	v_add_nc_u32_e32 v51, 0xffffff89, v51
	v_cndmask_b32_e64 v53, v53, 0x77, vcc_lo
	v_cndmask_b32_e32 v52, v67, v52, vcc_lo
	v_cndmask_b32_e64 v51, v51, 0xffffff8a, vcc_lo
	v_lshl_add_u32 v67, 0x100000, v53, -1
	v_lshrrev_b32_e32 v102, v53, v52
	v_lshlrev_b32_e64 v114, v53, 0x80000
	v_add_nc_u32_e32 v53, v53, v51
	v_and_b32_e32 v52, v67, v52
	v_bfe_u32 v112, v102, 20, 1
	v_cmp_eq_u32_e64 s13, v52, v114
	v_add_nc_u32_e32 v67, -1, v112
	v_cndmask_b32_e64 v52, 0, v67, s13
	v_lshrrev_b32_e32 v67, 23, v102
	s_mov_b32 s13, exec_lo
	v_add_nc_u32_e32 v52, v52, v102
	v_xor_b32_e32 v67, 1, v67
	v_and_b32_e32 v51, 0xfffff, v52
	v_add_nc_u32_e32 v52, v51, v102
                                        ; implicit-def: $vgpr51
	v_cmpx_ne_u32_e64 v53, v67
	s_xor_b32 s13, exec_lo, s13
; %bb.2234:                             ;   in Loop: Header=BB4_2077 Depth=2
	v_cmp_lt_u32_e32 vcc_lo, 0xffffff, v52
	v_sub_nc_u32_e32 v51, v53, v67
	v_cndmask_b32_e64 v53, 0, 1, vcc_lo
	v_add_co_ci_u32_e64 v51, null, 0, v51, vcc_lo
	v_lshrrev_b32_e32 v52, v53, v52
; %bb.2235:                             ;   in Loop: Header=BB4_2077 Depth=2
	s_andn2_saveexec_b32 s13, s13
; %bb.2236:                             ;   in Loop: Header=BB4_2077 Depth=2
	v_bfe_u32 v51, v52, 23, 1
; %bb.2237:                             ;   in Loop: Header=BB4_2077 Depth=2
	s_or_b32 exec_lo, exec_lo, s13
	v_lshrrev_b32_e32 v52, 20, v52
	v_cmp_gt_i32_e32 vcc_lo, 16, v51
	v_min_i32_e32 v53, 15, v51
	v_and_b32_sdwa v16, v16, v97 dst_sel:DWORD dst_unused:UNUSED_PAD src0_sel:BYTE_3 src1_sel:DWORD
	v_cndmask_b32_e32 v52, 7, v52, vcc_lo
	v_lshlrev_b32_e32 v53, 3, v53
	v_and_b32_e32 v67, 7, v52
	v_or_b32_e32 v51, v51, v52
	v_or3_b32 v16, v53, v16, v67
	v_cmp_ne_u32_e32 vcc_lo, 0, v51
	v_cndmask_b32_e32 v112, 0, v16, vcc_lo
.LBB4_2238:                             ;   in Loop: Header=BB4_2077 Depth=2
	s_or_b32 exec_lo, exec_lo, s29
.LBB4_2239:                             ;   in Loop: Header=BB4_2077 Depth=2
	s_or_b32 exec_lo, exec_lo, s28
	flat_load_ubyte v16, v[10:11] offset:352 slc
	s_mov_b32 s13, 0
	s_mov_b32 s28, exec_lo
	s_waitcnt vmcnt(0) lgkmcnt(0)
	v_cmpx_lt_i16_e32 0x7f, v16
	s_xor_b32 s28, exec_lo, s28
	s_cbranch_execz .LBB4_2649
; %bb.2240:                             ;   in Loop: Header=BB4_2077 Depth=2
	s_mov_b32 s13, -1
	s_mov_b32 s29, exec_lo
	v_cmpx_eq_u16_e32 0x80, v16
; %bb.2241:                             ;   in Loop: Header=BB4_2077 Depth=2
	s_xor_b32 s13, exec_lo, -1
; %bb.2242:                             ;   in Loop: Header=BB4_2077 Depth=2
	s_or_b32 exec_lo, exec_lo, s29
	s_and_b32 s13, s13, exec_lo
	s_or_saveexec_b32 s28, s28
	v_mov_b32_e32 v51, 0x7f800001
	s_xor_b32 exec_lo, exec_lo, s28
	s_cbranch_execnz .LBB4_2650
.LBB4_2243:                             ;   in Loop: Header=BB4_2077 Depth=2
	s_or_b32 exec_lo, exec_lo, s28
	s_and_saveexec_b32 s28, s13
	s_cbranch_execz .LBB4_2245
.LBB4_2244:                             ;   in Loop: Header=BB4_2077 Depth=2
	v_and_b32_e32 v51, 0xffff, v16
	v_lshlrev_b32_e32 v16, 24, v16
	v_and_b32_e32 v52, 7, v51
	v_bfe_u32 v102, v51, 3, 4
	v_and_b32_e32 v16, 0x80000000, v16
	v_ffbh_u32_e32 v53, v52
	v_cmp_eq_u32_e32 vcc_lo, 0, v102
	v_min_u32_e32 v53, 32, v53
	v_subrev_nc_u32_e32 v67, 28, v53
	v_sub_nc_u32_e32 v53, 29, v53
	v_lshlrev_b32_e32 v51, v67, v51
	v_cndmask_b32_e32 v53, v102, v53, vcc_lo
	v_and_b32_e32 v51, 7, v51
	v_cndmask_b32_e32 v51, v52, v51, vcc_lo
	v_lshl_add_u32 v52, v53, 23, 0x3b800000
	v_lshlrev_b32_e32 v51, 20, v51
	v_or3_b32 v51, v16, v52, v51
.LBB4_2245:                             ;   in Loop: Header=BB4_2077 Depth=2
	s_or_b32 exec_lo, exec_lo, s28
	v_mul_f32_e32 v16, v17, v51
	v_mov_b32_e32 v102, 0x80
	s_mov_b32 s28, exec_lo
	v_and_b32_e32 v51, 0x7f800000, v16
	v_cmpx_ne_u32_e32 0x7f800000, v51
	s_cbranch_execz .LBB4_2253
; %bb.2246:                             ;   in Loop: Header=BB4_2077 Depth=2
	v_mov_b32_e32 v102, 0
	s_mov_b32 s29, exec_lo
	v_cmpx_ne_u32_e32 0, v16
	s_cbranch_execz .LBB4_2252
; %bb.2247:                             ;   in Loop: Header=BB4_2077 Depth=2
	v_bfe_u32 v51, v16, 23, 8
	v_and_b32_e32 v52, 0x7fffff, v16
	v_sub_nc_u32_e32 v53, 0x78, v51
	v_cmp_gt_u32_e32 vcc_lo, 0x79, v51
	v_or_b32_e32 v67, 0x800000, v52
	v_cndmask_b32_e32 v53, 0, v53, vcc_lo
	v_cmp_eq_u32_e32 vcc_lo, 0, v51
	v_add_nc_u32_e32 v51, 0xffffff89, v51
	v_cndmask_b32_e64 v53, v53, 0x77, vcc_lo
	v_cndmask_b32_e32 v52, v67, v52, vcc_lo
	v_cndmask_b32_e64 v51, v51, 0xffffff8a, vcc_lo
	v_lshl_add_u32 v67, 0x100000, v53, -1
	v_lshrrev_b32_e32 v102, v53, v52
	v_lshlrev_b32_e64 v119, v53, 0x80000
	v_add_nc_u32_e32 v53, v53, v51
	v_and_b32_e32 v52, v67, v52
	v_bfe_u32 v114, v102, 20, 1
	v_cmp_eq_u32_e64 s13, v52, v119
	v_add_nc_u32_e32 v67, -1, v114
	v_cndmask_b32_e64 v52, 0, v67, s13
	v_lshrrev_b32_e32 v67, 23, v102
	s_mov_b32 s13, exec_lo
	v_add_nc_u32_e32 v52, v52, v102
	v_xor_b32_e32 v67, 1, v67
	v_and_b32_e32 v51, 0xfffff, v52
	v_add_nc_u32_e32 v52, v51, v102
                                        ; implicit-def: $vgpr51
	v_cmpx_ne_u32_e64 v53, v67
	s_xor_b32 s13, exec_lo, s13
; %bb.2248:                             ;   in Loop: Header=BB4_2077 Depth=2
	v_cmp_lt_u32_e32 vcc_lo, 0xffffff, v52
	v_sub_nc_u32_e32 v51, v53, v67
	v_cndmask_b32_e64 v53, 0, 1, vcc_lo
	v_add_co_ci_u32_e64 v51, null, 0, v51, vcc_lo
	v_lshrrev_b32_e32 v52, v53, v52
; %bb.2249:                             ;   in Loop: Header=BB4_2077 Depth=2
	s_andn2_saveexec_b32 s13, s13
; %bb.2250:                             ;   in Loop: Header=BB4_2077 Depth=2
	v_bfe_u32 v51, v52, 23, 1
; %bb.2251:                             ;   in Loop: Header=BB4_2077 Depth=2
	s_or_b32 exec_lo, exec_lo, s13
	v_lshrrev_b32_e32 v52, 20, v52
	v_cmp_gt_i32_e32 vcc_lo, 16, v51
	v_min_i32_e32 v53, 15, v51
	v_and_b32_sdwa v16, v16, v97 dst_sel:DWORD dst_unused:UNUSED_PAD src0_sel:BYTE_3 src1_sel:DWORD
	v_cndmask_b32_e32 v52, 7, v52, vcc_lo
	v_lshlrev_b32_e32 v53, 3, v53
	v_and_b32_e32 v67, 7, v52
	v_or_b32_e32 v51, v51, v52
	v_or3_b32 v16, v53, v16, v67
	v_cmp_ne_u32_e32 vcc_lo, 0, v51
	v_cndmask_b32_e32 v102, 0, v16, vcc_lo
.LBB4_2252:                             ;   in Loop: Header=BB4_2077 Depth=2
	s_or_b32 exec_lo, exec_lo, s29
.LBB4_2253:                             ;   in Loop: Header=BB4_2077 Depth=2
	s_or_b32 exec_lo, exec_lo, s28
	flat_load_ubyte v16, v[10:11] offset:384 slc
	s_mov_b32 s13, 0
	s_mov_b32 s28, exec_lo
	s_waitcnt vmcnt(0) lgkmcnt(0)
	v_cmpx_lt_i16_e32 0x7f, v16
	s_xor_b32 s28, exec_lo, s28
	s_cbranch_execz .LBB4_2651
; %bb.2254:                             ;   in Loop: Header=BB4_2077 Depth=2
	s_mov_b32 s13, -1
	s_mov_b32 s29, exec_lo
	v_cmpx_eq_u16_e32 0x80, v16
; %bb.2255:                             ;   in Loop: Header=BB4_2077 Depth=2
	s_xor_b32 s13, exec_lo, -1
; %bb.2256:                             ;   in Loop: Header=BB4_2077 Depth=2
	s_or_b32 exec_lo, exec_lo, s29
	s_and_b32 s13, s13, exec_lo
	s_or_saveexec_b32 s28, s28
	v_mov_b32_e32 v51, 0x7f800001
	s_xor_b32 exec_lo, exec_lo, s28
	s_cbranch_execnz .LBB4_2652
.LBB4_2257:                             ;   in Loop: Header=BB4_2077 Depth=2
	s_or_b32 exec_lo, exec_lo, s28
	s_and_saveexec_b32 s28, s13
	s_cbranch_execz .LBB4_2259
.LBB4_2258:                             ;   in Loop: Header=BB4_2077 Depth=2
	v_and_b32_e32 v51, 0xffff, v16
	v_lshlrev_b32_e32 v16, 24, v16
	v_and_b32_e32 v52, 7, v51
	v_bfe_u32 v114, v51, 3, 4
	v_and_b32_e32 v16, 0x80000000, v16
	v_ffbh_u32_e32 v53, v52
	v_cmp_eq_u32_e32 vcc_lo, 0, v114
	v_min_u32_e32 v53, 32, v53
	v_subrev_nc_u32_e32 v67, 28, v53
	v_sub_nc_u32_e32 v53, 29, v53
	v_lshlrev_b32_e32 v51, v67, v51
	v_cndmask_b32_e32 v53, v114, v53, vcc_lo
	v_and_b32_e32 v51, 7, v51
	v_cndmask_b32_e32 v51, v52, v51, vcc_lo
	v_lshl_add_u32 v52, v53, 23, 0x3b800000
	v_lshlrev_b32_e32 v51, 20, v51
	v_or3_b32 v51, v16, v52, v51
.LBB4_2259:                             ;   in Loop: Header=BB4_2077 Depth=2
	s_or_b32 exec_lo, exec_lo, s28
	v_mul_f32_e32 v16, v17, v51
	v_mov_b32_e32 v67, 0x80
	s_mov_b32 s28, exec_lo
	v_and_b32_e32 v51, 0x7f800000, v16
	v_cmpx_ne_u32_e32 0x7f800000, v51
	s_cbranch_execz .LBB4_2267
; %bb.2260:                             ;   in Loop: Header=BB4_2077 Depth=2
	v_mov_b32_e32 v67, 0
	s_mov_b32 s29, exec_lo
	v_cmpx_ne_u32_e32 0, v16
	s_cbranch_execz .LBB4_2266
; %bb.2261:                             ;   in Loop: Header=BB4_2077 Depth=2
	v_bfe_u32 v51, v16, 23, 8
	v_and_b32_e32 v52, 0x7fffff, v16
	v_sub_nc_u32_e32 v53, 0x78, v51
	v_cmp_gt_u32_e32 vcc_lo, 0x79, v51
	v_or_b32_e32 v67, 0x800000, v52
	v_cndmask_b32_e32 v53, 0, v53, vcc_lo
	v_cmp_eq_u32_e32 vcc_lo, 0, v51
	v_add_nc_u32_e32 v51, 0xffffff89, v51
	v_cndmask_b32_e64 v53, v53, 0x77, vcc_lo
	v_cndmask_b32_e32 v52, v67, v52, vcc_lo
	v_cndmask_b32_e64 v51, v51, 0xffffff8a, vcc_lo
	v_lshl_add_u32 v67, 0x100000, v53, -1
	v_lshrrev_b32_e32 v114, v53, v52
	v_lshlrev_b32_e64 v43, v53, 0x80000
	v_add_nc_u32_e32 v53, v53, v51
	v_and_b32_e32 v52, v67, v52
	v_bfe_u32 v119, v114, 20, 1
	v_cmp_eq_u32_e64 s13, v52, v43
	v_add_nc_u32_e32 v67, -1, v119
	v_cndmask_b32_e64 v52, 0, v67, s13
	v_lshrrev_b32_e32 v67, 23, v114
	s_mov_b32 s13, exec_lo
	v_add_nc_u32_e32 v52, v52, v114
	v_xor_b32_e32 v67, 1, v67
	v_and_b32_e32 v51, 0xfffff, v52
	v_add_nc_u32_e32 v52, v51, v114
                                        ; implicit-def: $vgpr51
	v_cmpx_ne_u32_e64 v53, v67
	s_xor_b32 s13, exec_lo, s13
; %bb.2262:                             ;   in Loop: Header=BB4_2077 Depth=2
	v_cmp_lt_u32_e32 vcc_lo, 0xffffff, v52
	v_sub_nc_u32_e32 v51, v53, v67
	v_cndmask_b32_e64 v53, 0, 1, vcc_lo
	v_add_co_ci_u32_e64 v51, null, 0, v51, vcc_lo
	v_lshrrev_b32_e32 v52, v53, v52
; %bb.2263:                             ;   in Loop: Header=BB4_2077 Depth=2
	s_andn2_saveexec_b32 s13, s13
; %bb.2264:                             ;   in Loop: Header=BB4_2077 Depth=2
	v_bfe_u32 v51, v52, 23, 1
; %bb.2265:                             ;   in Loop: Header=BB4_2077 Depth=2
	s_or_b32 exec_lo, exec_lo, s13
	v_lshrrev_b32_e32 v52, 20, v52
	v_cmp_gt_i32_e32 vcc_lo, 16, v51
	v_min_i32_e32 v53, 15, v51
	v_and_b32_sdwa v16, v16, v97 dst_sel:DWORD dst_unused:UNUSED_PAD src0_sel:BYTE_3 src1_sel:DWORD
	v_cndmask_b32_e32 v52, 7, v52, vcc_lo
	v_lshlrev_b32_e32 v53, 3, v53
	v_and_b32_e32 v67, 7, v52
	v_or_b32_e32 v51, v51, v52
	v_or3_b32 v16, v53, v16, v67
	v_cmp_ne_u32_e32 vcc_lo, 0, v51
	v_cndmask_b32_e32 v67, 0, v16, vcc_lo
.LBB4_2266:                             ;   in Loop: Header=BB4_2077 Depth=2
	s_or_b32 exec_lo, exec_lo, s29
.LBB4_2267:                             ;   in Loop: Header=BB4_2077 Depth=2
	s_or_b32 exec_lo, exec_lo, s28
	flat_load_ubyte v16, v[10:11] offset:416 slc
	s_mov_b32 s13, 0
	s_mov_b32 s28, exec_lo
	s_waitcnt vmcnt(0) lgkmcnt(0)
	v_cmpx_lt_i16_e32 0x7f, v16
	s_xor_b32 s28, exec_lo, s28
	s_cbranch_execz .LBB4_2653
; %bb.2268:                             ;   in Loop: Header=BB4_2077 Depth=2
	s_mov_b32 s13, -1
	s_mov_b32 s29, exec_lo
	v_cmpx_eq_u16_e32 0x80, v16
; %bb.2269:                             ;   in Loop: Header=BB4_2077 Depth=2
	s_xor_b32 s13, exec_lo, -1
; %bb.2270:                             ;   in Loop: Header=BB4_2077 Depth=2
	s_or_b32 exec_lo, exec_lo, s29
	s_and_b32 s13, s13, exec_lo
	s_or_saveexec_b32 s28, s28
	v_mov_b32_e32 v51, 0x7f800001
	s_xor_b32 exec_lo, exec_lo, s28
	s_cbranch_execnz .LBB4_2654
.LBB4_2271:                             ;   in Loop: Header=BB4_2077 Depth=2
	s_or_b32 exec_lo, exec_lo, s28
	s_and_saveexec_b32 s28, s13
	s_cbranch_execz .LBB4_2273
.LBB4_2272:                             ;   in Loop: Header=BB4_2077 Depth=2
	v_and_b32_e32 v51, 0xffff, v16
	v_lshlrev_b32_e32 v16, 24, v16
	v_and_b32_e32 v52, 7, v51
	v_bfe_u32 v119, v51, 3, 4
	v_and_b32_e32 v16, 0x80000000, v16
	v_ffbh_u32_e32 v53, v52
	v_cmp_eq_u32_e32 vcc_lo, 0, v119
	v_min_u32_e32 v53, 32, v53
	v_subrev_nc_u32_e32 v114, 28, v53
	v_sub_nc_u32_e32 v53, 29, v53
	v_lshlrev_b32_e32 v51, v114, v51
	v_cndmask_b32_e32 v53, v119, v53, vcc_lo
	v_and_b32_e32 v51, 7, v51
	v_cndmask_b32_e32 v51, v52, v51, vcc_lo
	v_lshl_add_u32 v52, v53, 23, 0x3b800000
	v_lshlrev_b32_e32 v51, 20, v51
	v_or3_b32 v51, v16, v52, v51
.LBB4_2273:                             ;   in Loop: Header=BB4_2077 Depth=2
	s_or_b32 exec_lo, exec_lo, s28
	v_mul_f32_e32 v16, v17, v51
	v_mov_b32_e32 v52, 0x80
	s_mov_b32 s28, exec_lo
	v_and_b32_e32 v51, 0x7f800000, v16
	v_cmpx_ne_u32_e32 0x7f800000, v51
	s_cbranch_execz .LBB4_2281
; %bb.2274:                             ;   in Loop: Header=BB4_2077 Depth=2
	v_mov_b32_e32 v52, 0
	s_mov_b32 s29, exec_lo
	v_cmpx_ne_u32_e32 0, v16
	s_cbranch_execz .LBB4_2280
; %bb.2275:                             ;   in Loop: Header=BB4_2077 Depth=2
	v_bfe_u32 v51, v16, 23, 8
	v_and_b32_e32 v52, 0x7fffff, v16
	v_sub_nc_u32_e32 v53, 0x78, v51
	v_cmp_gt_u32_e32 vcc_lo, 0x79, v51
	v_or_b32_e32 v114, 0x800000, v52
	v_cndmask_b32_e32 v53, 0, v53, vcc_lo
	v_cmp_eq_u32_e32 vcc_lo, 0, v51
	v_add_nc_u32_e32 v51, 0xffffff89, v51
	v_cndmask_b32_e64 v53, v53, 0x77, vcc_lo
	v_cndmask_b32_e32 v52, v114, v52, vcc_lo
	v_cndmask_b32_e64 v51, v51, 0xffffff8a, vcc_lo
	v_lshl_add_u32 v114, 0x100000, v53, -1
	v_lshrrev_b32_e32 v119, v53, v52
	v_lshlrev_b32_e64 v44, v53, 0x80000
	v_add_nc_u32_e32 v53, v53, v51
	v_and_b32_e32 v52, v114, v52
	v_bfe_u32 v43, v119, 20, 1
	v_cmp_eq_u32_e64 s13, v52, v44
	v_add_nc_u32_e32 v114, -1, v43
	v_cndmask_b32_e64 v52, 0, v114, s13
	v_lshrrev_b32_e32 v114, 23, v119
	s_mov_b32 s13, exec_lo
	v_add_nc_u32_e32 v52, v52, v119
	v_xor_b32_e32 v114, 1, v114
	v_and_b32_e32 v51, 0xfffff, v52
	v_add_nc_u32_e32 v52, v51, v119
                                        ; implicit-def: $vgpr51
	v_cmpx_ne_u32_e64 v53, v114
	s_xor_b32 s13, exec_lo, s13
; %bb.2276:                             ;   in Loop: Header=BB4_2077 Depth=2
	v_cmp_lt_u32_e32 vcc_lo, 0xffffff, v52
	v_sub_nc_u32_e32 v51, v53, v114
	v_cndmask_b32_e64 v53, 0, 1, vcc_lo
	v_add_co_ci_u32_e64 v51, null, 0, v51, vcc_lo
	v_lshrrev_b32_e32 v52, v53, v52
; %bb.2277:                             ;   in Loop: Header=BB4_2077 Depth=2
	s_andn2_saveexec_b32 s13, s13
; %bb.2278:                             ;   in Loop: Header=BB4_2077 Depth=2
	v_bfe_u32 v51, v52, 23, 1
; %bb.2279:                             ;   in Loop: Header=BB4_2077 Depth=2
	s_or_b32 exec_lo, exec_lo, s13
	v_lshrrev_b32_e32 v52, 20, v52
	v_cmp_gt_i32_e32 vcc_lo, 16, v51
	v_min_i32_e32 v53, 15, v51
	v_and_b32_sdwa v16, v16, v97 dst_sel:DWORD dst_unused:UNUSED_PAD src0_sel:BYTE_3 src1_sel:DWORD
	v_cndmask_b32_e32 v52, 7, v52, vcc_lo
	v_lshlrev_b32_e32 v53, 3, v53
	v_and_b32_e32 v114, 7, v52
	v_or_b32_e32 v51, v51, v52
	v_or3_b32 v16, v53, v16, v114
	v_cmp_ne_u32_e32 vcc_lo, 0, v51
	v_cndmask_b32_e32 v52, 0, v16, vcc_lo
.LBB4_2280:                             ;   in Loop: Header=BB4_2077 Depth=2
	s_or_b32 exec_lo, exec_lo, s29
.LBB4_2281:                             ;   in Loop: Header=BB4_2077 Depth=2
	s_or_b32 exec_lo, exec_lo, s28
	flat_load_ubyte v16, v[10:11] offset:448 slc
	s_mov_b32 s13, 0
	s_mov_b32 s28, exec_lo
	s_waitcnt vmcnt(0) lgkmcnt(0)
	v_cmpx_lt_i16_e32 0x7f, v16
	s_xor_b32 s28, exec_lo, s28
	s_cbranch_execz .LBB4_2655
; %bb.2282:                             ;   in Loop: Header=BB4_2077 Depth=2
	s_mov_b32 s13, -1
	s_mov_b32 s29, exec_lo
	v_cmpx_eq_u16_e32 0x80, v16
; %bb.2283:                             ;   in Loop: Header=BB4_2077 Depth=2
	s_xor_b32 s13, exec_lo, -1
; %bb.2284:                             ;   in Loop: Header=BB4_2077 Depth=2
	s_or_b32 exec_lo, exec_lo, s29
	s_and_b32 s13, s13, exec_lo
	s_or_saveexec_b32 s28, s28
	v_mov_b32_e32 v51, 0x7f800001
	s_xor_b32 exec_lo, exec_lo, s28
	s_cbranch_execnz .LBB4_2656
.LBB4_2285:                             ;   in Loop: Header=BB4_2077 Depth=2
	s_or_b32 exec_lo, exec_lo, s28
	s_and_saveexec_b32 s28, s13
	s_cbranch_execz .LBB4_2287
.LBB4_2286:                             ;   in Loop: Header=BB4_2077 Depth=2
	v_and_b32_e32 v51, 0xffff, v16
	v_lshlrev_b32_e32 v16, 24, v16
	v_and_b32_e32 v53, 7, v51
	v_bfe_u32 v43, v51, 3, 4
	v_and_b32_e32 v16, 0x80000000, v16
	v_ffbh_u32_e32 v114, v53
	v_cmp_eq_u32_e32 vcc_lo, 0, v43
	v_min_u32_e32 v114, 32, v114
	v_subrev_nc_u32_e32 v119, 28, v114
	v_sub_nc_u32_e32 v114, 29, v114
	v_lshlrev_b32_e32 v51, v119, v51
	v_cndmask_b32_e32 v114, v43, v114, vcc_lo
	v_and_b32_e32 v51, 7, v51
	v_cndmask_b32_e32 v51, v53, v51, vcc_lo
	v_lshl_add_u32 v53, v114, 23, 0x3b800000
	v_lshlrev_b32_e32 v51, 20, v51
	v_or3_b32 v51, v16, v53, v51
.LBB4_2287:                             ;   in Loop: Header=BB4_2077 Depth=2
	s_or_b32 exec_lo, exec_lo, s28
	v_mul_f32_e32 v16, v17, v51
	v_and_b32_e32 v51, 0x7f800000, v16
	v_cmp_ne_u32_e32 vcc_lo, 0x7f800000, v51
	v_mov_b32_e32 v51, 0x80
	s_and_saveexec_b32 s28, vcc_lo
	s_cbranch_execz .LBB4_2295
; %bb.2288:                             ;   in Loop: Header=BB4_2077 Depth=2
	v_mov_b32_e32 v51, 0
	s_mov_b32 s29, exec_lo
	v_cmpx_ne_u32_e32 0, v16
	s_cbranch_execz .LBB4_2294
; %bb.2289:                             ;   in Loop: Header=BB4_2077 Depth=2
	v_bfe_u32 v51, v16, 23, 8
	v_and_b32_e32 v53, 0x7fffff, v16
	v_sub_nc_u32_e32 v114, 0x78, v51
	v_cmp_gt_u32_e32 vcc_lo, 0x79, v51
	v_or_b32_e32 v119, 0x800000, v53
	v_cndmask_b32_e32 v114, 0, v114, vcc_lo
	v_cmp_eq_u32_e32 vcc_lo, 0, v51
	v_add_nc_u32_e32 v51, 0xffffff89, v51
	v_cndmask_b32_e64 v114, v114, 0x77, vcc_lo
	v_cndmask_b32_e32 v53, v119, v53, vcc_lo
	v_cndmask_b32_e64 v51, v51, 0xffffff8a, vcc_lo
	v_lshl_add_u32 v119, 0x100000, v114, -1
	v_lshrrev_b32_e32 v43, v114, v53
	v_lshlrev_b32_e64 v45, v114, 0x80000
	v_add_nc_u32_e32 v114, v114, v51
	v_and_b32_e32 v53, v119, v53
	v_bfe_u32 v44, v43, 20, 1
	v_cmp_eq_u32_e64 s13, v53, v45
	v_add_nc_u32_e32 v119, -1, v44
	v_cndmask_b32_e64 v53, 0, v119, s13
	v_lshrrev_b32_e32 v119, 23, v43
	s_mov_b32 s13, exec_lo
	v_add_nc_u32_e32 v53, v53, v43
	v_xor_b32_e32 v119, 1, v119
	v_and_b32_e32 v51, 0xfffff, v53
	v_add_nc_u32_e32 v53, v51, v43
                                        ; implicit-def: $vgpr51
	v_cmpx_ne_u32_e64 v114, v119
	s_xor_b32 s13, exec_lo, s13
; %bb.2290:                             ;   in Loop: Header=BB4_2077 Depth=2
	v_cmp_lt_u32_e32 vcc_lo, 0xffffff, v53
	v_sub_nc_u32_e32 v51, v114, v119
	v_cndmask_b32_e64 v114, 0, 1, vcc_lo
	v_add_co_ci_u32_e64 v51, null, 0, v51, vcc_lo
	v_lshrrev_b32_e32 v53, v114, v53
; %bb.2291:                             ;   in Loop: Header=BB4_2077 Depth=2
	s_andn2_saveexec_b32 s13, s13
; %bb.2292:                             ;   in Loop: Header=BB4_2077 Depth=2
	v_bfe_u32 v51, v53, 23, 1
; %bb.2293:                             ;   in Loop: Header=BB4_2077 Depth=2
	s_or_b32 exec_lo, exec_lo, s13
	v_lshrrev_b32_e32 v53, 20, v53
	v_cmp_gt_i32_e32 vcc_lo, 16, v51
	v_min_i32_e32 v114, 15, v51
	v_and_b32_sdwa v16, v16, v97 dst_sel:DWORD dst_unused:UNUSED_PAD src0_sel:BYTE_3 src1_sel:DWORD
	v_cndmask_b32_e32 v53, 7, v53, vcc_lo
	v_lshlrev_b32_e32 v114, 3, v114
	v_and_b32_e32 v119, 7, v53
	v_or_b32_e32 v51, v51, v53
	v_or3_b32 v16, v114, v16, v119
	v_cmp_ne_u32_e32 vcc_lo, 0, v51
	v_cndmask_b32_e32 v51, 0, v16, vcc_lo
.LBB4_2294:                             ;   in Loop: Header=BB4_2077 Depth=2
	s_or_b32 exec_lo, exec_lo, s29
.LBB4_2295:                             ;   in Loop: Header=BB4_2077 Depth=2
	s_or_b32 exec_lo, exec_lo, s28
	flat_load_ubyte v16, v[10:11] offset:480 slc
	s_mov_b32 s13, 0
	s_mov_b32 s28, exec_lo
	s_waitcnt vmcnt(0) lgkmcnt(0)
	v_cmpx_lt_i16_e32 0x7f, v16
	s_xor_b32 s28, exec_lo, s28
	s_cbranch_execz .LBB4_2657
; %bb.2296:                             ;   in Loop: Header=BB4_2077 Depth=2
	s_mov_b32 s13, -1
	s_mov_b32 s29, exec_lo
	v_cmpx_eq_u16_e32 0x80, v16
; %bb.2297:                             ;   in Loop: Header=BB4_2077 Depth=2
	s_xor_b32 s13, exec_lo, -1
; %bb.2298:                             ;   in Loop: Header=BB4_2077 Depth=2
	s_or_b32 exec_lo, exec_lo, s29
	s_and_b32 s13, s13, exec_lo
	s_or_saveexec_b32 s28, s28
	v_mov_b32_e32 v53, 0x7f800001
	s_xor_b32 exec_lo, exec_lo, s28
	s_cbranch_execnz .LBB4_2658
.LBB4_2299:                             ;   in Loop: Header=BB4_2077 Depth=2
	s_or_b32 exec_lo, exec_lo, s28
	s_and_saveexec_b32 s28, s13
	s_cbranch_execz .LBB4_2301
.LBB4_2300:                             ;   in Loop: Header=BB4_2077 Depth=2
	v_and_b32_e32 v53, 0xffff, v16
	v_lshlrev_b32_e32 v16, 24, v16
	v_and_b32_e32 v114, 7, v53
	v_bfe_u32 v44, v53, 3, 4
	v_and_b32_e32 v16, 0x80000000, v16
	v_ffbh_u32_e32 v119, v114
	v_cmp_eq_u32_e32 vcc_lo, 0, v44
	v_min_u32_e32 v119, 32, v119
	v_subrev_nc_u32_e32 v43, 28, v119
	v_sub_nc_u32_e32 v119, 29, v119
	v_lshlrev_b32_e32 v53, v43, v53
	v_cndmask_b32_e32 v119, v44, v119, vcc_lo
	v_and_b32_e32 v53, 7, v53
	v_cndmask_b32_e32 v53, v114, v53, vcc_lo
	v_lshl_add_u32 v114, v119, 23, 0x3b800000
	v_lshlrev_b32_e32 v53, 20, v53
	v_or3_b32 v53, v16, v114, v53
.LBB4_2301:                             ;   in Loop: Header=BB4_2077 Depth=2
	s_or_b32 exec_lo, exec_lo, s28
	v_mul_f32_e32 v16, v17, v53
	v_and_b32_e32 v17, 0x7f800000, v16
	v_cmp_ne_u32_e32 vcc_lo, 0x7f800000, v17
	v_mov_b32_e32 v17, 0x80
	s_and_saveexec_b32 s28, vcc_lo
	s_cbranch_execz .LBB4_2309
; %bb.2302:                             ;   in Loop: Header=BB4_2077 Depth=2
	v_mov_b32_e32 v17, 0
	s_mov_b32 s29, exec_lo
	v_cmpx_ne_u32_e32 0, v16
	s_cbranch_execz .LBB4_2308
; %bb.2303:                             ;   in Loop: Header=BB4_2077 Depth=2
	v_bfe_u32 v17, v16, 23, 8
	v_and_b32_e32 v53, 0x7fffff, v16
	v_sub_nc_u32_e32 v114, 0x78, v17
	v_cmp_gt_u32_e32 vcc_lo, 0x79, v17
	v_or_b32_e32 v119, 0x800000, v53
	v_cndmask_b32_e32 v114, 0, v114, vcc_lo
	v_cmp_eq_u32_e32 vcc_lo, 0, v17
	v_add_nc_u32_e32 v17, 0xffffff89, v17
	v_cndmask_b32_e64 v114, v114, 0x77, vcc_lo
	v_cndmask_b32_e32 v53, v119, v53, vcc_lo
	v_cndmask_b32_e64 v17, v17, 0xffffff8a, vcc_lo
	v_lshl_add_u32 v119, 0x100000, v114, -1
	v_lshrrev_b32_e32 v43, v114, v53
	v_lshlrev_b32_e64 v45, v114, 0x80000
	v_add_nc_u32_e32 v114, v114, v17
	v_and_b32_e32 v53, v119, v53
	v_bfe_u32 v44, v43, 20, 1
	v_cmp_eq_u32_e64 s13, v53, v45
	v_add_nc_u32_e32 v119, -1, v44
	v_cndmask_b32_e64 v53, 0, v119, s13
	v_lshrrev_b32_e32 v119, 23, v43
	s_mov_b32 s13, exec_lo
	v_add_nc_u32_e32 v53, v53, v43
	v_xor_b32_e32 v119, 1, v119
	v_and_b32_e32 v17, 0xfffff, v53
	v_add_nc_u32_e32 v53, v17, v43
                                        ; implicit-def: $vgpr17
	v_cmpx_ne_u32_e64 v114, v119
	s_xor_b32 s13, exec_lo, s13
; %bb.2304:                             ;   in Loop: Header=BB4_2077 Depth=2
	v_cmp_lt_u32_e32 vcc_lo, 0xffffff, v53
	v_sub_nc_u32_e32 v17, v114, v119
	v_cndmask_b32_e64 v114, 0, 1, vcc_lo
	v_add_co_ci_u32_e64 v17, null, 0, v17, vcc_lo
	v_lshrrev_b32_e32 v53, v114, v53
; %bb.2305:                             ;   in Loop: Header=BB4_2077 Depth=2
	s_andn2_saveexec_b32 s13, s13
; %bb.2306:                             ;   in Loop: Header=BB4_2077 Depth=2
	v_bfe_u32 v17, v53, 23, 1
; %bb.2307:                             ;   in Loop: Header=BB4_2077 Depth=2
	s_or_b32 exec_lo, exec_lo, s13
	v_lshrrev_b32_e32 v53, 20, v53
	v_cmp_gt_i32_e32 vcc_lo, 16, v17
	v_min_i32_e32 v114, 15, v17
	v_and_b32_sdwa v16, v16, v97 dst_sel:DWORD dst_unused:UNUSED_PAD src0_sel:BYTE_3 src1_sel:DWORD
	v_cndmask_b32_e32 v53, 7, v53, vcc_lo
	v_lshlrev_b32_e32 v114, 3, v114
	v_and_b32_e32 v119, 7, v53
	v_or_b32_e32 v17, v17, v53
	v_or3_b32 v16, v114, v16, v119
	v_cmp_ne_u32_e32 vcc_lo, 0, v17
	v_cndmask_b32_e32 v17, 0, v16, vcc_lo
.LBB4_2308:                             ;   in Loop: Header=BB4_2077 Depth=2
	s_or_b32 exec_lo, exec_lo, s29
.LBB4_2309:                             ;   in Loop: Header=BB4_2077 Depth=2
	s_or_b32 exec_lo, exec_lo, s28
	s_clause 0xf
	flat_load_ubyte v62, v[12:13] slc
	flat_load_ubyte v61, v[12:13] offset:32 slc
	flat_load_ubyte v60, v[12:13] offset:64 slc
	;; [unrolled: 1-line block ×15, first 2 shown]
	v_cmp_gt_i16_sdwa s28, v50, v96 src0_sel:BYTE_0 src1_sel:DWORD
	s_mov_b32 s13, 0
	s_and_saveexec_b32 s29, s28
	s_xor_b32 s28, exec_lo, s29
	s_cbranch_execz .LBB4_2659
; %bb.2310:                             ;   in Loop: Header=BB4_2077 Depth=2
	v_cmp_eq_u16_sdwa s40, v50, v97 src0_sel:BYTE_0 src1_sel:DWORD
	s_mov_b32 s13, -1
	s_and_saveexec_b32 s29, s40
; %bb.2311:                             ;   in Loop: Header=BB4_2077 Depth=2
	s_xor_b32 s13, exec_lo, -1
; %bb.2312:                             ;   in Loop: Header=BB4_2077 Depth=2
	s_or_b32 exec_lo, exec_lo, s29
	s_and_b32 s13, s13, exec_lo
	s_or_saveexec_b32 s28, s28
	v_mov_b32_e32 v63, 0x7f800001
	s_xor_b32 exec_lo, exec_lo, s28
	s_cbranch_execnz .LBB4_2660
.LBB4_2313:                             ;   in Loop: Header=BB4_2077 Depth=2
	s_or_b32 exec_lo, exec_lo, s28
	s_and_saveexec_b32 s28, s13
	s_cbranch_execz .LBB4_2315
.LBB4_2314:                             ;   in Loop: Header=BB4_2077 Depth=2
	v_and_b32_e32 v63, 7, v50
	v_lshrrev_b16 v73, 3, v50
	v_ffbh_u32_e32 v72, v63
	v_and_b32_e32 v73, 15, v73
	v_min_u32_e32 v72, 32, v72
	v_cmp_eq_u32_e32 vcc_lo, 0, v73
	v_subrev_nc_u32_e32 v74, 28, v72
	v_sub_nc_u32_e32 v72, 29, v72
	v_lshlrev_b32_e32 v74, v74, v50
	v_lshlrev_b32_e32 v50, 24, v50
	v_cndmask_b32_e32 v72, v73, v72, vcc_lo
	v_and_b32_e32 v74, 7, v74
	v_and_b32_e32 v50, 0x80000000, v50
	v_lshl_add_u32 v72, v72, 23, 0x3b800000
	v_cndmask_b32_e32 v63, v63, v74, vcc_lo
	v_lshlrev_b32_e32 v63, 20, v63
	v_or3_b32 v63, v50, v72, v63
.LBB4_2315:                             ;   in Loop: Header=BB4_2077 Depth=2
	s_or_b32 exec_lo, exec_lo, s28
	s_waitcnt vmcnt(15) lgkmcnt(15)
	v_cmp_gt_i16_sdwa s28, v62, v96 src0_sel:BYTE_0 src1_sel:DWORD
	s_mov_b32 s13, 0
	s_and_saveexec_b32 s29, s28
	s_xor_b32 s28, exec_lo, s29
	s_cbranch_execz .LBB4_2661
; %bb.2316:                             ;   in Loop: Header=BB4_2077 Depth=2
	v_cmp_eq_u16_sdwa s40, v62, v97 src0_sel:BYTE_0 src1_sel:DWORD
	s_mov_b32 s13, -1
	s_and_saveexec_b32 s29, s40
; %bb.2317:                             ;   in Loop: Header=BB4_2077 Depth=2
	s_xor_b32 s13, exec_lo, -1
; %bb.2318:                             ;   in Loop: Header=BB4_2077 Depth=2
	s_or_b32 exec_lo, exec_lo, s29
	s_and_b32 s13, s13, exec_lo
	s_or_saveexec_b32 s28, s28
	v_mov_b32_e32 v50, 0x7f800001
	s_xor_b32 exec_lo, exec_lo, s28
	s_cbranch_execnz .LBB4_2662
.LBB4_2319:                             ;   in Loop: Header=BB4_2077 Depth=2
	s_or_b32 exec_lo, exec_lo, s28
	s_and_saveexec_b32 s28, s13
	s_cbranch_execz .LBB4_2321
.LBB4_2320:                             ;   in Loop: Header=BB4_2077 Depth=2
	v_and_b32_e32 v50, 7, v62
	v_lshrrev_b16 v73, 3, v62
	v_ffbh_u32_e32 v72, v50
	v_and_b32_e32 v73, 15, v73
	v_min_u32_e32 v72, 32, v72
	v_cmp_eq_u32_e32 vcc_lo, 0, v73
	v_subrev_nc_u32_e32 v74, 28, v72
	v_sub_nc_u32_e32 v72, 29, v72
	v_lshlrev_b32_e32 v74, v74, v62
	v_lshlrev_b32_e32 v62, 24, v62
	v_cndmask_b32_e32 v72, v73, v72, vcc_lo
	v_and_b32_e32 v74, 7, v74
	v_and_b32_e32 v62, 0x80000000, v62
	v_lshl_add_u32 v72, v72, 23, 0x3b800000
	v_cndmask_b32_e32 v50, v50, v74, vcc_lo
	v_lshlrev_b32_e32 v50, 20, v50
	v_or3_b32 v50, v62, v72, v50
.LBB4_2321:                             ;   in Loop: Header=BB4_2077 Depth=2
	s_or_b32 exec_lo, exec_lo, s28
	v_add_f32_e32 v62, v63, v50
	v_and_b32_e32 v50, 0x7f800000, v62
	v_cmp_ne_u32_e32 vcc_lo, 0x7f800000, v50
	v_mov_b32_e32 v50, 0x80
	s_and_saveexec_b32 s28, vcc_lo
	s_cbranch_execz .LBB4_2329
; %bb.2322:                             ;   in Loop: Header=BB4_2077 Depth=2
	v_mov_b32_e32 v50, 0
	s_mov_b32 s29, exec_lo
	v_cmpx_ne_u32_e32 0, v62
	s_cbranch_execz .LBB4_2328
; %bb.2323:                             ;   in Loop: Header=BB4_2077 Depth=2
	v_bfe_u32 v50, v62, 23, 8
	v_and_b32_e32 v63, 0x7fffff, v62
	v_sub_nc_u32_e32 v72, 0x78, v50
	v_cmp_gt_u32_e32 vcc_lo, 0x79, v50
	v_or_b32_e32 v73, 0x800000, v63
	v_cndmask_b32_e32 v72, 0, v72, vcc_lo
	v_cmp_eq_u32_e32 vcc_lo, 0, v50
	v_add_nc_u32_e32 v50, 0xffffff89, v50
	v_cndmask_b32_e64 v72, v72, 0x77, vcc_lo
	v_cndmask_b32_e32 v63, v73, v63, vcc_lo
	v_cndmask_b32_e64 v50, v50, 0xffffff8a, vcc_lo
	v_lshl_add_u32 v73, 0x100000, v72, -1
	v_lshrrev_b32_e32 v74, v72, v63
	v_lshlrev_b32_e64 v76, v72, 0x80000
	v_add_nc_u32_e32 v72, v72, v50
	v_and_b32_e32 v63, v73, v63
	v_bfe_u32 v75, v74, 20, 1
	v_cmp_eq_u32_e64 s13, v63, v76
	v_add_nc_u32_e32 v73, -1, v75
	v_cndmask_b32_e64 v63, 0, v73, s13
	v_lshrrev_b32_e32 v73, 23, v74
	s_mov_b32 s13, exec_lo
	v_add_nc_u32_e32 v63, v63, v74
	v_xor_b32_e32 v73, 1, v73
	v_and_b32_e32 v50, 0xfffff, v63
	v_add_nc_u32_e32 v63, v50, v74
                                        ; implicit-def: $vgpr50
	v_cmpx_ne_u32_e64 v72, v73
	s_xor_b32 s13, exec_lo, s13
; %bb.2324:                             ;   in Loop: Header=BB4_2077 Depth=2
	v_cmp_lt_u32_e32 vcc_lo, 0xffffff, v63
	v_sub_nc_u32_e32 v50, v72, v73
	v_cndmask_b32_e64 v72, 0, 1, vcc_lo
	v_add_co_ci_u32_e64 v50, null, 0, v50, vcc_lo
	v_lshrrev_b32_e32 v63, v72, v63
; %bb.2325:                             ;   in Loop: Header=BB4_2077 Depth=2
	s_andn2_saveexec_b32 s13, s13
; %bb.2326:                             ;   in Loop: Header=BB4_2077 Depth=2
	v_bfe_u32 v50, v63, 23, 1
; %bb.2327:                             ;   in Loop: Header=BB4_2077 Depth=2
	s_or_b32 exec_lo, exec_lo, s13
	v_lshrrev_b32_e32 v63, 20, v63
	v_cmp_gt_i32_e32 vcc_lo, 16, v50
	v_min_i32_e32 v72, 15, v50
	v_and_b32_sdwa v62, v62, v97 dst_sel:DWORD dst_unused:UNUSED_PAD src0_sel:BYTE_3 src1_sel:DWORD
	v_cndmask_b32_e32 v63, 7, v63, vcc_lo
	v_lshlrev_b32_e32 v72, 3, v72
	v_and_b32_e32 v73, 7, v63
	v_or_b32_e32 v50, v50, v63
	v_or3_b32 v62, v72, v62, v73
	v_cmp_ne_u32_e32 vcc_lo, 0, v50
	v_cndmask_b32_e32 v50, 0, v62, vcc_lo
.LBB4_2328:                             ;   in Loop: Header=BB4_2077 Depth=2
	s_or_b32 exec_lo, exec_lo, s29
.LBB4_2329:                             ;   in Loop: Header=BB4_2077 Depth=2
	s_or_b32 exec_lo, exec_lo, s28
	v_cmp_gt_i16_sdwa s28, v103, v96 src0_sel:BYTE_0 src1_sel:DWORD
	s_mov_b32 s13, 0
	s_and_saveexec_b32 s29, s28
	s_xor_b32 s28, exec_lo, s29
	s_cbranch_execz .LBB4_2663
; %bb.2330:                             ;   in Loop: Header=BB4_2077 Depth=2
	v_cmp_eq_u16_sdwa s40, v103, v97 src0_sel:BYTE_0 src1_sel:DWORD
	s_mov_b32 s13, -1
	s_and_saveexec_b32 s29, s40
; %bb.2331:                             ;   in Loop: Header=BB4_2077 Depth=2
	s_xor_b32 s13, exec_lo, -1
; %bb.2332:                             ;   in Loop: Header=BB4_2077 Depth=2
	s_or_b32 exec_lo, exec_lo, s29
	s_and_b32 s13, s13, exec_lo
	s_or_saveexec_b32 s28, s28
	v_mov_b32_e32 v62, 0x7f800001
	s_xor_b32 exec_lo, exec_lo, s28
	s_cbranch_execnz .LBB4_2664
.LBB4_2333:                             ;   in Loop: Header=BB4_2077 Depth=2
	s_or_b32 exec_lo, exec_lo, s28
	s_and_saveexec_b32 s28, s13
	s_cbranch_execz .LBB4_2335
.LBB4_2334:                             ;   in Loop: Header=BB4_2077 Depth=2
	v_and_b32_e32 v62, 7, v103
	v_lshrrev_b16 v72, 3, v103
	v_ffbh_u32_e32 v63, v62
	v_and_b32_e32 v72, 15, v72
	v_min_u32_e32 v63, 32, v63
	v_cmp_eq_u32_e32 vcc_lo, 0, v72
	v_subrev_nc_u32_e32 v73, 28, v63
	v_sub_nc_u32_e32 v63, 29, v63
	v_lshlrev_b32_e32 v73, v73, v103
	v_lshlrev_b32_e32 v103, 24, v103
	v_cndmask_b32_e32 v63, v72, v63, vcc_lo
	v_and_b32_e32 v73, 7, v73
	v_and_b32_e32 v103, 0x80000000, v103
	v_lshl_add_u32 v63, v63, 23, 0x3b800000
	v_cndmask_b32_e32 v62, v62, v73, vcc_lo
	v_lshlrev_b32_e32 v62, 20, v62
	v_or3_b32 v62, v103, v63, v62
.LBB4_2335:                             ;   in Loop: Header=BB4_2077 Depth=2
	s_or_b32 exec_lo, exec_lo, s28
	s_waitcnt vmcnt(14) lgkmcnt(14)
	v_cmp_gt_i16_sdwa s28, v61, v96 src0_sel:BYTE_0 src1_sel:DWORD
	s_mov_b32 s13, 0
	s_and_saveexec_b32 s29, s28
	s_xor_b32 s28, exec_lo, s29
	s_cbranch_execz .LBB4_2665
; %bb.2336:                             ;   in Loop: Header=BB4_2077 Depth=2
	v_cmp_eq_u16_sdwa s40, v61, v97 src0_sel:BYTE_0 src1_sel:DWORD
	s_mov_b32 s13, -1
	s_and_saveexec_b32 s29, s40
; %bb.2337:                             ;   in Loop: Header=BB4_2077 Depth=2
	s_xor_b32 s13, exec_lo, -1
; %bb.2338:                             ;   in Loop: Header=BB4_2077 Depth=2
	s_or_b32 exec_lo, exec_lo, s29
	s_and_b32 s13, s13, exec_lo
	s_or_saveexec_b32 s28, s28
	v_mov_b32_e32 v103, 0x7f800001
	s_xor_b32 exec_lo, exec_lo, s28
	s_cbranch_execnz .LBB4_2666
.LBB4_2339:                             ;   in Loop: Header=BB4_2077 Depth=2
	s_or_b32 exec_lo, exec_lo, s28
	s_and_saveexec_b32 s28, s13
	s_cbranch_execz .LBB4_2341
.LBB4_2340:                             ;   in Loop: Header=BB4_2077 Depth=2
	v_and_b32_e32 v103, 7, v61
	v_lshrrev_b16 v72, 3, v61
	v_ffbh_u32_e32 v63, v103
	v_and_b32_e32 v72, 15, v72
	v_min_u32_e32 v63, 32, v63
	v_cmp_eq_u32_e32 vcc_lo, 0, v72
	v_subrev_nc_u32_e32 v73, 28, v63
	v_sub_nc_u32_e32 v63, 29, v63
	v_lshlrev_b32_e32 v73, v73, v61
	v_lshlrev_b32_e32 v61, 24, v61
	v_cndmask_b32_e32 v63, v72, v63, vcc_lo
	v_and_b32_e32 v73, 7, v73
	v_and_b32_e32 v61, 0x80000000, v61
	v_lshl_add_u32 v63, v63, 23, 0x3b800000
	v_cndmask_b32_e32 v103, v103, v73, vcc_lo
	v_lshlrev_b32_e32 v103, 20, v103
	v_or3_b32 v103, v61, v63, v103
.LBB4_2341:                             ;   in Loop: Header=BB4_2077 Depth=2
	s_or_b32 exec_lo, exec_lo, s28
	v_add_f32_e32 v61, v62, v103
	v_and_b32_e32 v103, 0x7f800000, v61
	v_cmp_ne_u32_e32 vcc_lo, 0x7f800000, v103
	v_mov_b32_e32 v103, 0x80
	s_and_saveexec_b32 s28, vcc_lo
	s_cbranch_execz .LBB4_2349
; %bb.2342:                             ;   in Loop: Header=BB4_2077 Depth=2
	v_mov_b32_e32 v103, 0
	s_mov_b32 s29, exec_lo
	v_cmpx_ne_u32_e32 0, v61
	s_cbranch_execz .LBB4_2348
; %bb.2343:                             ;   in Loop: Header=BB4_2077 Depth=2
	v_bfe_u32 v103, v61, 23, 8
	v_and_b32_e32 v62, 0x7fffff, v61
	v_sub_nc_u32_e32 v63, 0x78, v103
	v_cmp_gt_u32_e32 vcc_lo, 0x79, v103
	v_or_b32_e32 v72, 0x800000, v62
	v_cndmask_b32_e32 v63, 0, v63, vcc_lo
	v_cmp_eq_u32_e32 vcc_lo, 0, v103
	v_add_nc_u32_e32 v103, 0xffffff89, v103
	v_cndmask_b32_e64 v63, v63, 0x77, vcc_lo
	v_cndmask_b32_e32 v62, v72, v62, vcc_lo
	v_cndmask_b32_e64 v103, v103, 0xffffff8a, vcc_lo
	v_lshl_add_u32 v72, 0x100000, v63, -1
	v_lshrrev_b32_e32 v73, v63, v62
	v_lshlrev_b32_e64 v75, v63, 0x80000
	v_add_nc_u32_e32 v63, v63, v103
	v_and_b32_e32 v62, v72, v62
	v_bfe_u32 v74, v73, 20, 1
	v_cmp_eq_u32_e64 s13, v62, v75
	v_add_nc_u32_e32 v72, -1, v74
	v_cndmask_b32_e64 v62, 0, v72, s13
	v_lshrrev_b32_e32 v72, 23, v73
	s_mov_b32 s13, exec_lo
	v_add_nc_u32_e32 v62, v62, v73
	v_xor_b32_e32 v72, 1, v72
	v_and_b32_e32 v103, 0xfffff, v62
	v_add_nc_u32_e32 v62, v103, v73
                                        ; implicit-def: $vgpr103
	v_cmpx_ne_u32_e64 v63, v72
	s_xor_b32 s13, exec_lo, s13
; %bb.2344:                             ;   in Loop: Header=BB4_2077 Depth=2
	v_cmp_lt_u32_e32 vcc_lo, 0xffffff, v62
	v_sub_nc_u32_e32 v103, v63, v72
	v_cndmask_b32_e64 v63, 0, 1, vcc_lo
	v_add_co_ci_u32_e64 v103, null, 0, v103, vcc_lo
	v_lshrrev_b32_e32 v62, v63, v62
; %bb.2345:                             ;   in Loop: Header=BB4_2077 Depth=2
	s_andn2_saveexec_b32 s13, s13
; %bb.2346:                             ;   in Loop: Header=BB4_2077 Depth=2
	v_bfe_u32 v103, v62, 23, 1
; %bb.2347:                             ;   in Loop: Header=BB4_2077 Depth=2
	s_or_b32 exec_lo, exec_lo, s13
	v_lshrrev_b32_e32 v62, 20, v62
	v_cmp_gt_i32_e32 vcc_lo, 16, v103
	v_min_i32_e32 v63, 15, v103
	v_and_b32_sdwa v61, v61, v97 dst_sel:DWORD dst_unused:UNUSED_PAD src0_sel:BYTE_3 src1_sel:DWORD
	v_cndmask_b32_e32 v62, 7, v62, vcc_lo
	v_lshlrev_b32_e32 v63, 3, v63
	v_and_b32_e32 v72, 7, v62
	v_or_b32_e32 v103, v103, v62
	v_or3_b32 v61, v63, v61, v72
	v_cmp_ne_u32_e32 vcc_lo, 0, v103
	v_cndmask_b32_e32 v103, 0, v61, vcc_lo
.LBB4_2348:                             ;   in Loop: Header=BB4_2077 Depth=2
	s_or_b32 exec_lo, exec_lo, s29
.LBB4_2349:                             ;   in Loop: Header=BB4_2077 Depth=2
	s_or_b32 exec_lo, exec_lo, s28
	v_cmp_gt_i16_sdwa s28, v116, v96 src0_sel:BYTE_0 src1_sel:DWORD
	s_mov_b32 s13, 0
	s_and_saveexec_b32 s29, s28
	s_xor_b32 s28, exec_lo, s29
	s_cbranch_execz .LBB4_2667
; %bb.2350:                             ;   in Loop: Header=BB4_2077 Depth=2
	v_cmp_eq_u16_sdwa s40, v116, v97 src0_sel:BYTE_0 src1_sel:DWORD
	s_mov_b32 s13, -1
	s_and_saveexec_b32 s29, s40
; %bb.2351:                             ;   in Loop: Header=BB4_2077 Depth=2
	s_xor_b32 s13, exec_lo, -1
; %bb.2352:                             ;   in Loop: Header=BB4_2077 Depth=2
	s_or_b32 exec_lo, exec_lo, s29
	s_and_b32 s13, s13, exec_lo
	s_or_saveexec_b32 s28, s28
	v_mov_b32_e32 v61, 0x7f800001
	s_xor_b32 exec_lo, exec_lo, s28
	s_cbranch_execnz .LBB4_2668
.LBB4_2353:                             ;   in Loop: Header=BB4_2077 Depth=2
	s_or_b32 exec_lo, exec_lo, s28
	s_and_saveexec_b32 s28, s13
	s_cbranch_execz .LBB4_2355
.LBB4_2354:                             ;   in Loop: Header=BB4_2077 Depth=2
	v_and_b32_e32 v61, 7, v116
	v_lshrrev_b16 v63, 3, v116
	v_ffbh_u32_e32 v62, v61
	v_and_b32_e32 v63, 15, v63
	v_min_u32_e32 v62, 32, v62
	v_cmp_eq_u32_e32 vcc_lo, 0, v63
	v_subrev_nc_u32_e32 v72, 28, v62
	v_sub_nc_u32_e32 v62, 29, v62
	v_lshlrev_b32_e32 v72, v72, v116
	v_lshlrev_b32_e32 v116, 24, v116
	v_cndmask_b32_e32 v62, v63, v62, vcc_lo
	v_and_b32_e32 v72, 7, v72
	v_and_b32_e32 v116, 0x80000000, v116
	v_lshl_add_u32 v62, v62, 23, 0x3b800000
	v_cndmask_b32_e32 v61, v61, v72, vcc_lo
	v_lshlrev_b32_e32 v61, 20, v61
	v_or3_b32 v61, v116, v62, v61
.LBB4_2355:                             ;   in Loop: Header=BB4_2077 Depth=2
	s_or_b32 exec_lo, exec_lo, s28
	s_waitcnt vmcnt(13) lgkmcnt(13)
	v_cmp_gt_i16_sdwa s28, v60, v96 src0_sel:BYTE_0 src1_sel:DWORD
	s_mov_b32 s13, 0
	s_and_saveexec_b32 s29, s28
	s_xor_b32 s28, exec_lo, s29
	s_cbranch_execz .LBB4_2669
; %bb.2356:                             ;   in Loop: Header=BB4_2077 Depth=2
	v_cmp_eq_u16_sdwa s40, v60, v97 src0_sel:BYTE_0 src1_sel:DWORD
	s_mov_b32 s13, -1
	s_and_saveexec_b32 s29, s40
; %bb.2357:                             ;   in Loop: Header=BB4_2077 Depth=2
	s_xor_b32 s13, exec_lo, -1
; %bb.2358:                             ;   in Loop: Header=BB4_2077 Depth=2
	s_or_b32 exec_lo, exec_lo, s29
	s_and_b32 s13, s13, exec_lo
	s_or_saveexec_b32 s28, s28
	v_mov_b32_e32 v116, 0x7f800001
	s_xor_b32 exec_lo, exec_lo, s28
	s_cbranch_execnz .LBB4_2670
.LBB4_2359:                             ;   in Loop: Header=BB4_2077 Depth=2
	s_or_b32 exec_lo, exec_lo, s28
	s_and_saveexec_b32 s28, s13
	s_cbranch_execz .LBB4_2361
.LBB4_2360:                             ;   in Loop: Header=BB4_2077 Depth=2
	v_and_b32_e32 v116, 7, v60
	v_lshrrev_b16 v63, 3, v60
	v_ffbh_u32_e32 v62, v116
	v_and_b32_e32 v63, 15, v63
	v_min_u32_e32 v62, 32, v62
	v_cmp_eq_u32_e32 vcc_lo, 0, v63
	v_subrev_nc_u32_e32 v72, 28, v62
	v_sub_nc_u32_e32 v62, 29, v62
	v_lshlrev_b32_e32 v72, v72, v60
	v_lshlrev_b32_e32 v60, 24, v60
	v_cndmask_b32_e32 v62, v63, v62, vcc_lo
	v_and_b32_e32 v72, 7, v72
	v_and_b32_e32 v60, 0x80000000, v60
	v_lshl_add_u32 v62, v62, 23, 0x3b800000
	v_cndmask_b32_e32 v116, v116, v72, vcc_lo
	v_lshlrev_b32_e32 v116, 20, v116
	v_or3_b32 v116, v60, v62, v116
.LBB4_2361:                             ;   in Loop: Header=BB4_2077 Depth=2
	s_or_b32 exec_lo, exec_lo, s28
	v_add_f32_e32 v60, v61, v116
	v_and_b32_e32 v116, 0x7f800000, v60
	v_cmp_ne_u32_e32 vcc_lo, 0x7f800000, v116
	v_mov_b32_e32 v116, 0x80
	s_and_saveexec_b32 s28, vcc_lo
	s_cbranch_execz .LBB4_2369
; %bb.2362:                             ;   in Loop: Header=BB4_2077 Depth=2
	v_mov_b32_e32 v116, 0
	s_mov_b32 s29, exec_lo
	v_cmpx_ne_u32_e32 0, v60
	s_cbranch_execz .LBB4_2368
; %bb.2363:                             ;   in Loop: Header=BB4_2077 Depth=2
	v_bfe_u32 v116, v60, 23, 8
	v_and_b32_e32 v61, 0x7fffff, v60
	v_sub_nc_u32_e32 v62, 0x78, v116
	v_cmp_gt_u32_e32 vcc_lo, 0x79, v116
	v_or_b32_e32 v63, 0x800000, v61
	v_cndmask_b32_e32 v62, 0, v62, vcc_lo
	v_cmp_eq_u32_e32 vcc_lo, 0, v116
	v_add_nc_u32_e32 v116, 0xffffff89, v116
	v_cndmask_b32_e64 v62, v62, 0x77, vcc_lo
	v_cndmask_b32_e32 v61, v63, v61, vcc_lo
	v_cndmask_b32_e64 v116, v116, 0xffffff8a, vcc_lo
	v_lshl_add_u32 v63, 0x100000, v62, -1
	v_lshrrev_b32_e32 v72, v62, v61
	v_lshlrev_b32_e64 v74, v62, 0x80000
	v_add_nc_u32_e32 v62, v62, v116
	v_and_b32_e32 v61, v63, v61
	v_bfe_u32 v73, v72, 20, 1
	v_cmp_eq_u32_e64 s13, v61, v74
	v_add_nc_u32_e32 v63, -1, v73
	v_cndmask_b32_e64 v61, 0, v63, s13
	v_lshrrev_b32_e32 v63, 23, v72
	s_mov_b32 s13, exec_lo
	v_add_nc_u32_e32 v61, v61, v72
	v_xor_b32_e32 v63, 1, v63
	v_and_b32_e32 v116, 0xfffff, v61
	v_add_nc_u32_e32 v61, v116, v72
                                        ; implicit-def: $vgpr116
	v_cmpx_ne_u32_e64 v62, v63
	s_xor_b32 s13, exec_lo, s13
; %bb.2364:                             ;   in Loop: Header=BB4_2077 Depth=2
	v_cmp_lt_u32_e32 vcc_lo, 0xffffff, v61
	v_sub_nc_u32_e32 v116, v62, v63
	v_cndmask_b32_e64 v62, 0, 1, vcc_lo
	v_add_co_ci_u32_e64 v116, null, 0, v116, vcc_lo
	v_lshrrev_b32_e32 v61, v62, v61
; %bb.2365:                             ;   in Loop: Header=BB4_2077 Depth=2
	s_andn2_saveexec_b32 s13, s13
; %bb.2366:                             ;   in Loop: Header=BB4_2077 Depth=2
	v_bfe_u32 v116, v61, 23, 1
; %bb.2367:                             ;   in Loop: Header=BB4_2077 Depth=2
	s_or_b32 exec_lo, exec_lo, s13
	v_lshrrev_b32_e32 v61, 20, v61
	v_cmp_gt_i32_e32 vcc_lo, 16, v116
	v_min_i32_e32 v62, 15, v116
	v_and_b32_sdwa v60, v60, v97 dst_sel:DWORD dst_unused:UNUSED_PAD src0_sel:BYTE_3 src1_sel:DWORD
	v_cndmask_b32_e32 v61, 7, v61, vcc_lo
	v_lshlrev_b32_e32 v62, 3, v62
	v_and_b32_e32 v63, 7, v61
	v_or_b32_e32 v116, v116, v61
	v_or3_b32 v60, v62, v60, v63
	v_cmp_ne_u32_e32 vcc_lo, 0, v116
	v_cndmask_b32_e32 v116, 0, v60, vcc_lo
.LBB4_2368:                             ;   in Loop: Header=BB4_2077 Depth=2
	s_or_b32 exec_lo, exec_lo, s29
.LBB4_2369:                             ;   in Loop: Header=BB4_2077 Depth=2
	s_or_b32 exec_lo, exec_lo, s28
	v_cmp_gt_i16_sdwa s28, v41, v96 src0_sel:BYTE_0 src1_sel:DWORD
	s_mov_b32 s13, 0
	s_and_saveexec_b32 s29, s28
	s_xor_b32 s28, exec_lo, s29
	s_cbranch_execz .LBB4_2671
; %bb.2370:                             ;   in Loop: Header=BB4_2077 Depth=2
	v_cmp_eq_u16_sdwa s40, v41, v97 src0_sel:BYTE_0 src1_sel:DWORD
	s_mov_b32 s13, -1
	s_and_saveexec_b32 s29, s40
; %bb.2371:                             ;   in Loop: Header=BB4_2077 Depth=2
	s_xor_b32 s13, exec_lo, -1
; %bb.2372:                             ;   in Loop: Header=BB4_2077 Depth=2
	s_or_b32 exec_lo, exec_lo, s29
	s_and_b32 s13, s13, exec_lo
	s_or_saveexec_b32 s28, s28
	v_mov_b32_e32 v60, 0x7f800001
	s_xor_b32 exec_lo, exec_lo, s28
	s_cbranch_execnz .LBB4_2672
.LBB4_2373:                             ;   in Loop: Header=BB4_2077 Depth=2
	s_or_b32 exec_lo, exec_lo, s28
	s_and_saveexec_b32 s28, s13
	s_cbranch_execz .LBB4_2375
.LBB4_2374:                             ;   in Loop: Header=BB4_2077 Depth=2
	v_and_b32_e32 v60, 7, v41
	v_lshrrev_b16 v62, 3, v41
	v_ffbh_u32_e32 v61, v60
	v_and_b32_e32 v62, 15, v62
	v_min_u32_e32 v61, 32, v61
	v_cmp_eq_u32_e32 vcc_lo, 0, v62
	v_subrev_nc_u32_e32 v63, 28, v61
	v_sub_nc_u32_e32 v61, 29, v61
	v_lshlrev_b32_e32 v63, v63, v41
	v_lshlrev_b32_e32 v41, 24, v41
	v_cndmask_b32_e32 v61, v62, v61, vcc_lo
	v_and_b32_e32 v63, 7, v63
	v_and_b32_e32 v41, 0x80000000, v41
	v_lshl_add_u32 v61, v61, 23, 0x3b800000
	v_cndmask_b32_e32 v60, v60, v63, vcc_lo
	v_lshlrev_b32_e32 v60, 20, v60
	v_or3_b32 v60, v41, v61, v60
.LBB4_2375:                             ;   in Loop: Header=BB4_2077 Depth=2
	s_or_b32 exec_lo, exec_lo, s28
	s_waitcnt vmcnt(12) lgkmcnt(12)
	v_cmp_gt_i16_sdwa s28, v59, v96 src0_sel:BYTE_0 src1_sel:DWORD
	s_mov_b32 s13, 0
	s_and_saveexec_b32 s29, s28
	s_xor_b32 s28, exec_lo, s29
	s_cbranch_execz .LBB4_2673
; %bb.2376:                             ;   in Loop: Header=BB4_2077 Depth=2
	v_cmp_eq_u16_sdwa s40, v59, v97 src0_sel:BYTE_0 src1_sel:DWORD
	s_mov_b32 s13, -1
	s_and_saveexec_b32 s29, s40
; %bb.2377:                             ;   in Loop: Header=BB4_2077 Depth=2
	s_xor_b32 s13, exec_lo, -1
; %bb.2378:                             ;   in Loop: Header=BB4_2077 Depth=2
	s_or_b32 exec_lo, exec_lo, s29
	s_and_b32 s13, s13, exec_lo
	s_or_saveexec_b32 s28, s28
	v_mov_b32_e32 v41, 0x7f800001
	s_xor_b32 exec_lo, exec_lo, s28
	s_cbranch_execnz .LBB4_2674
.LBB4_2379:                             ;   in Loop: Header=BB4_2077 Depth=2
	s_or_b32 exec_lo, exec_lo, s28
	s_and_saveexec_b32 s28, s13
	s_cbranch_execz .LBB4_2381
.LBB4_2380:                             ;   in Loop: Header=BB4_2077 Depth=2
	v_and_b32_e32 v41, 7, v59
	v_lshrrev_b16 v62, 3, v59
	v_ffbh_u32_e32 v61, v41
	v_and_b32_e32 v62, 15, v62
	v_min_u32_e32 v61, 32, v61
	v_cmp_eq_u32_e32 vcc_lo, 0, v62
	v_subrev_nc_u32_e32 v63, 28, v61
	v_sub_nc_u32_e32 v61, 29, v61
	v_lshlrev_b32_e32 v63, v63, v59
	v_lshlrev_b32_e32 v59, 24, v59
	v_cndmask_b32_e32 v61, v62, v61, vcc_lo
	v_and_b32_e32 v63, 7, v63
	v_and_b32_e32 v59, 0x80000000, v59
	v_lshl_add_u32 v61, v61, 23, 0x3b800000
	v_cndmask_b32_e32 v41, v41, v63, vcc_lo
	v_lshlrev_b32_e32 v41, 20, v41
	v_or3_b32 v41, v59, v61, v41
.LBB4_2381:                             ;   in Loop: Header=BB4_2077 Depth=2
	s_or_b32 exec_lo, exec_lo, s28
	v_add_f32_e32 v59, v60, v41
	v_and_b32_e32 v41, 0x7f800000, v59
	v_cmp_ne_u32_e32 vcc_lo, 0x7f800000, v41
	v_mov_b32_e32 v41, 0x80
	s_and_saveexec_b32 s28, vcc_lo
	s_cbranch_execz .LBB4_2389
; %bb.2382:                             ;   in Loop: Header=BB4_2077 Depth=2
	v_mov_b32_e32 v41, 0
	s_mov_b32 s29, exec_lo
	v_cmpx_ne_u32_e32 0, v59
	s_cbranch_execz .LBB4_2388
; %bb.2383:                             ;   in Loop: Header=BB4_2077 Depth=2
	v_bfe_u32 v41, v59, 23, 8
	v_and_b32_e32 v60, 0x7fffff, v59
	v_sub_nc_u32_e32 v61, 0x78, v41
	v_cmp_gt_u32_e32 vcc_lo, 0x79, v41
	v_or_b32_e32 v62, 0x800000, v60
	v_cndmask_b32_e32 v61, 0, v61, vcc_lo
	v_cmp_eq_u32_e32 vcc_lo, 0, v41
	v_add_nc_u32_e32 v41, 0xffffff89, v41
	v_cndmask_b32_e64 v61, v61, 0x77, vcc_lo
	v_cndmask_b32_e32 v60, v62, v60, vcc_lo
	v_cndmask_b32_e64 v41, v41, 0xffffff8a, vcc_lo
	v_lshl_add_u32 v62, 0x100000, v61, -1
	v_lshrrev_b32_e32 v63, v61, v60
	v_lshlrev_b32_e64 v73, v61, 0x80000
	v_add_nc_u32_e32 v61, v61, v41
	v_and_b32_e32 v60, v62, v60
	v_bfe_u32 v72, v63, 20, 1
	v_cmp_eq_u32_e64 s13, v60, v73
	v_add_nc_u32_e32 v62, -1, v72
	v_cndmask_b32_e64 v60, 0, v62, s13
	v_lshrrev_b32_e32 v62, 23, v63
	s_mov_b32 s13, exec_lo
	v_add_nc_u32_e32 v60, v60, v63
	v_xor_b32_e32 v62, 1, v62
	v_and_b32_e32 v41, 0xfffff, v60
	v_add_nc_u32_e32 v60, v41, v63
                                        ; implicit-def: $vgpr41
	v_cmpx_ne_u32_e64 v61, v62
	s_xor_b32 s13, exec_lo, s13
; %bb.2384:                             ;   in Loop: Header=BB4_2077 Depth=2
	v_cmp_lt_u32_e32 vcc_lo, 0xffffff, v60
	v_sub_nc_u32_e32 v41, v61, v62
	v_cndmask_b32_e64 v61, 0, 1, vcc_lo
	v_add_co_ci_u32_e64 v41, null, 0, v41, vcc_lo
	v_lshrrev_b32_e32 v60, v61, v60
; %bb.2385:                             ;   in Loop: Header=BB4_2077 Depth=2
	s_andn2_saveexec_b32 s13, s13
; %bb.2386:                             ;   in Loop: Header=BB4_2077 Depth=2
	v_bfe_u32 v41, v60, 23, 1
; %bb.2387:                             ;   in Loop: Header=BB4_2077 Depth=2
	s_or_b32 exec_lo, exec_lo, s13
	v_lshrrev_b32_e32 v60, 20, v60
	v_cmp_gt_i32_e32 vcc_lo, 16, v41
	v_min_i32_e32 v61, 15, v41
	v_and_b32_sdwa v59, v59, v97 dst_sel:DWORD dst_unused:UNUSED_PAD src0_sel:BYTE_3 src1_sel:DWORD
	v_cndmask_b32_e32 v60, 7, v60, vcc_lo
	v_lshlrev_b32_e32 v61, 3, v61
	v_and_b32_e32 v62, 7, v60
	v_or_b32_e32 v41, v41, v60
	v_or3_b32 v59, v61, v59, v62
	v_cmp_ne_u32_e32 vcc_lo, 0, v41
	v_cndmask_b32_e32 v41, 0, v59, vcc_lo
.LBB4_2388:                             ;   in Loop: Header=BB4_2077 Depth=2
	s_or_b32 exec_lo, exec_lo, s29
.LBB4_2389:                             ;   in Loop: Header=BB4_2077 Depth=2
	s_or_b32 exec_lo, exec_lo, s28
	v_cmp_gt_i16_sdwa s28, v42, v96 src0_sel:BYTE_0 src1_sel:DWORD
	s_mov_b32 s13, 0
	s_and_saveexec_b32 s29, s28
	s_xor_b32 s28, exec_lo, s29
	s_cbranch_execz .LBB4_2675
; %bb.2390:                             ;   in Loop: Header=BB4_2077 Depth=2
	v_cmp_eq_u16_sdwa s40, v42, v97 src0_sel:BYTE_0 src1_sel:DWORD
	s_mov_b32 s13, -1
	s_and_saveexec_b32 s29, s40
; %bb.2391:                             ;   in Loop: Header=BB4_2077 Depth=2
	s_xor_b32 s13, exec_lo, -1
; %bb.2392:                             ;   in Loop: Header=BB4_2077 Depth=2
	s_or_b32 exec_lo, exec_lo, s29
	s_and_b32 s13, s13, exec_lo
	s_or_saveexec_b32 s28, s28
	v_mov_b32_e32 v59, 0x7f800001
	s_xor_b32 exec_lo, exec_lo, s28
	s_cbranch_execnz .LBB4_2676
.LBB4_2393:                             ;   in Loop: Header=BB4_2077 Depth=2
	s_or_b32 exec_lo, exec_lo, s28
	s_and_saveexec_b32 s28, s13
	s_cbranch_execz .LBB4_2395
.LBB4_2394:                             ;   in Loop: Header=BB4_2077 Depth=2
	v_and_b32_e32 v59, 7, v42
	v_lshrrev_b16 v61, 3, v42
	v_ffbh_u32_e32 v60, v59
	v_and_b32_e32 v61, 15, v61
	v_min_u32_e32 v60, 32, v60
	v_cmp_eq_u32_e32 vcc_lo, 0, v61
	v_subrev_nc_u32_e32 v62, 28, v60
	v_sub_nc_u32_e32 v60, 29, v60
	v_lshlrev_b32_e32 v62, v62, v42
	v_lshlrev_b32_e32 v42, 24, v42
	v_cndmask_b32_e32 v60, v61, v60, vcc_lo
	v_and_b32_e32 v62, 7, v62
	v_and_b32_e32 v42, 0x80000000, v42
	v_lshl_add_u32 v60, v60, 23, 0x3b800000
	v_cndmask_b32_e32 v59, v59, v62, vcc_lo
	v_lshlrev_b32_e32 v59, 20, v59
	v_or3_b32 v59, v42, v60, v59
.LBB4_2395:                             ;   in Loop: Header=BB4_2077 Depth=2
	s_or_b32 exec_lo, exec_lo, s28
	s_waitcnt vmcnt(11) lgkmcnt(11)
	v_cmp_gt_i16_sdwa s28, v58, v96 src0_sel:BYTE_0 src1_sel:DWORD
	s_mov_b32 s13, 0
	s_and_saveexec_b32 s29, s28
	s_xor_b32 s28, exec_lo, s29
	s_cbranch_execz .LBB4_2677
; %bb.2396:                             ;   in Loop: Header=BB4_2077 Depth=2
	v_cmp_eq_u16_sdwa s40, v58, v97 src0_sel:BYTE_0 src1_sel:DWORD
	s_mov_b32 s13, -1
	s_and_saveexec_b32 s29, s40
; %bb.2397:                             ;   in Loop: Header=BB4_2077 Depth=2
	s_xor_b32 s13, exec_lo, -1
; %bb.2398:                             ;   in Loop: Header=BB4_2077 Depth=2
	s_or_b32 exec_lo, exec_lo, s29
	s_and_b32 s13, s13, exec_lo
	s_or_saveexec_b32 s28, s28
	v_mov_b32_e32 v42, 0x7f800001
	s_xor_b32 exec_lo, exec_lo, s28
	s_cbranch_execnz .LBB4_2678
.LBB4_2399:                             ;   in Loop: Header=BB4_2077 Depth=2
	s_or_b32 exec_lo, exec_lo, s28
	s_and_saveexec_b32 s28, s13
	s_cbranch_execz .LBB4_2401
.LBB4_2400:                             ;   in Loop: Header=BB4_2077 Depth=2
	v_and_b32_e32 v42, 7, v58
	v_lshrrev_b16 v61, 3, v58
	v_ffbh_u32_e32 v60, v42
	v_and_b32_e32 v61, 15, v61
	v_min_u32_e32 v60, 32, v60
	v_cmp_eq_u32_e32 vcc_lo, 0, v61
	v_subrev_nc_u32_e32 v62, 28, v60
	v_sub_nc_u32_e32 v60, 29, v60
	v_lshlrev_b32_e32 v62, v62, v58
	v_lshlrev_b32_e32 v58, 24, v58
	v_cndmask_b32_e32 v60, v61, v60, vcc_lo
	v_and_b32_e32 v62, 7, v62
	v_and_b32_e32 v58, 0x80000000, v58
	v_lshl_add_u32 v60, v60, 23, 0x3b800000
	v_cndmask_b32_e32 v42, v42, v62, vcc_lo
	v_lshlrev_b32_e32 v42, 20, v42
	v_or3_b32 v42, v58, v60, v42
.LBB4_2401:                             ;   in Loop: Header=BB4_2077 Depth=2
	s_or_b32 exec_lo, exec_lo, s28
	v_add_f32_e32 v58, v59, v42
	v_and_b32_e32 v42, 0x7f800000, v58
	v_cmp_ne_u32_e32 vcc_lo, 0x7f800000, v42
	v_mov_b32_e32 v42, 0x80
	s_and_saveexec_b32 s28, vcc_lo
	s_cbranch_execz .LBB4_2409
; %bb.2402:                             ;   in Loop: Header=BB4_2077 Depth=2
	v_mov_b32_e32 v42, 0
	s_mov_b32 s29, exec_lo
	v_cmpx_ne_u32_e32 0, v58
	s_cbranch_execz .LBB4_2408
; %bb.2403:                             ;   in Loop: Header=BB4_2077 Depth=2
	v_bfe_u32 v42, v58, 23, 8
	v_and_b32_e32 v59, 0x7fffff, v58
	v_sub_nc_u32_e32 v60, 0x78, v42
	v_cmp_gt_u32_e32 vcc_lo, 0x79, v42
	v_or_b32_e32 v61, 0x800000, v59
	v_cndmask_b32_e32 v60, 0, v60, vcc_lo
	v_cmp_eq_u32_e32 vcc_lo, 0, v42
	v_add_nc_u32_e32 v42, 0xffffff89, v42
	v_cndmask_b32_e64 v60, v60, 0x77, vcc_lo
	v_cndmask_b32_e32 v59, v61, v59, vcc_lo
	v_cndmask_b32_e64 v42, v42, 0xffffff8a, vcc_lo
	v_lshl_add_u32 v61, 0x100000, v60, -1
	v_lshrrev_b32_e32 v62, v60, v59
	v_lshlrev_b32_e64 v72, v60, 0x80000
	v_add_nc_u32_e32 v60, v60, v42
	v_and_b32_e32 v59, v61, v59
	v_bfe_u32 v63, v62, 20, 1
	v_cmp_eq_u32_e64 s13, v59, v72
	v_add_nc_u32_e32 v61, -1, v63
	v_cndmask_b32_e64 v59, 0, v61, s13
	v_lshrrev_b32_e32 v61, 23, v62
	s_mov_b32 s13, exec_lo
	v_add_nc_u32_e32 v59, v59, v62
	v_xor_b32_e32 v61, 1, v61
	v_and_b32_e32 v42, 0xfffff, v59
	v_add_nc_u32_e32 v59, v42, v62
                                        ; implicit-def: $vgpr42
	v_cmpx_ne_u32_e64 v60, v61
	s_xor_b32 s13, exec_lo, s13
; %bb.2404:                             ;   in Loop: Header=BB4_2077 Depth=2
	v_cmp_lt_u32_e32 vcc_lo, 0xffffff, v59
	v_sub_nc_u32_e32 v42, v60, v61
	v_cndmask_b32_e64 v60, 0, 1, vcc_lo
	v_add_co_ci_u32_e64 v42, null, 0, v42, vcc_lo
	v_lshrrev_b32_e32 v59, v60, v59
; %bb.2405:                             ;   in Loop: Header=BB4_2077 Depth=2
	s_andn2_saveexec_b32 s13, s13
; %bb.2406:                             ;   in Loop: Header=BB4_2077 Depth=2
	v_bfe_u32 v42, v59, 23, 1
; %bb.2407:                             ;   in Loop: Header=BB4_2077 Depth=2
	s_or_b32 exec_lo, exec_lo, s13
	v_lshrrev_b32_e32 v59, 20, v59
	v_cmp_gt_i32_e32 vcc_lo, 16, v42
	v_min_i32_e32 v60, 15, v42
	v_and_b32_sdwa v58, v58, v97 dst_sel:DWORD dst_unused:UNUSED_PAD src0_sel:BYTE_3 src1_sel:DWORD
	v_cndmask_b32_e32 v59, 7, v59, vcc_lo
	v_lshlrev_b32_e32 v60, 3, v60
	v_and_b32_e32 v61, 7, v59
	v_or_b32_e32 v42, v42, v59
	v_or3_b32 v58, v60, v58, v61
	v_cmp_ne_u32_e32 vcc_lo, 0, v42
	v_cndmask_b32_e32 v42, 0, v58, vcc_lo
.LBB4_2408:                             ;   in Loop: Header=BB4_2077 Depth=2
	s_or_b32 exec_lo, exec_lo, s29
.LBB4_2409:                             ;   in Loop: Header=BB4_2077 Depth=2
	s_or_b32 exec_lo, exec_lo, s28
	v_cmp_gt_i16_sdwa s28, v40, v96 src0_sel:BYTE_0 src1_sel:DWORD
	s_mov_b32 s13, 0
	s_and_saveexec_b32 s29, s28
	s_xor_b32 s28, exec_lo, s29
	s_cbranch_execz .LBB4_2679
; %bb.2410:                             ;   in Loop: Header=BB4_2077 Depth=2
	v_cmp_eq_u16_sdwa s40, v40, v97 src0_sel:BYTE_0 src1_sel:DWORD
	s_mov_b32 s13, -1
	s_and_saveexec_b32 s29, s40
; %bb.2411:                             ;   in Loop: Header=BB4_2077 Depth=2
	s_xor_b32 s13, exec_lo, -1
; %bb.2412:                             ;   in Loop: Header=BB4_2077 Depth=2
	s_or_b32 exec_lo, exec_lo, s29
	s_and_b32 s13, s13, exec_lo
	s_or_saveexec_b32 s28, s28
	v_mov_b32_e32 v58, 0x7f800001
	s_xor_b32 exec_lo, exec_lo, s28
	s_cbranch_execnz .LBB4_2680
.LBB4_2413:                             ;   in Loop: Header=BB4_2077 Depth=2
	s_or_b32 exec_lo, exec_lo, s28
	s_and_saveexec_b32 s28, s13
	s_cbranch_execz .LBB4_2415
.LBB4_2414:                             ;   in Loop: Header=BB4_2077 Depth=2
	v_and_b32_e32 v58, 7, v40
	v_lshrrev_b16 v60, 3, v40
	v_ffbh_u32_e32 v59, v58
	v_and_b32_e32 v60, 15, v60
	v_min_u32_e32 v59, 32, v59
	v_cmp_eq_u32_e32 vcc_lo, 0, v60
	v_subrev_nc_u32_e32 v61, 28, v59
	v_sub_nc_u32_e32 v59, 29, v59
	v_lshlrev_b32_e32 v61, v61, v40
	v_lshlrev_b32_e32 v40, 24, v40
	v_cndmask_b32_e32 v59, v60, v59, vcc_lo
	v_and_b32_e32 v61, 7, v61
	v_and_b32_e32 v40, 0x80000000, v40
	v_lshl_add_u32 v59, v59, 23, 0x3b800000
	v_cndmask_b32_e32 v58, v58, v61, vcc_lo
	v_lshlrev_b32_e32 v58, 20, v58
	v_or3_b32 v58, v40, v59, v58
.LBB4_2415:                             ;   in Loop: Header=BB4_2077 Depth=2
	s_or_b32 exec_lo, exec_lo, s28
	s_waitcnt vmcnt(10) lgkmcnt(10)
	v_cmp_gt_i16_sdwa s28, v57, v96 src0_sel:BYTE_0 src1_sel:DWORD
	s_mov_b32 s13, 0
	s_and_saveexec_b32 s29, s28
	s_xor_b32 s28, exec_lo, s29
	s_cbranch_execz .LBB4_2681
; %bb.2416:                             ;   in Loop: Header=BB4_2077 Depth=2
	v_cmp_eq_u16_sdwa s40, v57, v97 src0_sel:BYTE_0 src1_sel:DWORD
	s_mov_b32 s13, -1
	s_and_saveexec_b32 s29, s40
; %bb.2417:                             ;   in Loop: Header=BB4_2077 Depth=2
	s_xor_b32 s13, exec_lo, -1
; %bb.2418:                             ;   in Loop: Header=BB4_2077 Depth=2
	s_or_b32 exec_lo, exec_lo, s29
	s_and_b32 s13, s13, exec_lo
	s_or_saveexec_b32 s28, s28
	v_mov_b32_e32 v40, 0x7f800001
	s_xor_b32 exec_lo, exec_lo, s28
	s_cbranch_execnz .LBB4_2682
.LBB4_2419:                             ;   in Loop: Header=BB4_2077 Depth=2
	s_or_b32 exec_lo, exec_lo, s28
	s_and_saveexec_b32 s28, s13
	s_cbranch_execz .LBB4_2421
.LBB4_2420:                             ;   in Loop: Header=BB4_2077 Depth=2
	v_and_b32_e32 v40, 7, v57
	v_lshrrev_b16 v60, 3, v57
	v_ffbh_u32_e32 v59, v40
	v_and_b32_e32 v60, 15, v60
	v_min_u32_e32 v59, 32, v59
	v_cmp_eq_u32_e32 vcc_lo, 0, v60
	v_subrev_nc_u32_e32 v61, 28, v59
	v_sub_nc_u32_e32 v59, 29, v59
	v_lshlrev_b32_e32 v61, v61, v57
	v_lshlrev_b32_e32 v57, 24, v57
	v_cndmask_b32_e32 v59, v60, v59, vcc_lo
	v_and_b32_e32 v61, 7, v61
	v_and_b32_e32 v57, 0x80000000, v57
	v_lshl_add_u32 v59, v59, 23, 0x3b800000
	v_cndmask_b32_e32 v40, v40, v61, vcc_lo
	v_lshlrev_b32_e32 v40, 20, v40
	v_or3_b32 v40, v57, v59, v40
.LBB4_2421:                             ;   in Loop: Header=BB4_2077 Depth=2
	s_or_b32 exec_lo, exec_lo, s28
	v_add_f32_e32 v57, v58, v40
	v_and_b32_e32 v40, 0x7f800000, v57
	v_cmp_ne_u32_e32 vcc_lo, 0x7f800000, v40
	v_mov_b32_e32 v40, 0x80
	s_and_saveexec_b32 s28, vcc_lo
	s_cbranch_execz .LBB4_2429
; %bb.2422:                             ;   in Loop: Header=BB4_2077 Depth=2
	v_mov_b32_e32 v40, 0
	s_mov_b32 s29, exec_lo
	v_cmpx_ne_u32_e32 0, v57
	s_cbranch_execz .LBB4_2428
; %bb.2423:                             ;   in Loop: Header=BB4_2077 Depth=2
	v_bfe_u32 v40, v57, 23, 8
	v_and_b32_e32 v58, 0x7fffff, v57
	v_sub_nc_u32_e32 v59, 0x78, v40
	v_cmp_gt_u32_e32 vcc_lo, 0x79, v40
	v_or_b32_e32 v60, 0x800000, v58
	v_cndmask_b32_e32 v59, 0, v59, vcc_lo
	v_cmp_eq_u32_e32 vcc_lo, 0, v40
	v_add_nc_u32_e32 v40, 0xffffff89, v40
	v_cndmask_b32_e64 v59, v59, 0x77, vcc_lo
	v_cndmask_b32_e32 v58, v60, v58, vcc_lo
	v_cndmask_b32_e64 v40, v40, 0xffffff8a, vcc_lo
	v_lshl_add_u32 v60, 0x100000, v59, -1
	v_lshrrev_b32_e32 v61, v59, v58
	v_lshlrev_b32_e64 v63, v59, 0x80000
	v_add_nc_u32_e32 v59, v59, v40
	v_and_b32_e32 v58, v60, v58
	v_bfe_u32 v62, v61, 20, 1
	v_cmp_eq_u32_e64 s13, v58, v63
	v_add_nc_u32_e32 v60, -1, v62
	v_cndmask_b32_e64 v58, 0, v60, s13
	v_lshrrev_b32_e32 v60, 23, v61
	s_mov_b32 s13, exec_lo
	v_add_nc_u32_e32 v58, v58, v61
	v_xor_b32_e32 v60, 1, v60
	v_and_b32_e32 v40, 0xfffff, v58
	v_add_nc_u32_e32 v58, v40, v61
                                        ; implicit-def: $vgpr40
	v_cmpx_ne_u32_e64 v59, v60
	s_xor_b32 s13, exec_lo, s13
; %bb.2424:                             ;   in Loop: Header=BB4_2077 Depth=2
	v_cmp_lt_u32_e32 vcc_lo, 0xffffff, v58
	v_sub_nc_u32_e32 v40, v59, v60
	v_cndmask_b32_e64 v59, 0, 1, vcc_lo
	v_add_co_ci_u32_e64 v40, null, 0, v40, vcc_lo
	v_lshrrev_b32_e32 v58, v59, v58
; %bb.2425:                             ;   in Loop: Header=BB4_2077 Depth=2
	s_andn2_saveexec_b32 s13, s13
; %bb.2426:                             ;   in Loop: Header=BB4_2077 Depth=2
	v_bfe_u32 v40, v58, 23, 1
; %bb.2427:                             ;   in Loop: Header=BB4_2077 Depth=2
	s_or_b32 exec_lo, exec_lo, s13
	v_lshrrev_b32_e32 v58, 20, v58
	v_cmp_gt_i32_e32 vcc_lo, 16, v40
	v_min_i32_e32 v59, 15, v40
	v_and_b32_sdwa v57, v57, v97 dst_sel:DWORD dst_unused:UNUSED_PAD src0_sel:BYTE_3 src1_sel:DWORD
	v_cndmask_b32_e32 v58, 7, v58, vcc_lo
	v_lshlrev_b32_e32 v59, 3, v59
	v_and_b32_e32 v60, 7, v58
	v_or_b32_e32 v40, v40, v58
	v_or3_b32 v57, v59, v57, v60
	v_cmp_ne_u32_e32 vcc_lo, 0, v40
	v_cndmask_b32_e32 v40, 0, v57, vcc_lo
.LBB4_2428:                             ;   in Loop: Header=BB4_2077 Depth=2
	s_or_b32 exec_lo, exec_lo, s29
.LBB4_2429:                             ;   in Loop: Header=BB4_2077 Depth=2
	s_or_b32 exec_lo, exec_lo, s28
	v_cmp_gt_i16_sdwa s28, v118, v96 src0_sel:BYTE_0 src1_sel:DWORD
	s_mov_b32 s13, 0
	s_and_saveexec_b32 s29, s28
	s_xor_b32 s28, exec_lo, s29
	s_cbranch_execz .LBB4_2683
; %bb.2430:                             ;   in Loop: Header=BB4_2077 Depth=2
	v_cmp_eq_u16_sdwa s40, v118, v97 src0_sel:BYTE_0 src1_sel:DWORD
	s_mov_b32 s13, -1
	s_and_saveexec_b32 s29, s40
; %bb.2431:                             ;   in Loop: Header=BB4_2077 Depth=2
	s_xor_b32 s13, exec_lo, -1
; %bb.2432:                             ;   in Loop: Header=BB4_2077 Depth=2
	s_or_b32 exec_lo, exec_lo, s29
	s_and_b32 s13, s13, exec_lo
	s_or_saveexec_b32 s28, s28
	v_mov_b32_e32 v57, 0x7f800001
	s_xor_b32 exec_lo, exec_lo, s28
	s_cbranch_execnz .LBB4_2684
.LBB4_2433:                             ;   in Loop: Header=BB4_2077 Depth=2
	s_or_b32 exec_lo, exec_lo, s28
	s_and_saveexec_b32 s28, s13
	s_cbranch_execz .LBB4_2435
.LBB4_2434:                             ;   in Loop: Header=BB4_2077 Depth=2
	v_and_b32_e32 v57, 7, v118
	v_lshrrev_b16 v59, 3, v118
	v_ffbh_u32_e32 v58, v57
	v_and_b32_e32 v59, 15, v59
	v_min_u32_e32 v58, 32, v58
	v_cmp_eq_u32_e32 vcc_lo, 0, v59
	v_subrev_nc_u32_e32 v60, 28, v58
	v_sub_nc_u32_e32 v58, 29, v58
	v_lshlrev_b32_e32 v60, v60, v118
	v_lshlrev_b32_e32 v118, 24, v118
	v_cndmask_b32_e32 v58, v59, v58, vcc_lo
	v_and_b32_e32 v60, 7, v60
	v_and_b32_e32 v118, 0x80000000, v118
	v_lshl_add_u32 v58, v58, 23, 0x3b800000
	v_cndmask_b32_e32 v57, v57, v60, vcc_lo
	v_lshlrev_b32_e32 v57, 20, v57
	v_or3_b32 v57, v118, v58, v57
.LBB4_2435:                             ;   in Loop: Header=BB4_2077 Depth=2
	s_or_b32 exec_lo, exec_lo, s28
	s_waitcnt vmcnt(9) lgkmcnt(9)
	v_cmp_gt_i16_sdwa s28, v56, v96 src0_sel:BYTE_0 src1_sel:DWORD
	s_mov_b32 s13, 0
	s_and_saveexec_b32 s29, s28
	s_xor_b32 s28, exec_lo, s29
	s_cbranch_execz .LBB4_2685
; %bb.2436:                             ;   in Loop: Header=BB4_2077 Depth=2
	v_cmp_eq_u16_sdwa s40, v56, v97 src0_sel:BYTE_0 src1_sel:DWORD
	s_mov_b32 s13, -1
	s_and_saveexec_b32 s29, s40
; %bb.2437:                             ;   in Loop: Header=BB4_2077 Depth=2
	s_xor_b32 s13, exec_lo, -1
; %bb.2438:                             ;   in Loop: Header=BB4_2077 Depth=2
	s_or_b32 exec_lo, exec_lo, s29
	s_and_b32 s13, s13, exec_lo
	s_or_saveexec_b32 s28, s28
	v_mov_b32_e32 v118, 0x7f800001
	s_xor_b32 exec_lo, exec_lo, s28
	s_cbranch_execnz .LBB4_2686
.LBB4_2439:                             ;   in Loop: Header=BB4_2077 Depth=2
	s_or_b32 exec_lo, exec_lo, s28
	s_and_saveexec_b32 s28, s13
	s_cbranch_execz .LBB4_2441
.LBB4_2440:                             ;   in Loop: Header=BB4_2077 Depth=2
	v_and_b32_e32 v118, 7, v56
	v_lshrrev_b16 v59, 3, v56
	v_ffbh_u32_e32 v58, v118
	v_and_b32_e32 v59, 15, v59
	v_min_u32_e32 v58, 32, v58
	v_cmp_eq_u32_e32 vcc_lo, 0, v59
	v_subrev_nc_u32_e32 v60, 28, v58
	v_sub_nc_u32_e32 v58, 29, v58
	v_lshlrev_b32_e32 v60, v60, v56
	v_lshlrev_b32_e32 v56, 24, v56
	v_cndmask_b32_e32 v58, v59, v58, vcc_lo
	v_and_b32_e32 v60, 7, v60
	v_and_b32_e32 v56, 0x80000000, v56
	v_lshl_add_u32 v58, v58, 23, 0x3b800000
	v_cndmask_b32_e32 v118, v118, v60, vcc_lo
	v_lshlrev_b32_e32 v118, 20, v118
	v_or3_b32 v118, v56, v58, v118
.LBB4_2441:                             ;   in Loop: Header=BB4_2077 Depth=2
	s_or_b32 exec_lo, exec_lo, s28
	v_add_f32_e32 v56, v57, v118
	v_and_b32_e32 v118, 0x7f800000, v56
	v_cmp_ne_u32_e32 vcc_lo, 0x7f800000, v118
	v_mov_b32_e32 v118, 0x80
	s_and_saveexec_b32 s28, vcc_lo
	s_cbranch_execz .LBB4_2449
; %bb.2442:                             ;   in Loop: Header=BB4_2077 Depth=2
	v_mov_b32_e32 v118, 0
	s_mov_b32 s29, exec_lo
	v_cmpx_ne_u32_e32 0, v56
	s_cbranch_execz .LBB4_2448
; %bb.2443:                             ;   in Loop: Header=BB4_2077 Depth=2
	v_bfe_u32 v118, v56, 23, 8
	v_and_b32_e32 v57, 0x7fffff, v56
	v_sub_nc_u32_e32 v58, 0x78, v118
	v_cmp_gt_u32_e32 vcc_lo, 0x79, v118
	v_or_b32_e32 v59, 0x800000, v57
	v_cndmask_b32_e32 v58, 0, v58, vcc_lo
	v_cmp_eq_u32_e32 vcc_lo, 0, v118
	v_add_nc_u32_e32 v118, 0xffffff89, v118
	v_cndmask_b32_e64 v58, v58, 0x77, vcc_lo
	v_cndmask_b32_e32 v57, v59, v57, vcc_lo
	v_cndmask_b32_e64 v118, v118, 0xffffff8a, vcc_lo
	v_lshl_add_u32 v59, 0x100000, v58, -1
	v_lshrrev_b32_e32 v60, v58, v57
	v_lshlrev_b32_e64 v62, v58, 0x80000
	v_add_nc_u32_e32 v58, v58, v118
	v_and_b32_e32 v57, v59, v57
	v_bfe_u32 v61, v60, 20, 1
	v_cmp_eq_u32_e64 s13, v57, v62
	v_add_nc_u32_e32 v59, -1, v61
	v_cndmask_b32_e64 v57, 0, v59, s13
	v_lshrrev_b32_e32 v59, 23, v60
	s_mov_b32 s13, exec_lo
	v_add_nc_u32_e32 v57, v57, v60
	v_xor_b32_e32 v59, 1, v59
	v_and_b32_e32 v118, 0xfffff, v57
	v_add_nc_u32_e32 v57, v118, v60
                                        ; implicit-def: $vgpr118
	v_cmpx_ne_u32_e64 v58, v59
	s_xor_b32 s13, exec_lo, s13
; %bb.2444:                             ;   in Loop: Header=BB4_2077 Depth=2
	v_cmp_lt_u32_e32 vcc_lo, 0xffffff, v57
	v_sub_nc_u32_e32 v118, v58, v59
	v_cndmask_b32_e64 v58, 0, 1, vcc_lo
	v_add_co_ci_u32_e64 v118, null, 0, v118, vcc_lo
	v_lshrrev_b32_e32 v57, v58, v57
; %bb.2445:                             ;   in Loop: Header=BB4_2077 Depth=2
	s_andn2_saveexec_b32 s13, s13
; %bb.2446:                             ;   in Loop: Header=BB4_2077 Depth=2
	v_bfe_u32 v118, v57, 23, 1
; %bb.2447:                             ;   in Loop: Header=BB4_2077 Depth=2
	s_or_b32 exec_lo, exec_lo, s13
	v_lshrrev_b32_e32 v57, 20, v57
	v_cmp_gt_i32_e32 vcc_lo, 16, v118
	v_min_i32_e32 v58, 15, v118
	v_and_b32_sdwa v56, v56, v97 dst_sel:DWORD dst_unused:UNUSED_PAD src0_sel:BYTE_3 src1_sel:DWORD
	v_cndmask_b32_e32 v57, 7, v57, vcc_lo
	v_lshlrev_b32_e32 v58, 3, v58
	v_and_b32_e32 v59, 7, v57
	v_or_b32_e32 v118, v118, v57
	v_or3_b32 v56, v58, v56, v59
	v_cmp_ne_u32_e32 vcc_lo, 0, v118
	v_cndmask_b32_e32 v118, 0, v56, vcc_lo
.LBB4_2448:                             ;   in Loop: Header=BB4_2077 Depth=2
	s_or_b32 exec_lo, exec_lo, s29
.LBB4_2449:                             ;   in Loop: Header=BB4_2077 Depth=2
	s_or_b32 exec_lo, exec_lo, s28
	v_cmp_gt_i16_sdwa s28, v117, v96 src0_sel:BYTE_0 src1_sel:DWORD
	s_mov_b32 s13, 0
	s_and_saveexec_b32 s29, s28
	s_xor_b32 s28, exec_lo, s29
	s_cbranch_execz .LBB4_2687
; %bb.2450:                             ;   in Loop: Header=BB4_2077 Depth=2
	v_cmp_eq_u16_sdwa s40, v117, v97 src0_sel:BYTE_0 src1_sel:DWORD
	s_mov_b32 s13, -1
	s_and_saveexec_b32 s29, s40
; %bb.2451:                             ;   in Loop: Header=BB4_2077 Depth=2
	s_xor_b32 s13, exec_lo, -1
; %bb.2452:                             ;   in Loop: Header=BB4_2077 Depth=2
	s_or_b32 exec_lo, exec_lo, s29
	s_and_b32 s13, s13, exec_lo
	s_or_saveexec_b32 s28, s28
	v_mov_b32_e32 v56, 0x7f800001
	s_xor_b32 exec_lo, exec_lo, s28
	s_cbranch_execnz .LBB4_2688
.LBB4_2453:                             ;   in Loop: Header=BB4_2077 Depth=2
	s_or_b32 exec_lo, exec_lo, s28
	s_and_saveexec_b32 s28, s13
	s_cbranch_execz .LBB4_2455
.LBB4_2454:                             ;   in Loop: Header=BB4_2077 Depth=2
	v_and_b32_e32 v56, 7, v117
	v_lshrrev_b16 v58, 3, v117
	v_ffbh_u32_e32 v57, v56
	v_and_b32_e32 v58, 15, v58
	v_min_u32_e32 v57, 32, v57
	v_cmp_eq_u32_e32 vcc_lo, 0, v58
	v_subrev_nc_u32_e32 v59, 28, v57
	v_sub_nc_u32_e32 v57, 29, v57
	v_lshlrev_b32_e32 v59, v59, v117
	v_lshlrev_b32_e32 v117, 24, v117
	v_cndmask_b32_e32 v57, v58, v57, vcc_lo
	v_and_b32_e32 v59, 7, v59
	v_and_b32_e32 v117, 0x80000000, v117
	v_lshl_add_u32 v57, v57, 23, 0x3b800000
	v_cndmask_b32_e32 v56, v56, v59, vcc_lo
	v_lshlrev_b32_e32 v56, 20, v56
	v_or3_b32 v56, v117, v57, v56
.LBB4_2455:                             ;   in Loop: Header=BB4_2077 Depth=2
	s_or_b32 exec_lo, exec_lo, s28
	s_waitcnt vmcnt(8) lgkmcnt(8)
	v_cmp_gt_i16_sdwa s28, v47, v96 src0_sel:BYTE_0 src1_sel:DWORD
	s_mov_b32 s13, 0
	s_and_saveexec_b32 s29, s28
	s_xor_b32 s28, exec_lo, s29
	s_cbranch_execz .LBB4_2689
; %bb.2456:                             ;   in Loop: Header=BB4_2077 Depth=2
	v_cmp_eq_u16_sdwa s40, v47, v97 src0_sel:BYTE_0 src1_sel:DWORD
	s_mov_b32 s13, -1
	s_and_saveexec_b32 s29, s40
; %bb.2457:                             ;   in Loop: Header=BB4_2077 Depth=2
	s_xor_b32 s13, exec_lo, -1
; %bb.2458:                             ;   in Loop: Header=BB4_2077 Depth=2
	s_or_b32 exec_lo, exec_lo, s29
	s_and_b32 s13, s13, exec_lo
	s_or_saveexec_b32 s28, s28
	v_mov_b32_e32 v117, 0x7f800001
	s_xor_b32 exec_lo, exec_lo, s28
	s_cbranch_execnz .LBB4_2690
.LBB4_2459:                             ;   in Loop: Header=BB4_2077 Depth=2
	s_or_b32 exec_lo, exec_lo, s28
	s_and_saveexec_b32 s28, s13
	s_cbranch_execz .LBB4_2461
.LBB4_2460:                             ;   in Loop: Header=BB4_2077 Depth=2
	v_and_b32_e32 v117, 7, v47
	v_lshrrev_b16 v58, 3, v47
	v_ffbh_u32_e32 v57, v117
	v_and_b32_e32 v58, 15, v58
	v_min_u32_e32 v57, 32, v57
	v_cmp_eq_u32_e32 vcc_lo, 0, v58
	v_subrev_nc_u32_e32 v59, 28, v57
	v_sub_nc_u32_e32 v57, 29, v57
	v_lshlrev_b32_e32 v59, v59, v47
	v_lshlrev_b32_e32 v47, 24, v47
	v_cndmask_b32_e32 v57, v58, v57, vcc_lo
	v_and_b32_e32 v59, 7, v59
	v_and_b32_e32 v47, 0x80000000, v47
	v_lshl_add_u32 v57, v57, 23, 0x3b800000
	v_cndmask_b32_e32 v117, v117, v59, vcc_lo
	v_lshlrev_b32_e32 v117, 20, v117
	v_or3_b32 v117, v47, v57, v117
.LBB4_2461:                             ;   in Loop: Header=BB4_2077 Depth=2
	s_or_b32 exec_lo, exec_lo, s28
	v_add_f32_e32 v47, v56, v117
	v_and_b32_e32 v117, 0x7f800000, v47
	v_cmp_ne_u32_e32 vcc_lo, 0x7f800000, v117
	v_mov_b32_e32 v117, 0x80
	s_and_saveexec_b32 s28, vcc_lo
	s_cbranch_execz .LBB4_2469
; %bb.2462:                             ;   in Loop: Header=BB4_2077 Depth=2
	v_mov_b32_e32 v117, 0
	s_mov_b32 s29, exec_lo
	v_cmpx_ne_u32_e32 0, v47
	s_cbranch_execz .LBB4_2468
; %bb.2463:                             ;   in Loop: Header=BB4_2077 Depth=2
	v_bfe_u32 v117, v47, 23, 8
	v_and_b32_e32 v56, 0x7fffff, v47
	v_sub_nc_u32_e32 v57, 0x78, v117
	v_cmp_gt_u32_e32 vcc_lo, 0x79, v117
	v_or_b32_e32 v58, 0x800000, v56
	v_cndmask_b32_e32 v57, 0, v57, vcc_lo
	v_cmp_eq_u32_e32 vcc_lo, 0, v117
	v_add_nc_u32_e32 v117, 0xffffff89, v117
	v_cndmask_b32_e64 v57, v57, 0x77, vcc_lo
	v_cndmask_b32_e32 v56, v58, v56, vcc_lo
	v_cndmask_b32_e64 v117, v117, 0xffffff8a, vcc_lo
	v_lshl_add_u32 v58, 0x100000, v57, -1
	v_lshrrev_b32_e32 v59, v57, v56
	v_lshlrev_b32_e64 v61, v57, 0x80000
	v_add_nc_u32_e32 v57, v57, v117
	v_and_b32_e32 v56, v58, v56
	v_bfe_u32 v60, v59, 20, 1
	v_cmp_eq_u32_e64 s13, v56, v61
	v_add_nc_u32_e32 v58, -1, v60
	v_cndmask_b32_e64 v56, 0, v58, s13
	v_lshrrev_b32_e32 v58, 23, v59
	s_mov_b32 s13, exec_lo
	v_add_nc_u32_e32 v56, v56, v59
	v_xor_b32_e32 v58, 1, v58
	v_and_b32_e32 v117, 0xfffff, v56
	v_add_nc_u32_e32 v56, v117, v59
                                        ; implicit-def: $vgpr117
	v_cmpx_ne_u32_e64 v57, v58
	s_xor_b32 s13, exec_lo, s13
; %bb.2464:                             ;   in Loop: Header=BB4_2077 Depth=2
	v_cmp_lt_u32_e32 vcc_lo, 0xffffff, v56
	v_sub_nc_u32_e32 v117, v57, v58
	v_cndmask_b32_e64 v57, 0, 1, vcc_lo
	v_add_co_ci_u32_e64 v117, null, 0, v117, vcc_lo
	v_lshrrev_b32_e32 v56, v57, v56
; %bb.2465:                             ;   in Loop: Header=BB4_2077 Depth=2
	s_andn2_saveexec_b32 s13, s13
; %bb.2466:                             ;   in Loop: Header=BB4_2077 Depth=2
	v_bfe_u32 v117, v56, 23, 1
; %bb.2467:                             ;   in Loop: Header=BB4_2077 Depth=2
	s_or_b32 exec_lo, exec_lo, s13
	v_lshrrev_b32_e32 v56, 20, v56
	v_cmp_gt_i32_e32 vcc_lo, 16, v117
	v_min_i32_e32 v57, 15, v117
	v_and_b32_sdwa v47, v47, v97 dst_sel:DWORD dst_unused:UNUSED_PAD src0_sel:BYTE_3 src1_sel:DWORD
	v_cndmask_b32_e32 v56, 7, v56, vcc_lo
	v_lshlrev_b32_e32 v57, 3, v57
	v_and_b32_e32 v58, 7, v56
	v_or_b32_e32 v117, v117, v56
	v_or3_b32 v47, v57, v47, v58
	v_cmp_ne_u32_e32 vcc_lo, 0, v117
	v_cndmask_b32_e32 v117, 0, v47, vcc_lo
.LBB4_2468:                             ;   in Loop: Header=BB4_2077 Depth=2
	s_or_b32 exec_lo, exec_lo, s29
.LBB4_2469:                             ;   in Loop: Header=BB4_2077 Depth=2
	s_or_b32 exec_lo, exec_lo, s28
	v_cmp_gt_i16_sdwa s28, v115, v96 src0_sel:BYTE_0 src1_sel:DWORD
	s_mov_b32 s13, 0
	s_and_saveexec_b32 s29, s28
	s_xor_b32 s28, exec_lo, s29
	s_cbranch_execz .LBB4_2691
; %bb.2470:                             ;   in Loop: Header=BB4_2077 Depth=2
	v_cmp_eq_u16_sdwa s40, v115, v97 src0_sel:BYTE_0 src1_sel:DWORD
	s_mov_b32 s13, -1
	s_and_saveexec_b32 s29, s40
; %bb.2471:                             ;   in Loop: Header=BB4_2077 Depth=2
	s_xor_b32 s13, exec_lo, -1
; %bb.2472:                             ;   in Loop: Header=BB4_2077 Depth=2
	s_or_b32 exec_lo, exec_lo, s29
	s_and_b32 s13, s13, exec_lo
	s_or_saveexec_b32 s28, s28
	v_mov_b32_e32 v47, 0x7f800001
	s_xor_b32 exec_lo, exec_lo, s28
	s_cbranch_execnz .LBB4_2692
.LBB4_2473:                             ;   in Loop: Header=BB4_2077 Depth=2
	s_or_b32 exec_lo, exec_lo, s28
	s_and_saveexec_b32 s28, s13
	s_cbranch_execz .LBB4_2475
.LBB4_2474:                             ;   in Loop: Header=BB4_2077 Depth=2
	v_and_b32_e32 v47, 7, v115
	v_lshrrev_b16 v57, 3, v115
	v_ffbh_u32_e32 v56, v47
	v_and_b32_e32 v57, 15, v57
	v_min_u32_e32 v56, 32, v56
	v_cmp_eq_u32_e32 vcc_lo, 0, v57
	v_subrev_nc_u32_e32 v58, 28, v56
	v_sub_nc_u32_e32 v56, 29, v56
	v_lshlrev_b32_e32 v58, v58, v115
	v_lshlrev_b32_e32 v115, 24, v115
	v_cndmask_b32_e32 v56, v57, v56, vcc_lo
	v_and_b32_e32 v58, 7, v58
	v_and_b32_e32 v115, 0x80000000, v115
	v_lshl_add_u32 v56, v56, 23, 0x3b800000
	v_cndmask_b32_e32 v47, v47, v58, vcc_lo
	v_lshlrev_b32_e32 v47, 20, v47
	v_or3_b32 v47, v115, v56, v47
.LBB4_2475:                             ;   in Loop: Header=BB4_2077 Depth=2
	s_or_b32 exec_lo, exec_lo, s28
	s_waitcnt vmcnt(7) lgkmcnt(7)
	v_cmp_gt_i16_sdwa s28, v46, v96 src0_sel:BYTE_0 src1_sel:DWORD
	s_mov_b32 s13, 0
	s_and_saveexec_b32 s29, s28
	s_xor_b32 s28, exec_lo, s29
	s_cbranch_execz .LBB4_2693
; %bb.2476:                             ;   in Loop: Header=BB4_2077 Depth=2
	v_cmp_eq_u16_sdwa s40, v46, v97 src0_sel:BYTE_0 src1_sel:DWORD
	s_mov_b32 s13, -1
	s_and_saveexec_b32 s29, s40
; %bb.2477:                             ;   in Loop: Header=BB4_2077 Depth=2
	s_xor_b32 s13, exec_lo, -1
; %bb.2478:                             ;   in Loop: Header=BB4_2077 Depth=2
	s_or_b32 exec_lo, exec_lo, s29
	s_and_b32 s13, s13, exec_lo
	s_or_saveexec_b32 s28, s28
	v_mov_b32_e32 v115, 0x7f800001
	s_xor_b32 exec_lo, exec_lo, s28
	s_cbranch_execnz .LBB4_2694
.LBB4_2479:                             ;   in Loop: Header=BB4_2077 Depth=2
	s_or_b32 exec_lo, exec_lo, s28
	s_and_saveexec_b32 s28, s13
	s_cbranch_execz .LBB4_2481
.LBB4_2480:                             ;   in Loop: Header=BB4_2077 Depth=2
	v_and_b32_e32 v115, 7, v46
	v_lshrrev_b16 v57, 3, v46
	v_ffbh_u32_e32 v56, v115
	v_and_b32_e32 v57, 15, v57
	v_min_u32_e32 v56, 32, v56
	v_cmp_eq_u32_e32 vcc_lo, 0, v57
	v_subrev_nc_u32_e32 v58, 28, v56
	v_sub_nc_u32_e32 v56, 29, v56
	v_lshlrev_b32_e32 v58, v58, v46
	v_lshlrev_b32_e32 v46, 24, v46
	v_cndmask_b32_e32 v56, v57, v56, vcc_lo
	v_and_b32_e32 v58, 7, v58
	v_and_b32_e32 v46, 0x80000000, v46
	v_lshl_add_u32 v56, v56, 23, 0x3b800000
	v_cndmask_b32_e32 v115, v115, v58, vcc_lo
	v_lshlrev_b32_e32 v115, 20, v115
	v_or3_b32 v115, v46, v56, v115
.LBB4_2481:                             ;   in Loop: Header=BB4_2077 Depth=2
	s_or_b32 exec_lo, exec_lo, s28
	v_add_f32_e32 v46, v47, v115
	v_and_b32_e32 v115, 0x7f800000, v46
	v_cmp_ne_u32_e32 vcc_lo, 0x7f800000, v115
	v_mov_b32_e32 v115, 0x80
	s_and_saveexec_b32 s28, vcc_lo
	s_cbranch_execz .LBB4_2489
; %bb.2482:                             ;   in Loop: Header=BB4_2077 Depth=2
	v_mov_b32_e32 v115, 0
	s_mov_b32 s29, exec_lo
	v_cmpx_ne_u32_e32 0, v46
	s_cbranch_execz .LBB4_2488
; %bb.2483:                             ;   in Loop: Header=BB4_2077 Depth=2
	v_bfe_u32 v115, v46, 23, 8
	v_and_b32_e32 v47, 0x7fffff, v46
	v_sub_nc_u32_e32 v56, 0x78, v115
	v_cmp_gt_u32_e32 vcc_lo, 0x79, v115
	v_or_b32_e32 v57, 0x800000, v47
	v_cndmask_b32_e32 v56, 0, v56, vcc_lo
	v_cmp_eq_u32_e32 vcc_lo, 0, v115
	v_add_nc_u32_e32 v115, 0xffffff89, v115
	v_cndmask_b32_e64 v56, v56, 0x77, vcc_lo
	v_cndmask_b32_e32 v47, v57, v47, vcc_lo
	v_cndmask_b32_e64 v115, v115, 0xffffff8a, vcc_lo
	v_lshl_add_u32 v57, 0x100000, v56, -1
	v_lshrrev_b32_e32 v58, v56, v47
	v_lshlrev_b32_e64 v60, v56, 0x80000
	v_add_nc_u32_e32 v56, v56, v115
	v_and_b32_e32 v47, v57, v47
	v_bfe_u32 v59, v58, 20, 1
	v_cmp_eq_u32_e64 s13, v47, v60
	v_add_nc_u32_e32 v57, -1, v59
	v_cndmask_b32_e64 v47, 0, v57, s13
	v_lshrrev_b32_e32 v57, 23, v58
	s_mov_b32 s13, exec_lo
	v_add_nc_u32_e32 v47, v47, v58
	v_xor_b32_e32 v57, 1, v57
	v_and_b32_e32 v115, 0xfffff, v47
	v_add_nc_u32_e32 v47, v115, v58
                                        ; implicit-def: $vgpr115
	v_cmpx_ne_u32_e64 v56, v57
	s_xor_b32 s13, exec_lo, s13
; %bb.2484:                             ;   in Loop: Header=BB4_2077 Depth=2
	v_cmp_lt_u32_e32 vcc_lo, 0xffffff, v47
	v_sub_nc_u32_e32 v115, v56, v57
	v_cndmask_b32_e64 v56, 0, 1, vcc_lo
	v_add_co_ci_u32_e64 v115, null, 0, v115, vcc_lo
	v_lshrrev_b32_e32 v47, v56, v47
; %bb.2485:                             ;   in Loop: Header=BB4_2077 Depth=2
	s_andn2_saveexec_b32 s13, s13
; %bb.2486:                             ;   in Loop: Header=BB4_2077 Depth=2
	v_bfe_u32 v115, v47, 23, 1
; %bb.2487:                             ;   in Loop: Header=BB4_2077 Depth=2
	s_or_b32 exec_lo, exec_lo, s13
	v_lshrrev_b32_e32 v47, 20, v47
	v_cmp_gt_i32_e32 vcc_lo, 16, v115
	v_min_i32_e32 v56, 15, v115
	v_and_b32_sdwa v46, v46, v97 dst_sel:DWORD dst_unused:UNUSED_PAD src0_sel:BYTE_3 src1_sel:DWORD
	v_cndmask_b32_e32 v47, 7, v47, vcc_lo
	v_lshlrev_b32_e32 v56, 3, v56
	v_and_b32_e32 v57, 7, v47
	v_or_b32_e32 v115, v115, v47
	v_or3_b32 v46, v56, v46, v57
	v_cmp_ne_u32_e32 vcc_lo, 0, v115
	v_cndmask_b32_e32 v115, 0, v46, vcc_lo
.LBB4_2488:                             ;   in Loop: Header=BB4_2077 Depth=2
	s_or_b32 exec_lo, exec_lo, s29
.LBB4_2489:                             ;   in Loop: Header=BB4_2077 Depth=2
	s_or_b32 exec_lo, exec_lo, s28
	v_cmp_gt_i16_sdwa s28, v113, v96 src0_sel:BYTE_0 src1_sel:DWORD
	s_mov_b32 s13, 0
	s_and_saveexec_b32 s29, s28
	s_xor_b32 s28, exec_lo, s29
	s_cbranch_execz .LBB4_2695
; %bb.2490:                             ;   in Loop: Header=BB4_2077 Depth=2
	v_cmp_eq_u16_sdwa s40, v113, v97 src0_sel:BYTE_0 src1_sel:DWORD
	s_mov_b32 s13, -1
	s_and_saveexec_b32 s29, s40
; %bb.2491:                             ;   in Loop: Header=BB4_2077 Depth=2
	s_xor_b32 s13, exec_lo, -1
; %bb.2492:                             ;   in Loop: Header=BB4_2077 Depth=2
	s_or_b32 exec_lo, exec_lo, s29
	s_and_b32 s13, s13, exec_lo
	s_or_saveexec_b32 s28, s28
	v_mov_b32_e32 v46, 0x7f800001
	s_xor_b32 exec_lo, exec_lo, s28
	s_cbranch_execnz .LBB4_2696
.LBB4_2493:                             ;   in Loop: Header=BB4_2077 Depth=2
	s_or_b32 exec_lo, exec_lo, s28
	s_and_saveexec_b32 s28, s13
	s_cbranch_execz .LBB4_2495
.LBB4_2494:                             ;   in Loop: Header=BB4_2077 Depth=2
	v_and_b32_e32 v46, 7, v113
	v_lshrrev_b16 v56, 3, v113
	v_ffbh_u32_e32 v47, v46
	v_and_b32_e32 v56, 15, v56
	v_min_u32_e32 v47, 32, v47
	v_cmp_eq_u32_e32 vcc_lo, 0, v56
	v_subrev_nc_u32_e32 v57, 28, v47
	v_sub_nc_u32_e32 v47, 29, v47
	v_lshlrev_b32_e32 v57, v57, v113
	v_lshlrev_b32_e32 v113, 24, v113
	v_cndmask_b32_e32 v47, v56, v47, vcc_lo
	v_and_b32_e32 v57, 7, v57
	v_and_b32_e32 v113, 0x80000000, v113
	v_lshl_add_u32 v47, v47, 23, 0x3b800000
	v_cndmask_b32_e32 v46, v46, v57, vcc_lo
	v_lshlrev_b32_e32 v46, 20, v46
	v_or3_b32 v46, v113, v47, v46
.LBB4_2495:                             ;   in Loop: Header=BB4_2077 Depth=2
	s_or_b32 exec_lo, exec_lo, s28
	s_waitcnt vmcnt(6) lgkmcnt(6)
	v_cmp_gt_i16_sdwa s28, v45, v96 src0_sel:BYTE_0 src1_sel:DWORD
	s_mov_b32 s13, 0
	s_and_saveexec_b32 s29, s28
	s_xor_b32 s28, exec_lo, s29
	s_cbranch_execz .LBB4_2697
; %bb.2496:                             ;   in Loop: Header=BB4_2077 Depth=2
	v_cmp_eq_u16_sdwa s40, v45, v97 src0_sel:BYTE_0 src1_sel:DWORD
	s_mov_b32 s13, -1
	s_and_saveexec_b32 s29, s40
; %bb.2497:                             ;   in Loop: Header=BB4_2077 Depth=2
	s_xor_b32 s13, exec_lo, -1
; %bb.2498:                             ;   in Loop: Header=BB4_2077 Depth=2
	s_or_b32 exec_lo, exec_lo, s29
	s_and_b32 s13, s13, exec_lo
	s_or_saveexec_b32 s28, s28
	v_mov_b32_e32 v113, 0x7f800001
	s_xor_b32 exec_lo, exec_lo, s28
	s_cbranch_execnz .LBB4_2698
.LBB4_2499:                             ;   in Loop: Header=BB4_2077 Depth=2
	s_or_b32 exec_lo, exec_lo, s28
	s_and_saveexec_b32 s28, s13
	s_cbranch_execz .LBB4_2501
.LBB4_2500:                             ;   in Loop: Header=BB4_2077 Depth=2
	v_and_b32_e32 v113, 7, v45
	v_lshrrev_b16 v56, 3, v45
	v_ffbh_u32_e32 v47, v113
	v_and_b32_e32 v56, 15, v56
	v_min_u32_e32 v47, 32, v47
	v_cmp_eq_u32_e32 vcc_lo, 0, v56
	v_subrev_nc_u32_e32 v57, 28, v47
	v_sub_nc_u32_e32 v47, 29, v47
	v_lshlrev_b32_e32 v57, v57, v45
	v_lshlrev_b32_e32 v45, 24, v45
	v_cndmask_b32_e32 v47, v56, v47, vcc_lo
	v_and_b32_e32 v57, 7, v57
	v_and_b32_e32 v45, 0x80000000, v45
	v_lshl_add_u32 v47, v47, 23, 0x3b800000
	v_cndmask_b32_e32 v113, v113, v57, vcc_lo
	v_lshlrev_b32_e32 v113, 20, v113
	v_or3_b32 v113, v45, v47, v113
.LBB4_2501:                             ;   in Loop: Header=BB4_2077 Depth=2
	s_or_b32 exec_lo, exec_lo, s28
	v_add_f32_e32 v45, v46, v113
	v_and_b32_e32 v113, 0x7f800000, v45
	v_cmp_ne_u32_e32 vcc_lo, 0x7f800000, v113
	v_mov_b32_e32 v113, 0x80
	s_and_saveexec_b32 s28, vcc_lo
	s_cbranch_execz .LBB4_2509
; %bb.2502:                             ;   in Loop: Header=BB4_2077 Depth=2
	v_mov_b32_e32 v113, 0
	s_mov_b32 s29, exec_lo
	v_cmpx_ne_u32_e32 0, v45
	s_cbranch_execz .LBB4_2508
; %bb.2503:                             ;   in Loop: Header=BB4_2077 Depth=2
	v_bfe_u32 v113, v45, 23, 8
	v_and_b32_e32 v46, 0x7fffff, v45
	v_sub_nc_u32_e32 v47, 0x78, v113
	v_cmp_gt_u32_e32 vcc_lo, 0x79, v113
	v_or_b32_e32 v56, 0x800000, v46
	v_cndmask_b32_e32 v47, 0, v47, vcc_lo
	v_cmp_eq_u32_e32 vcc_lo, 0, v113
	v_add_nc_u32_e32 v113, 0xffffff89, v113
	v_cndmask_b32_e64 v47, v47, 0x77, vcc_lo
	v_cndmask_b32_e32 v46, v56, v46, vcc_lo
	v_cndmask_b32_e64 v113, v113, 0xffffff8a, vcc_lo
	v_lshl_add_u32 v56, 0x100000, v47, -1
	v_lshrrev_b32_e32 v57, v47, v46
	v_lshlrev_b32_e64 v59, v47, 0x80000
	v_add_nc_u32_e32 v47, v47, v113
	v_and_b32_e32 v46, v56, v46
	v_bfe_u32 v58, v57, 20, 1
	v_cmp_eq_u32_e64 s13, v46, v59
	v_add_nc_u32_e32 v56, -1, v58
	v_cndmask_b32_e64 v46, 0, v56, s13
	v_lshrrev_b32_e32 v56, 23, v57
	s_mov_b32 s13, exec_lo
	v_add_nc_u32_e32 v46, v46, v57
	v_xor_b32_e32 v56, 1, v56
	v_and_b32_e32 v113, 0xfffff, v46
	v_add_nc_u32_e32 v46, v113, v57
                                        ; implicit-def: $vgpr113
	v_cmpx_ne_u32_e64 v47, v56
	s_xor_b32 s13, exec_lo, s13
; %bb.2504:                             ;   in Loop: Header=BB4_2077 Depth=2
	v_cmp_lt_u32_e32 vcc_lo, 0xffffff, v46
	v_sub_nc_u32_e32 v113, v47, v56
	v_cndmask_b32_e64 v47, 0, 1, vcc_lo
	v_add_co_ci_u32_e64 v113, null, 0, v113, vcc_lo
	v_lshrrev_b32_e32 v46, v47, v46
; %bb.2505:                             ;   in Loop: Header=BB4_2077 Depth=2
	s_andn2_saveexec_b32 s13, s13
; %bb.2506:                             ;   in Loop: Header=BB4_2077 Depth=2
	v_bfe_u32 v113, v46, 23, 1
; %bb.2507:                             ;   in Loop: Header=BB4_2077 Depth=2
	s_or_b32 exec_lo, exec_lo, s13
	v_lshrrev_b32_e32 v46, 20, v46
	v_cmp_gt_i32_e32 vcc_lo, 16, v113
	v_min_i32_e32 v47, 15, v113
	v_and_b32_sdwa v45, v45, v97 dst_sel:DWORD dst_unused:UNUSED_PAD src0_sel:BYTE_3 src1_sel:DWORD
	v_cndmask_b32_e32 v46, 7, v46, vcc_lo
	v_lshlrev_b32_e32 v47, 3, v47
	v_and_b32_e32 v56, 7, v46
	v_or_b32_e32 v113, v113, v46
	v_or3_b32 v45, v47, v45, v56
	v_cmp_ne_u32_e32 vcc_lo, 0, v113
	v_cndmask_b32_e32 v113, 0, v45, vcc_lo
.LBB4_2508:                             ;   in Loop: Header=BB4_2077 Depth=2
	s_or_b32 exec_lo, exec_lo, s29
.LBB4_2509:                             ;   in Loop: Header=BB4_2077 Depth=2
	s_or_b32 exec_lo, exec_lo, s28
	v_cmp_gt_i16_sdwa s28, v112, v96 src0_sel:BYTE_0 src1_sel:DWORD
	s_mov_b32 s13, 0
	s_and_saveexec_b32 s29, s28
	s_xor_b32 s28, exec_lo, s29
	s_cbranch_execz .LBB4_2699
; %bb.2510:                             ;   in Loop: Header=BB4_2077 Depth=2
	v_cmp_eq_u16_sdwa s40, v112, v97 src0_sel:BYTE_0 src1_sel:DWORD
	s_mov_b32 s13, -1
	s_and_saveexec_b32 s29, s40
; %bb.2511:                             ;   in Loop: Header=BB4_2077 Depth=2
	s_xor_b32 s13, exec_lo, -1
; %bb.2512:                             ;   in Loop: Header=BB4_2077 Depth=2
	s_or_b32 exec_lo, exec_lo, s29
	s_and_b32 s13, s13, exec_lo
	s_or_saveexec_b32 s28, s28
	v_mov_b32_e32 v45, 0x7f800001
	s_xor_b32 exec_lo, exec_lo, s28
	s_cbranch_execnz .LBB4_2700
.LBB4_2513:                             ;   in Loop: Header=BB4_2077 Depth=2
	s_or_b32 exec_lo, exec_lo, s28
	s_and_saveexec_b32 s28, s13
	s_cbranch_execz .LBB4_2515
.LBB4_2514:                             ;   in Loop: Header=BB4_2077 Depth=2
	v_and_b32_e32 v45, 7, v112
	v_lshrrev_b16 v47, 3, v112
	v_ffbh_u32_e32 v46, v45
	v_and_b32_e32 v47, 15, v47
	v_min_u32_e32 v46, 32, v46
	v_cmp_eq_u32_e32 vcc_lo, 0, v47
	v_subrev_nc_u32_e32 v56, 28, v46
	v_sub_nc_u32_e32 v46, 29, v46
	v_lshlrev_b32_e32 v56, v56, v112
	v_lshlrev_b32_e32 v112, 24, v112
	v_cndmask_b32_e32 v46, v47, v46, vcc_lo
	v_and_b32_e32 v56, 7, v56
	v_and_b32_e32 v112, 0x80000000, v112
	v_lshl_add_u32 v46, v46, 23, 0x3b800000
	v_cndmask_b32_e32 v45, v45, v56, vcc_lo
	v_lshlrev_b32_e32 v45, 20, v45
	v_or3_b32 v45, v112, v46, v45
.LBB4_2515:                             ;   in Loop: Header=BB4_2077 Depth=2
	s_or_b32 exec_lo, exec_lo, s28
	s_waitcnt vmcnt(5) lgkmcnt(5)
	v_cmp_gt_i16_sdwa s28, v44, v96 src0_sel:BYTE_0 src1_sel:DWORD
	s_mov_b32 s13, 0
	s_and_saveexec_b32 s29, s28
	s_xor_b32 s28, exec_lo, s29
	s_cbranch_execz .LBB4_2701
; %bb.2516:                             ;   in Loop: Header=BB4_2077 Depth=2
	v_cmp_eq_u16_sdwa s40, v44, v97 src0_sel:BYTE_0 src1_sel:DWORD
	s_mov_b32 s13, -1
	s_and_saveexec_b32 s29, s40
; %bb.2517:                             ;   in Loop: Header=BB4_2077 Depth=2
	s_xor_b32 s13, exec_lo, -1
; %bb.2518:                             ;   in Loop: Header=BB4_2077 Depth=2
	s_or_b32 exec_lo, exec_lo, s29
	s_and_b32 s13, s13, exec_lo
	s_or_saveexec_b32 s28, s28
	v_mov_b32_e32 v112, 0x7f800001
	s_xor_b32 exec_lo, exec_lo, s28
	s_cbranch_execnz .LBB4_2702
.LBB4_2519:                             ;   in Loop: Header=BB4_2077 Depth=2
	s_or_b32 exec_lo, exec_lo, s28
	s_and_saveexec_b32 s28, s13
	s_cbranch_execz .LBB4_2521
.LBB4_2520:                             ;   in Loop: Header=BB4_2077 Depth=2
	v_and_b32_e32 v112, 7, v44
	v_lshrrev_b16 v47, 3, v44
	v_ffbh_u32_e32 v46, v112
	v_and_b32_e32 v47, 15, v47
	v_min_u32_e32 v46, 32, v46
	v_cmp_eq_u32_e32 vcc_lo, 0, v47
	v_subrev_nc_u32_e32 v56, 28, v46
	v_sub_nc_u32_e32 v46, 29, v46
	v_lshlrev_b32_e32 v56, v56, v44
	v_lshlrev_b32_e32 v44, 24, v44
	v_cndmask_b32_e32 v46, v47, v46, vcc_lo
	v_and_b32_e32 v56, 7, v56
	v_and_b32_e32 v44, 0x80000000, v44
	v_lshl_add_u32 v46, v46, 23, 0x3b800000
	v_cndmask_b32_e32 v112, v112, v56, vcc_lo
	v_lshlrev_b32_e32 v112, 20, v112
	v_or3_b32 v112, v44, v46, v112
.LBB4_2521:                             ;   in Loop: Header=BB4_2077 Depth=2
	s_or_b32 exec_lo, exec_lo, s28
	v_add_f32_e32 v44, v45, v112
	v_and_b32_e32 v112, 0x7f800000, v44
	v_cmp_ne_u32_e32 vcc_lo, 0x7f800000, v112
	v_mov_b32_e32 v112, 0x80
	s_and_saveexec_b32 s28, vcc_lo
	s_cbranch_execz .LBB4_2529
; %bb.2522:                             ;   in Loop: Header=BB4_2077 Depth=2
	v_mov_b32_e32 v112, 0
	s_mov_b32 s29, exec_lo
	v_cmpx_ne_u32_e32 0, v44
	s_cbranch_execz .LBB4_2528
; %bb.2523:                             ;   in Loop: Header=BB4_2077 Depth=2
	v_bfe_u32 v112, v44, 23, 8
	v_and_b32_e32 v45, 0x7fffff, v44
	v_sub_nc_u32_e32 v46, 0x78, v112
	v_cmp_gt_u32_e32 vcc_lo, 0x79, v112
	v_or_b32_e32 v47, 0x800000, v45
	v_cndmask_b32_e32 v46, 0, v46, vcc_lo
	v_cmp_eq_u32_e32 vcc_lo, 0, v112
	v_add_nc_u32_e32 v112, 0xffffff89, v112
	v_cndmask_b32_e64 v46, v46, 0x77, vcc_lo
	v_cndmask_b32_e32 v45, v47, v45, vcc_lo
	v_cndmask_b32_e64 v112, v112, 0xffffff8a, vcc_lo
	v_lshl_add_u32 v47, 0x100000, v46, -1
	v_lshrrev_b32_e32 v56, v46, v45
	v_lshlrev_b32_e64 v58, v46, 0x80000
	v_add_nc_u32_e32 v46, v46, v112
	v_and_b32_e32 v45, v47, v45
	v_bfe_u32 v57, v56, 20, 1
	v_cmp_eq_u32_e64 s13, v45, v58
	v_add_nc_u32_e32 v47, -1, v57
	v_cndmask_b32_e64 v45, 0, v47, s13
	v_lshrrev_b32_e32 v47, 23, v56
	s_mov_b32 s13, exec_lo
	v_add_nc_u32_e32 v45, v45, v56
	v_xor_b32_e32 v47, 1, v47
	v_and_b32_e32 v112, 0xfffff, v45
	v_add_nc_u32_e32 v45, v112, v56
                                        ; implicit-def: $vgpr112
	v_cmpx_ne_u32_e64 v46, v47
	s_xor_b32 s13, exec_lo, s13
; %bb.2524:                             ;   in Loop: Header=BB4_2077 Depth=2
	v_cmp_lt_u32_e32 vcc_lo, 0xffffff, v45
	v_sub_nc_u32_e32 v112, v46, v47
	v_cndmask_b32_e64 v46, 0, 1, vcc_lo
	v_add_co_ci_u32_e64 v112, null, 0, v112, vcc_lo
	v_lshrrev_b32_e32 v45, v46, v45
; %bb.2525:                             ;   in Loop: Header=BB4_2077 Depth=2
	s_andn2_saveexec_b32 s13, s13
; %bb.2526:                             ;   in Loop: Header=BB4_2077 Depth=2
	v_bfe_u32 v112, v45, 23, 1
; %bb.2527:                             ;   in Loop: Header=BB4_2077 Depth=2
	s_or_b32 exec_lo, exec_lo, s13
	v_lshrrev_b32_e32 v45, 20, v45
	v_cmp_gt_i32_e32 vcc_lo, 16, v112
	v_min_i32_e32 v46, 15, v112
	v_and_b32_sdwa v44, v44, v97 dst_sel:DWORD dst_unused:UNUSED_PAD src0_sel:BYTE_3 src1_sel:DWORD
	v_cndmask_b32_e32 v45, 7, v45, vcc_lo
	v_lshlrev_b32_e32 v46, 3, v46
	v_and_b32_e32 v47, 7, v45
	v_or_b32_e32 v112, v112, v45
	v_or3_b32 v44, v46, v44, v47
	v_cmp_ne_u32_e32 vcc_lo, 0, v112
	v_cndmask_b32_e32 v112, 0, v44, vcc_lo
.LBB4_2528:                             ;   in Loop: Header=BB4_2077 Depth=2
	s_or_b32 exec_lo, exec_lo, s29
.LBB4_2529:                             ;   in Loop: Header=BB4_2077 Depth=2
	s_or_b32 exec_lo, exec_lo, s28
	v_cmp_gt_i16_sdwa s28, v102, v96 src0_sel:BYTE_0 src1_sel:DWORD
	s_mov_b32 s13, 0
	s_and_saveexec_b32 s29, s28
	s_xor_b32 s28, exec_lo, s29
	s_cbranch_execz .LBB4_2703
; %bb.2530:                             ;   in Loop: Header=BB4_2077 Depth=2
	v_cmp_eq_u16_sdwa s40, v102, v97 src0_sel:BYTE_0 src1_sel:DWORD
	s_mov_b32 s13, -1
	s_and_saveexec_b32 s29, s40
; %bb.2531:                             ;   in Loop: Header=BB4_2077 Depth=2
	s_xor_b32 s13, exec_lo, -1
; %bb.2532:                             ;   in Loop: Header=BB4_2077 Depth=2
	s_or_b32 exec_lo, exec_lo, s29
	s_and_b32 s13, s13, exec_lo
	s_or_saveexec_b32 s28, s28
	v_mov_b32_e32 v44, 0x7f800001
	s_xor_b32 exec_lo, exec_lo, s28
	s_cbranch_execnz .LBB4_2704
.LBB4_2533:                             ;   in Loop: Header=BB4_2077 Depth=2
	s_or_b32 exec_lo, exec_lo, s28
	s_and_saveexec_b32 s28, s13
	s_cbranch_execz .LBB4_2535
.LBB4_2534:                             ;   in Loop: Header=BB4_2077 Depth=2
	v_and_b32_e32 v44, 7, v102
	v_lshrrev_b16 v46, 3, v102
	v_ffbh_u32_e32 v45, v44
	v_and_b32_e32 v46, 15, v46
	v_min_u32_e32 v45, 32, v45
	v_cmp_eq_u32_e32 vcc_lo, 0, v46
	v_subrev_nc_u32_e32 v47, 28, v45
	v_sub_nc_u32_e32 v45, 29, v45
	v_lshlrev_b32_e32 v47, v47, v102
	v_lshlrev_b32_e32 v102, 24, v102
	v_cndmask_b32_e32 v45, v46, v45, vcc_lo
	v_and_b32_e32 v47, 7, v47
	v_and_b32_e32 v102, 0x80000000, v102
	v_lshl_add_u32 v45, v45, 23, 0x3b800000
	v_cndmask_b32_e32 v44, v44, v47, vcc_lo
	v_lshlrev_b32_e32 v44, 20, v44
	v_or3_b32 v44, v102, v45, v44
.LBB4_2535:                             ;   in Loop: Header=BB4_2077 Depth=2
	s_or_b32 exec_lo, exec_lo, s28
	s_waitcnt vmcnt(4) lgkmcnt(4)
	v_cmp_gt_i16_sdwa s28, v43, v96 src0_sel:BYTE_0 src1_sel:DWORD
	s_mov_b32 s13, 0
	s_and_saveexec_b32 s29, s28
	s_xor_b32 s28, exec_lo, s29
	s_cbranch_execz .LBB4_2705
; %bb.2536:                             ;   in Loop: Header=BB4_2077 Depth=2
	v_cmp_eq_u16_sdwa s40, v43, v97 src0_sel:BYTE_0 src1_sel:DWORD
	s_mov_b32 s13, -1
	s_and_saveexec_b32 s29, s40
; %bb.2537:                             ;   in Loop: Header=BB4_2077 Depth=2
	s_xor_b32 s13, exec_lo, -1
; %bb.2538:                             ;   in Loop: Header=BB4_2077 Depth=2
	s_or_b32 exec_lo, exec_lo, s29
	s_and_b32 s13, s13, exec_lo
	s_or_saveexec_b32 s28, s28
	v_mov_b32_e32 v102, 0x7f800001
	s_xor_b32 exec_lo, exec_lo, s28
	s_cbranch_execnz .LBB4_2706
.LBB4_2539:                             ;   in Loop: Header=BB4_2077 Depth=2
	s_or_b32 exec_lo, exec_lo, s28
	s_and_saveexec_b32 s28, s13
	s_cbranch_execz .LBB4_2541
.LBB4_2540:                             ;   in Loop: Header=BB4_2077 Depth=2
	v_and_b32_e32 v102, 7, v43
	v_lshrrev_b16 v46, 3, v43
	v_ffbh_u32_e32 v45, v102
	v_and_b32_e32 v46, 15, v46
	v_min_u32_e32 v45, 32, v45
	v_cmp_eq_u32_e32 vcc_lo, 0, v46
	v_subrev_nc_u32_e32 v47, 28, v45
	v_sub_nc_u32_e32 v45, 29, v45
	v_lshlrev_b32_e32 v47, v47, v43
	v_lshlrev_b32_e32 v43, 24, v43
	v_cndmask_b32_e32 v45, v46, v45, vcc_lo
	v_and_b32_e32 v47, 7, v47
	v_and_b32_e32 v43, 0x80000000, v43
	v_lshl_add_u32 v45, v45, 23, 0x3b800000
	v_cndmask_b32_e32 v102, v102, v47, vcc_lo
	v_lshlrev_b32_e32 v102, 20, v102
	v_or3_b32 v102, v43, v45, v102
.LBB4_2541:                             ;   in Loop: Header=BB4_2077 Depth=2
	s_or_b32 exec_lo, exec_lo, s28
	v_add_f32_e32 v43, v44, v102
	v_and_b32_e32 v102, 0x7f800000, v43
	v_cmp_ne_u32_e32 vcc_lo, 0x7f800000, v102
	v_mov_b32_e32 v102, 0x80
	s_and_saveexec_b32 s28, vcc_lo
	s_cbranch_execz .LBB4_2549
; %bb.2542:                             ;   in Loop: Header=BB4_2077 Depth=2
	v_mov_b32_e32 v102, 0
	s_mov_b32 s29, exec_lo
	v_cmpx_ne_u32_e32 0, v43
	s_cbranch_execz .LBB4_2548
; %bb.2543:                             ;   in Loop: Header=BB4_2077 Depth=2
	v_bfe_u32 v102, v43, 23, 8
	v_and_b32_e32 v44, 0x7fffff, v43
	v_sub_nc_u32_e32 v45, 0x78, v102
	v_cmp_gt_u32_e32 vcc_lo, 0x79, v102
	v_or_b32_e32 v46, 0x800000, v44
	v_cndmask_b32_e32 v45, 0, v45, vcc_lo
	v_cmp_eq_u32_e32 vcc_lo, 0, v102
	v_add_nc_u32_e32 v102, 0xffffff89, v102
	v_cndmask_b32_e64 v45, v45, 0x77, vcc_lo
	v_cndmask_b32_e32 v44, v46, v44, vcc_lo
	v_cndmask_b32_e64 v102, v102, 0xffffff8a, vcc_lo
	v_lshl_add_u32 v46, 0x100000, v45, -1
	v_lshrrev_b32_e32 v47, v45, v44
	v_lshlrev_b32_e64 v57, v45, 0x80000
	v_add_nc_u32_e32 v45, v45, v102
	v_and_b32_e32 v44, v46, v44
	v_bfe_u32 v56, v47, 20, 1
	v_cmp_eq_u32_e64 s13, v44, v57
	v_add_nc_u32_e32 v46, -1, v56
	v_cndmask_b32_e64 v44, 0, v46, s13
	v_lshrrev_b32_e32 v46, 23, v47
	s_mov_b32 s13, exec_lo
	v_add_nc_u32_e32 v44, v44, v47
	v_xor_b32_e32 v46, 1, v46
	v_and_b32_e32 v102, 0xfffff, v44
	v_add_nc_u32_e32 v44, v102, v47
                                        ; implicit-def: $vgpr102
	v_cmpx_ne_u32_e64 v45, v46
	s_xor_b32 s13, exec_lo, s13
; %bb.2544:                             ;   in Loop: Header=BB4_2077 Depth=2
	v_cmp_lt_u32_e32 vcc_lo, 0xffffff, v44
	v_sub_nc_u32_e32 v102, v45, v46
	v_cndmask_b32_e64 v45, 0, 1, vcc_lo
	v_add_co_ci_u32_e64 v102, null, 0, v102, vcc_lo
	v_lshrrev_b32_e32 v44, v45, v44
; %bb.2545:                             ;   in Loop: Header=BB4_2077 Depth=2
	s_andn2_saveexec_b32 s13, s13
; %bb.2546:                             ;   in Loop: Header=BB4_2077 Depth=2
	v_bfe_u32 v102, v44, 23, 1
; %bb.2547:                             ;   in Loop: Header=BB4_2077 Depth=2
	s_or_b32 exec_lo, exec_lo, s13
	v_lshrrev_b32_e32 v44, 20, v44
	v_cmp_gt_i32_e32 vcc_lo, 16, v102
	v_min_i32_e32 v45, 15, v102
	v_and_b32_sdwa v43, v43, v97 dst_sel:DWORD dst_unused:UNUSED_PAD src0_sel:BYTE_3 src1_sel:DWORD
	v_cndmask_b32_e32 v44, 7, v44, vcc_lo
	v_lshlrev_b32_e32 v45, 3, v45
	v_and_b32_e32 v46, 7, v44
	v_or_b32_e32 v102, v102, v44
	v_or3_b32 v43, v45, v43, v46
	v_cmp_ne_u32_e32 vcc_lo, 0, v102
	v_cndmask_b32_e32 v102, 0, v43, vcc_lo
.LBB4_2548:                             ;   in Loop: Header=BB4_2077 Depth=2
	s_or_b32 exec_lo, exec_lo, s29
.LBB4_2549:                             ;   in Loop: Header=BB4_2077 Depth=2
	s_or_b32 exec_lo, exec_lo, s28
	v_cmp_gt_i16_sdwa s28, v67, v96 src0_sel:BYTE_0 src1_sel:DWORD
	s_mov_b32 s13, 0
	s_and_saveexec_b32 s29, s28
	s_xor_b32 s28, exec_lo, s29
	s_cbranch_execz .LBB4_2707
; %bb.2550:                             ;   in Loop: Header=BB4_2077 Depth=2
	v_cmp_eq_u16_sdwa s40, v67, v97 src0_sel:BYTE_0 src1_sel:DWORD
	s_mov_b32 s13, -1
	s_and_saveexec_b32 s29, s40
; %bb.2551:                             ;   in Loop: Header=BB4_2077 Depth=2
	s_xor_b32 s13, exec_lo, -1
; %bb.2552:                             ;   in Loop: Header=BB4_2077 Depth=2
	s_or_b32 exec_lo, exec_lo, s29
	s_and_b32 s13, s13, exec_lo
	s_or_saveexec_b32 s28, s28
	v_mov_b32_e32 v43, 0x7f800001
	s_xor_b32 exec_lo, exec_lo, s28
	s_cbranch_execnz .LBB4_2708
.LBB4_2553:                             ;   in Loop: Header=BB4_2077 Depth=2
	s_or_b32 exec_lo, exec_lo, s28
	s_and_saveexec_b32 s28, s13
	s_cbranch_execz .LBB4_2555
.LBB4_2554:                             ;   in Loop: Header=BB4_2077 Depth=2
	v_and_b32_e32 v43, 7, v67
	v_lshrrev_b16 v45, 3, v67
	v_ffbh_u32_e32 v44, v43
	v_and_b32_e32 v45, 15, v45
	v_min_u32_e32 v44, 32, v44
	v_cmp_eq_u32_e32 vcc_lo, 0, v45
	v_subrev_nc_u32_e32 v46, 28, v44
	v_sub_nc_u32_e32 v44, 29, v44
	v_lshlrev_b32_e32 v46, v46, v67
	v_lshlrev_b32_e32 v67, 24, v67
	v_cndmask_b32_e32 v44, v45, v44, vcc_lo
	v_and_b32_e32 v46, 7, v46
	v_and_b32_e32 v67, 0x80000000, v67
	v_lshl_add_u32 v44, v44, 23, 0x3b800000
	v_cndmask_b32_e32 v43, v43, v46, vcc_lo
	v_lshlrev_b32_e32 v43, 20, v43
	v_or3_b32 v43, v67, v44, v43
.LBB4_2555:                             ;   in Loop: Header=BB4_2077 Depth=2
	s_or_b32 exec_lo, exec_lo, s28
	s_waitcnt vmcnt(3) lgkmcnt(3)
	v_cmp_gt_i16_sdwa s28, v119, v96 src0_sel:BYTE_0 src1_sel:DWORD
	s_mov_b32 s13, 0
	s_and_saveexec_b32 s29, s28
	s_xor_b32 s28, exec_lo, s29
	s_cbranch_execz .LBB4_2709
; %bb.2556:                             ;   in Loop: Header=BB4_2077 Depth=2
	v_cmp_eq_u16_sdwa s40, v119, v97 src0_sel:BYTE_0 src1_sel:DWORD
	s_mov_b32 s13, -1
	s_and_saveexec_b32 s29, s40
; %bb.2557:                             ;   in Loop: Header=BB4_2077 Depth=2
	s_xor_b32 s13, exec_lo, -1
; %bb.2558:                             ;   in Loop: Header=BB4_2077 Depth=2
	s_or_b32 exec_lo, exec_lo, s29
	s_and_b32 s13, s13, exec_lo
	s_or_saveexec_b32 s28, s28
	v_mov_b32_e32 v67, 0x7f800001
	s_xor_b32 exec_lo, exec_lo, s28
	s_cbranch_execnz .LBB4_2710
.LBB4_2559:                             ;   in Loop: Header=BB4_2077 Depth=2
	s_or_b32 exec_lo, exec_lo, s28
	s_and_saveexec_b32 s28, s13
	s_cbranch_execz .LBB4_2561
.LBB4_2560:                             ;   in Loop: Header=BB4_2077 Depth=2
	v_and_b32_e32 v67, 7, v119
	v_lshrrev_b16 v45, 3, v119
	v_ffbh_u32_e32 v44, v67
	v_and_b32_e32 v45, 15, v45
	v_min_u32_e32 v44, 32, v44
	v_cmp_eq_u32_e32 vcc_lo, 0, v45
	v_subrev_nc_u32_e32 v46, 28, v44
	v_sub_nc_u32_e32 v44, 29, v44
	v_lshlrev_b32_e32 v46, v46, v119
	v_lshlrev_b32_e32 v119, 24, v119
	v_cndmask_b32_e32 v44, v45, v44, vcc_lo
	v_and_b32_e32 v46, 7, v46
	v_and_b32_e32 v119, 0x80000000, v119
	v_lshl_add_u32 v44, v44, 23, 0x3b800000
	v_cndmask_b32_e32 v67, v67, v46, vcc_lo
	v_lshlrev_b32_e32 v67, 20, v67
	v_or3_b32 v67, v119, v44, v67
.LBB4_2561:                             ;   in Loop: Header=BB4_2077 Depth=2
	s_or_b32 exec_lo, exec_lo, s28
	v_add_f32_e32 v119, v43, v67
	v_and_b32_e32 v67, 0x7f800000, v119
	v_cmp_ne_u32_e32 vcc_lo, 0x7f800000, v67
	v_mov_b32_e32 v67, 0x80
	s_and_saveexec_b32 s28, vcc_lo
	s_cbranch_execz .LBB4_2569
; %bb.2562:                             ;   in Loop: Header=BB4_2077 Depth=2
	v_mov_b32_e32 v67, 0
	s_mov_b32 s29, exec_lo
	v_cmpx_ne_u32_e32 0, v119
	s_cbranch_execz .LBB4_2568
; %bb.2563:                             ;   in Loop: Header=BB4_2077 Depth=2
	v_bfe_u32 v67, v119, 23, 8
	v_and_b32_e32 v43, 0x7fffff, v119
	v_sub_nc_u32_e32 v44, 0x78, v67
	v_cmp_gt_u32_e32 vcc_lo, 0x79, v67
	v_or_b32_e32 v45, 0x800000, v43
	v_cndmask_b32_e32 v44, 0, v44, vcc_lo
	v_cmp_eq_u32_e32 vcc_lo, 0, v67
	v_add_nc_u32_e32 v67, 0xffffff89, v67
	v_cndmask_b32_e64 v44, v44, 0x77, vcc_lo
	v_cndmask_b32_e32 v43, v45, v43, vcc_lo
	v_cndmask_b32_e64 v67, v67, 0xffffff8a, vcc_lo
	v_lshl_add_u32 v45, 0x100000, v44, -1
	v_lshrrev_b32_e32 v46, v44, v43
	v_lshlrev_b32_e64 v56, v44, 0x80000
	v_add_nc_u32_e32 v44, v44, v67
	v_and_b32_e32 v43, v45, v43
	v_bfe_u32 v47, v46, 20, 1
	v_cmp_eq_u32_e64 s13, v43, v56
	v_add_nc_u32_e32 v45, -1, v47
	v_cndmask_b32_e64 v43, 0, v45, s13
	v_lshrrev_b32_e32 v45, 23, v46
	s_mov_b32 s13, exec_lo
	v_add_nc_u32_e32 v43, v43, v46
	v_xor_b32_e32 v45, 1, v45
	v_and_b32_e32 v67, 0xfffff, v43
	v_add_nc_u32_e32 v43, v67, v46
                                        ; implicit-def: $vgpr67
	v_cmpx_ne_u32_e64 v44, v45
	s_xor_b32 s13, exec_lo, s13
; %bb.2564:                             ;   in Loop: Header=BB4_2077 Depth=2
	v_cmp_lt_u32_e32 vcc_lo, 0xffffff, v43
	v_sub_nc_u32_e32 v67, v44, v45
	v_cndmask_b32_e64 v44, 0, 1, vcc_lo
	v_add_co_ci_u32_e64 v67, null, 0, v67, vcc_lo
	v_lshrrev_b32_e32 v43, v44, v43
; %bb.2565:                             ;   in Loop: Header=BB4_2077 Depth=2
	s_andn2_saveexec_b32 s13, s13
; %bb.2566:                             ;   in Loop: Header=BB4_2077 Depth=2
	v_bfe_u32 v67, v43, 23, 1
; %bb.2567:                             ;   in Loop: Header=BB4_2077 Depth=2
	s_or_b32 exec_lo, exec_lo, s13
	v_lshrrev_b32_e32 v43, 20, v43
	v_cmp_gt_i32_e32 vcc_lo, 16, v67
	v_min_i32_e32 v44, 15, v67
	v_and_b32_sdwa v119, v119, v97 dst_sel:DWORD dst_unused:UNUSED_PAD src0_sel:BYTE_3 src1_sel:DWORD
	v_cndmask_b32_e32 v43, 7, v43, vcc_lo
	v_lshlrev_b32_e32 v44, 3, v44
	v_and_b32_e32 v45, 7, v43
	v_or_b32_e32 v67, v67, v43
	v_or3_b32 v119, v44, v119, v45
	v_cmp_ne_u32_e32 vcc_lo, 0, v67
	v_cndmask_b32_e32 v67, 0, v119, vcc_lo
.LBB4_2568:                             ;   in Loop: Header=BB4_2077 Depth=2
	s_or_b32 exec_lo, exec_lo, s29
.LBB4_2569:                             ;   in Loop: Header=BB4_2077 Depth=2
	s_or_b32 exec_lo, exec_lo, s28
	v_cmp_gt_i16_sdwa s28, v52, v96 src0_sel:BYTE_0 src1_sel:DWORD
	s_mov_b32 s13, 0
	s_and_saveexec_b32 s29, s28
	s_xor_b32 s28, exec_lo, s29
	s_cbranch_execz .LBB4_2711
; %bb.2570:                             ;   in Loop: Header=BB4_2077 Depth=2
	v_cmp_eq_u16_sdwa s40, v52, v97 src0_sel:BYTE_0 src1_sel:DWORD
	s_mov_b32 s13, -1
	s_and_saveexec_b32 s29, s40
; %bb.2571:                             ;   in Loop: Header=BB4_2077 Depth=2
	s_xor_b32 s13, exec_lo, -1
; %bb.2572:                             ;   in Loop: Header=BB4_2077 Depth=2
	s_or_b32 exec_lo, exec_lo, s29
	s_and_b32 s13, s13, exec_lo
	s_or_saveexec_b32 s28, s28
	v_mov_b32_e32 v119, 0x7f800001
	s_xor_b32 exec_lo, exec_lo, s28
	s_cbranch_execnz .LBB4_2712
.LBB4_2573:                             ;   in Loop: Header=BB4_2077 Depth=2
	s_or_b32 exec_lo, exec_lo, s28
	s_and_saveexec_b32 s28, s13
	s_cbranch_execz .LBB4_2575
.LBB4_2574:                             ;   in Loop: Header=BB4_2077 Depth=2
	v_and_b32_e32 v119, 7, v52
	v_lshrrev_b16 v44, 3, v52
	v_ffbh_u32_e32 v43, v119
	v_and_b32_e32 v44, 15, v44
	v_min_u32_e32 v43, 32, v43
	v_cmp_eq_u32_e32 vcc_lo, 0, v44
	v_subrev_nc_u32_e32 v45, 28, v43
	v_sub_nc_u32_e32 v43, 29, v43
	v_lshlrev_b32_e32 v45, v45, v52
	v_lshlrev_b32_e32 v52, 24, v52
	v_cndmask_b32_e32 v43, v44, v43, vcc_lo
	v_and_b32_e32 v45, 7, v45
	v_and_b32_e32 v52, 0x80000000, v52
	v_lshl_add_u32 v43, v43, 23, 0x3b800000
	v_cndmask_b32_e32 v119, v119, v45, vcc_lo
	v_lshlrev_b32_e32 v119, 20, v119
	v_or3_b32 v119, v52, v43, v119
.LBB4_2575:                             ;   in Loop: Header=BB4_2077 Depth=2
	s_or_b32 exec_lo, exec_lo, s28
	s_waitcnt vmcnt(2) lgkmcnt(2)
	v_cmp_gt_i16_sdwa s28, v114, v96 src0_sel:BYTE_0 src1_sel:DWORD
	s_mov_b32 s13, 0
	s_and_saveexec_b32 s29, s28
	s_xor_b32 s28, exec_lo, s29
	s_cbranch_execz .LBB4_2713
; %bb.2576:                             ;   in Loop: Header=BB4_2077 Depth=2
	v_cmp_eq_u16_sdwa s40, v114, v97 src0_sel:BYTE_0 src1_sel:DWORD
	s_mov_b32 s13, -1
	s_and_saveexec_b32 s29, s40
; %bb.2577:                             ;   in Loop: Header=BB4_2077 Depth=2
	s_xor_b32 s13, exec_lo, -1
; %bb.2578:                             ;   in Loop: Header=BB4_2077 Depth=2
	s_or_b32 exec_lo, exec_lo, s29
	s_and_b32 s13, s13, exec_lo
	s_or_saveexec_b32 s28, s28
	v_mov_b32_e32 v52, 0x7f800001
	s_xor_b32 exec_lo, exec_lo, s28
	s_cbranch_execnz .LBB4_2714
.LBB4_2579:                             ;   in Loop: Header=BB4_2077 Depth=2
	s_or_b32 exec_lo, exec_lo, s28
	s_and_saveexec_b32 s28, s13
	s_cbranch_execz .LBB4_2581
.LBB4_2580:                             ;   in Loop: Header=BB4_2077 Depth=2
	v_and_b32_e32 v52, 7, v114
	v_lshrrev_b16 v44, 3, v114
	v_ffbh_u32_e32 v43, v52
	v_and_b32_e32 v44, 15, v44
	v_min_u32_e32 v43, 32, v43
	v_cmp_eq_u32_e32 vcc_lo, 0, v44
	v_subrev_nc_u32_e32 v45, 28, v43
	v_sub_nc_u32_e32 v43, 29, v43
	v_lshlrev_b32_e32 v45, v45, v114
	v_lshlrev_b32_e32 v114, 24, v114
	v_cndmask_b32_e32 v43, v44, v43, vcc_lo
	v_and_b32_e32 v45, 7, v45
	v_and_b32_e32 v114, 0x80000000, v114
	v_lshl_add_u32 v43, v43, 23, 0x3b800000
	v_cndmask_b32_e32 v52, v52, v45, vcc_lo
	v_lshlrev_b32_e32 v52, 20, v52
	v_or3_b32 v52, v114, v43, v52
.LBB4_2581:                             ;   in Loop: Header=BB4_2077 Depth=2
	s_or_b32 exec_lo, exec_lo, s28
	v_add_f32_e32 v114, v119, v52
	v_and_b32_e32 v52, 0x7f800000, v114
	v_cmp_ne_u32_e32 vcc_lo, 0x7f800000, v52
	v_mov_b32_e32 v52, 0x80
	s_and_saveexec_b32 s28, vcc_lo
	s_cbranch_execz .LBB4_2589
; %bb.2582:                             ;   in Loop: Header=BB4_2077 Depth=2
	v_mov_b32_e32 v52, 0
	s_mov_b32 s29, exec_lo
	v_cmpx_ne_u32_e32 0, v114
	s_cbranch_execz .LBB4_2588
; %bb.2583:                             ;   in Loop: Header=BB4_2077 Depth=2
	v_bfe_u32 v52, v114, 23, 8
	v_and_b32_e32 v119, 0x7fffff, v114
	v_sub_nc_u32_e32 v43, 0x78, v52
	v_cmp_gt_u32_e32 vcc_lo, 0x79, v52
	v_or_b32_e32 v44, 0x800000, v119
	v_cndmask_b32_e32 v43, 0, v43, vcc_lo
	v_cmp_eq_u32_e32 vcc_lo, 0, v52
	v_add_nc_u32_e32 v52, 0xffffff89, v52
	v_cndmask_b32_e64 v43, v43, 0x77, vcc_lo
	v_cndmask_b32_e32 v119, v44, v119, vcc_lo
	v_cndmask_b32_e64 v52, v52, 0xffffff8a, vcc_lo
	v_lshl_add_u32 v44, 0x100000, v43, -1
	v_lshrrev_b32_e32 v45, v43, v119
	v_lshlrev_b32_e64 v47, v43, 0x80000
	v_add_nc_u32_e32 v43, v43, v52
	v_and_b32_e32 v119, v44, v119
	v_bfe_u32 v46, v45, 20, 1
	v_cmp_eq_u32_e64 s13, v119, v47
	v_add_nc_u32_e32 v44, -1, v46
	v_cndmask_b32_e64 v119, 0, v44, s13
	v_lshrrev_b32_e32 v44, 23, v45
	s_mov_b32 s13, exec_lo
	v_add_nc_u32_e32 v119, v119, v45
	v_xor_b32_e32 v44, 1, v44
	v_and_b32_e32 v52, 0xfffff, v119
	v_add_nc_u32_e32 v119, v52, v45
                                        ; implicit-def: $vgpr52
	v_cmpx_ne_u32_e64 v43, v44
	s_xor_b32 s13, exec_lo, s13
; %bb.2584:                             ;   in Loop: Header=BB4_2077 Depth=2
	v_cmp_lt_u32_e32 vcc_lo, 0xffffff, v119
	v_sub_nc_u32_e32 v52, v43, v44
	v_cndmask_b32_e64 v43, 0, 1, vcc_lo
	v_add_co_ci_u32_e64 v52, null, 0, v52, vcc_lo
	v_lshrrev_b32_e32 v119, v43, v119
; %bb.2585:                             ;   in Loop: Header=BB4_2077 Depth=2
	s_andn2_saveexec_b32 s13, s13
; %bb.2586:                             ;   in Loop: Header=BB4_2077 Depth=2
	v_bfe_u32 v52, v119, 23, 1
; %bb.2587:                             ;   in Loop: Header=BB4_2077 Depth=2
	s_or_b32 exec_lo, exec_lo, s13
	v_lshrrev_b32_e32 v119, 20, v119
	v_cmp_gt_i32_e32 vcc_lo, 16, v52
	v_min_i32_e32 v43, 15, v52
	v_and_b32_sdwa v114, v114, v97 dst_sel:DWORD dst_unused:UNUSED_PAD src0_sel:BYTE_3 src1_sel:DWORD
	v_cndmask_b32_e32 v119, 7, v119, vcc_lo
	v_lshlrev_b32_e32 v43, 3, v43
	v_and_b32_e32 v44, 7, v119
	v_or_b32_e32 v52, v52, v119
	v_or3_b32 v114, v43, v114, v44
	v_cmp_ne_u32_e32 vcc_lo, 0, v52
	v_cndmask_b32_e32 v52, 0, v114, vcc_lo
.LBB4_2588:                             ;   in Loop: Header=BB4_2077 Depth=2
	s_or_b32 exec_lo, exec_lo, s29
.LBB4_2589:                             ;   in Loop: Header=BB4_2077 Depth=2
	s_or_b32 exec_lo, exec_lo, s28
	v_cmp_gt_i16_sdwa s28, v51, v96 src0_sel:BYTE_0 src1_sel:DWORD
	s_mov_b32 s13, 0
	s_and_saveexec_b32 s29, s28
	s_xor_b32 s28, exec_lo, s29
	s_cbranch_execz .LBB4_2715
; %bb.2590:                             ;   in Loop: Header=BB4_2077 Depth=2
	v_cmp_eq_u16_sdwa s40, v51, v97 src0_sel:BYTE_0 src1_sel:DWORD
	s_mov_b32 s13, -1
	s_and_saveexec_b32 s29, s40
; %bb.2591:                             ;   in Loop: Header=BB4_2077 Depth=2
	s_xor_b32 s13, exec_lo, -1
; %bb.2592:                             ;   in Loop: Header=BB4_2077 Depth=2
	s_or_b32 exec_lo, exec_lo, s29
	s_and_b32 s13, s13, exec_lo
	s_or_saveexec_b32 s28, s28
	v_mov_b32_e32 v114, 0x7f800001
	s_xor_b32 exec_lo, exec_lo, s28
	s_cbranch_execnz .LBB4_2716
.LBB4_2593:                             ;   in Loop: Header=BB4_2077 Depth=2
	s_or_b32 exec_lo, exec_lo, s28
	s_and_saveexec_b32 s28, s13
	s_cbranch_execz .LBB4_2595
.LBB4_2594:                             ;   in Loop: Header=BB4_2077 Depth=2
	v_and_b32_e32 v114, 7, v51
	v_lshrrev_b16 v43, 3, v51
	v_ffbh_u32_e32 v119, v114
	v_and_b32_e32 v43, 15, v43
	v_min_u32_e32 v119, 32, v119
	v_cmp_eq_u32_e32 vcc_lo, 0, v43
	v_subrev_nc_u32_e32 v44, 28, v119
	v_sub_nc_u32_e32 v119, 29, v119
	v_lshlrev_b32_e32 v44, v44, v51
	v_lshlrev_b32_e32 v51, 24, v51
	v_cndmask_b32_e32 v119, v43, v119, vcc_lo
	v_and_b32_e32 v44, 7, v44
	v_and_b32_e32 v51, 0x80000000, v51
	v_lshl_add_u32 v119, v119, 23, 0x3b800000
	v_cndmask_b32_e32 v114, v114, v44, vcc_lo
	v_lshlrev_b32_e32 v114, 20, v114
	v_or3_b32 v114, v51, v119, v114
.LBB4_2595:                             ;   in Loop: Header=BB4_2077 Depth=2
	s_or_b32 exec_lo, exec_lo, s28
	s_waitcnt vmcnt(1) lgkmcnt(1)
	v_cmp_gt_i16_sdwa s28, v53, v96 src0_sel:BYTE_0 src1_sel:DWORD
	s_mov_b32 s13, 0
	s_and_saveexec_b32 s29, s28
	s_xor_b32 s28, exec_lo, s29
	s_cbranch_execz .LBB4_2717
; %bb.2596:                             ;   in Loop: Header=BB4_2077 Depth=2
	v_cmp_eq_u16_sdwa s40, v53, v97 src0_sel:BYTE_0 src1_sel:DWORD
	s_mov_b32 s13, -1
	s_and_saveexec_b32 s29, s40
; %bb.2597:                             ;   in Loop: Header=BB4_2077 Depth=2
	s_xor_b32 s13, exec_lo, -1
; %bb.2598:                             ;   in Loop: Header=BB4_2077 Depth=2
	s_or_b32 exec_lo, exec_lo, s29
	s_and_b32 s13, s13, exec_lo
	s_or_saveexec_b32 s28, s28
	v_mov_b32_e32 v51, 0x7f800001
	s_xor_b32 exec_lo, exec_lo, s28
	s_cbranch_execnz .LBB4_2718
.LBB4_2599:                             ;   in Loop: Header=BB4_2077 Depth=2
	s_or_b32 exec_lo, exec_lo, s28
	s_and_saveexec_b32 s28, s13
	s_cbranch_execz .LBB4_2601
.LBB4_2600:                             ;   in Loop: Header=BB4_2077 Depth=2
	v_and_b32_e32 v51, 7, v53
	v_lshrrev_b16 v43, 3, v53
	v_ffbh_u32_e32 v119, v51
	v_and_b32_e32 v43, 15, v43
	v_min_u32_e32 v119, 32, v119
	v_cmp_eq_u32_e32 vcc_lo, 0, v43
	v_subrev_nc_u32_e32 v44, 28, v119
	v_sub_nc_u32_e32 v119, 29, v119
	v_lshlrev_b32_e32 v44, v44, v53
	v_lshlrev_b32_e32 v53, 24, v53
	v_cndmask_b32_e32 v119, v43, v119, vcc_lo
	v_and_b32_e32 v44, 7, v44
	v_and_b32_e32 v53, 0x80000000, v53
	v_lshl_add_u32 v119, v119, 23, 0x3b800000
	v_cndmask_b32_e32 v51, v51, v44, vcc_lo
	v_lshlrev_b32_e32 v51, 20, v51
	v_or3_b32 v51, v53, v119, v51
.LBB4_2601:                             ;   in Loop: Header=BB4_2077 Depth=2
	s_or_b32 exec_lo, exec_lo, s28
	v_add_f32_e32 v53, v114, v51
	v_and_b32_e32 v51, 0x7f800000, v53
	v_cmp_ne_u32_e32 vcc_lo, 0x7f800000, v51
	v_mov_b32_e32 v51, 0x80
	s_and_saveexec_b32 s28, vcc_lo
	s_cbranch_execz .LBB4_2609
; %bb.2602:                             ;   in Loop: Header=BB4_2077 Depth=2
	v_mov_b32_e32 v51, 0
	s_mov_b32 s29, exec_lo
	v_cmpx_ne_u32_e32 0, v53
	s_cbranch_execz .LBB4_2608
; %bb.2603:                             ;   in Loop: Header=BB4_2077 Depth=2
	v_bfe_u32 v51, v53, 23, 8
	v_and_b32_e32 v114, 0x7fffff, v53
	v_sub_nc_u32_e32 v119, 0x78, v51
	v_cmp_gt_u32_e32 vcc_lo, 0x79, v51
	v_or_b32_e32 v43, 0x800000, v114
	v_cndmask_b32_e32 v119, 0, v119, vcc_lo
	v_cmp_eq_u32_e32 vcc_lo, 0, v51
	v_add_nc_u32_e32 v51, 0xffffff89, v51
	v_cndmask_b32_e64 v119, v119, 0x77, vcc_lo
	v_cndmask_b32_e32 v114, v43, v114, vcc_lo
	v_cndmask_b32_e64 v51, v51, 0xffffff8a, vcc_lo
	v_lshl_add_u32 v43, 0x100000, v119, -1
	v_lshrrev_b32_e32 v44, v119, v114
	v_lshlrev_b32_e64 v46, v119, 0x80000
	v_add_nc_u32_e32 v119, v119, v51
	v_and_b32_e32 v114, v43, v114
	v_bfe_u32 v45, v44, 20, 1
	v_cmp_eq_u32_e64 s13, v114, v46
	v_add_nc_u32_e32 v43, -1, v45
	v_cndmask_b32_e64 v114, 0, v43, s13
	v_lshrrev_b32_e32 v43, 23, v44
	s_mov_b32 s13, exec_lo
	v_add_nc_u32_e32 v114, v114, v44
	v_xor_b32_e32 v43, 1, v43
	v_and_b32_e32 v51, 0xfffff, v114
	v_add_nc_u32_e32 v114, v51, v44
                                        ; implicit-def: $vgpr51
	v_cmpx_ne_u32_e64 v119, v43
	s_xor_b32 s13, exec_lo, s13
; %bb.2604:                             ;   in Loop: Header=BB4_2077 Depth=2
	v_cmp_lt_u32_e32 vcc_lo, 0xffffff, v114
	v_sub_nc_u32_e32 v51, v119, v43
	v_cndmask_b32_e64 v119, 0, 1, vcc_lo
	v_add_co_ci_u32_e64 v51, null, 0, v51, vcc_lo
	v_lshrrev_b32_e32 v114, v119, v114
; %bb.2605:                             ;   in Loop: Header=BB4_2077 Depth=2
	s_andn2_saveexec_b32 s13, s13
; %bb.2606:                             ;   in Loop: Header=BB4_2077 Depth=2
	v_bfe_u32 v51, v114, 23, 1
; %bb.2607:                             ;   in Loop: Header=BB4_2077 Depth=2
	s_or_b32 exec_lo, exec_lo, s13
	v_lshrrev_b32_e32 v114, 20, v114
	v_cmp_gt_i32_e32 vcc_lo, 16, v51
	v_min_i32_e32 v119, 15, v51
	v_and_b32_sdwa v53, v53, v97 dst_sel:DWORD dst_unused:UNUSED_PAD src0_sel:BYTE_3 src1_sel:DWORD
	v_cndmask_b32_e32 v114, 7, v114, vcc_lo
	v_lshlrev_b32_e32 v119, 3, v119
	v_and_b32_e32 v43, 7, v114
	v_or_b32_e32 v51, v51, v114
	v_or3_b32 v53, v119, v53, v43
	v_cmp_ne_u32_e32 vcc_lo, 0, v51
	v_cndmask_b32_e32 v51, 0, v53, vcc_lo
.LBB4_2608:                             ;   in Loop: Header=BB4_2077 Depth=2
	s_or_b32 exec_lo, exec_lo, s29
.LBB4_2609:                             ;   in Loop: Header=BB4_2077 Depth=2
	s_or_b32 exec_lo, exec_lo, s28
	v_cmp_gt_i16_sdwa s28, v17, v96 src0_sel:BYTE_0 src1_sel:DWORD
	s_mov_b32 s13, 0
	s_and_saveexec_b32 s29, s28
	s_xor_b32 s28, exec_lo, s29
	s_cbranch_execz .LBB4_2719
; %bb.2610:                             ;   in Loop: Header=BB4_2077 Depth=2
	v_cmp_eq_u16_sdwa s40, v17, v97 src0_sel:BYTE_0 src1_sel:DWORD
	s_mov_b32 s13, -1
	s_and_saveexec_b32 s29, s40
; %bb.2611:                             ;   in Loop: Header=BB4_2077 Depth=2
	s_xor_b32 s13, exec_lo, -1
; %bb.2612:                             ;   in Loop: Header=BB4_2077 Depth=2
	s_or_b32 exec_lo, exec_lo, s29
	s_and_b32 s13, s13, exec_lo
	s_or_saveexec_b32 s28, s28
	v_mov_b32_e32 v53, 0x7f800001
	s_xor_b32 exec_lo, exec_lo, s28
	s_cbranch_execnz .LBB4_2720
.LBB4_2613:                             ;   in Loop: Header=BB4_2077 Depth=2
	s_or_b32 exec_lo, exec_lo, s28
	s_and_saveexec_b32 s28, s13
	s_cbranch_execz .LBB4_2615
.LBB4_2614:                             ;   in Loop: Header=BB4_2077 Depth=2
	v_and_b32_e32 v53, 7, v17
	v_lshrrev_b16 v119, 3, v17
	v_ffbh_u32_e32 v114, v53
	v_and_b32_e32 v119, 15, v119
	v_min_u32_e32 v114, 32, v114
	v_cmp_eq_u32_e32 vcc_lo, 0, v119
	v_subrev_nc_u32_e32 v43, 28, v114
	v_sub_nc_u32_e32 v114, 29, v114
	v_lshlrev_b32_e32 v43, v43, v17
	v_lshlrev_b32_e32 v17, 24, v17
	v_cndmask_b32_e32 v114, v119, v114, vcc_lo
	v_and_b32_e32 v43, 7, v43
	v_and_b32_e32 v17, 0x80000000, v17
	v_lshl_add_u32 v114, v114, 23, 0x3b800000
	v_cndmask_b32_e32 v53, v53, v43, vcc_lo
	v_lshlrev_b32_e32 v53, 20, v53
	v_or3_b32 v53, v17, v114, v53
.LBB4_2615:                             ;   in Loop: Header=BB4_2077 Depth=2
	s_or_b32 exec_lo, exec_lo, s28
	s_waitcnt vmcnt(0) lgkmcnt(0)
	v_cmp_gt_i16_sdwa s28, v16, v96 src0_sel:BYTE_0 src1_sel:DWORD
	s_mov_b32 s13, 0
	s_and_saveexec_b32 s29, s28
	s_xor_b32 s28, exec_lo, s29
	s_cbranch_execz .LBB4_2721
; %bb.2616:                             ;   in Loop: Header=BB4_2077 Depth=2
	v_cmp_eq_u16_sdwa s40, v16, v97 src0_sel:BYTE_0 src1_sel:DWORD
	s_mov_b32 s13, -1
	s_and_saveexec_b32 s29, s40
; %bb.2617:                             ;   in Loop: Header=BB4_2077 Depth=2
	s_xor_b32 s13, exec_lo, -1
; %bb.2618:                             ;   in Loop: Header=BB4_2077 Depth=2
	s_or_b32 exec_lo, exec_lo, s29
	s_and_b32 s13, s13, exec_lo
	s_or_saveexec_b32 s28, s28
	v_mov_b32_e32 v17, 0x7f800001
	s_xor_b32 exec_lo, exec_lo, s28
	s_cbranch_execnz .LBB4_2722
.LBB4_2619:                             ;   in Loop: Header=BB4_2077 Depth=2
	s_or_b32 exec_lo, exec_lo, s28
	s_and_saveexec_b32 s28, s13
	s_cbranch_execz .LBB4_2621
.LBB4_2620:                             ;   in Loop: Header=BB4_2077 Depth=2
	v_and_b32_e32 v17, 7, v16
	v_lshrrev_b16 v119, 3, v16
	v_ffbh_u32_e32 v114, v17
	v_and_b32_e32 v119, 15, v119
	v_min_u32_e32 v114, 32, v114
	v_cmp_eq_u32_e32 vcc_lo, 0, v119
	v_subrev_nc_u32_e32 v43, 28, v114
	v_sub_nc_u32_e32 v114, 29, v114
	v_lshlrev_b32_e32 v43, v43, v16
	v_lshlrev_b32_e32 v16, 24, v16
	v_cndmask_b32_e32 v114, v119, v114, vcc_lo
	v_and_b32_e32 v43, 7, v43
	v_and_b32_e32 v16, 0x80000000, v16
	v_lshl_add_u32 v114, v114, 23, 0x3b800000
	v_cndmask_b32_e32 v17, v17, v43, vcc_lo
	v_lshlrev_b32_e32 v17, 20, v17
	v_or3_b32 v17, v16, v114, v17
.LBB4_2621:                             ;   in Loop: Header=BB4_2077 Depth=2
	s_or_b32 exec_lo, exec_lo, s28
	v_add_f32_e32 v17, v53, v17
	v_and_b32_e32 v16, 0x7f800000, v17
	v_cmp_ne_u32_e32 vcc_lo, 0x7f800000, v16
	v_mov_b32_e32 v16, 0x80
	s_and_saveexec_b32 s28, vcc_lo
	s_cbranch_execz .LBB4_2076
; %bb.2622:                             ;   in Loop: Header=BB4_2077 Depth=2
	v_mov_b32_e32 v16, 0
	s_mov_b32 s29, exec_lo
	v_cmpx_ne_u32_e32 0, v17
	s_cbranch_execz .LBB4_2075
; %bb.2623:                             ;   in Loop: Header=BB4_2077 Depth=2
	v_bfe_u32 v16, v17, 23, 8
	v_and_b32_e32 v53, 0x7fffff, v17
	v_sub_nc_u32_e32 v114, 0x78, v16
	v_cmp_gt_u32_e32 vcc_lo, 0x79, v16
	v_or_b32_e32 v119, 0x800000, v53
	v_cndmask_b32_e32 v114, 0, v114, vcc_lo
	v_cmp_eq_u32_e32 vcc_lo, 0, v16
	v_add_nc_u32_e32 v16, 0xffffff89, v16
	v_cndmask_b32_e64 v114, v114, 0x77, vcc_lo
	v_cndmask_b32_e32 v53, v119, v53, vcc_lo
	v_cndmask_b32_e64 v16, v16, 0xffffff8a, vcc_lo
	v_lshl_add_u32 v119, 0x100000, v114, -1
	v_lshrrev_b32_e32 v43, v114, v53
	v_lshlrev_b32_e64 v45, v114, 0x80000
	v_add_nc_u32_e32 v114, v114, v16
	v_and_b32_e32 v53, v119, v53
	v_bfe_u32 v44, v43, 20, 1
	v_cmp_eq_u32_e64 s13, v53, v45
	v_add_nc_u32_e32 v119, -1, v44
	v_cndmask_b32_e64 v53, 0, v119, s13
	v_lshrrev_b32_e32 v119, 23, v43
	s_mov_b32 s13, exec_lo
	v_add_nc_u32_e32 v53, v53, v43
	v_xor_b32_e32 v119, 1, v119
	v_and_b32_e32 v16, 0xfffff, v53
	v_add_nc_u32_e32 v53, v16, v43
                                        ; implicit-def: $vgpr16
	v_cmpx_ne_u32_e64 v114, v119
	s_xor_b32 s13, exec_lo, s13
; %bb.2624:                             ;   in Loop: Header=BB4_2077 Depth=2
	v_cmp_lt_u32_e32 vcc_lo, 0xffffff, v53
	v_sub_nc_u32_e32 v16, v114, v119
	v_cndmask_b32_e64 v114, 0, 1, vcc_lo
	v_add_co_ci_u32_e64 v16, null, 0, v16, vcc_lo
	v_lshrrev_b32_e32 v53, v114, v53
; %bb.2625:                             ;   in Loop: Header=BB4_2077 Depth=2
	s_andn2_saveexec_b32 s13, s13
	s_cbranch_execz .LBB4_2074
; %bb.2626:                             ;   in Loop: Header=BB4_2077 Depth=2
	v_bfe_u32 v16, v53, 23, 1
	s_branch .LBB4_2074
.LBB4_2627:                             ;   in Loop: Header=BB4_2077 Depth=2
	s_or_saveexec_b32 s28, s28
	v_mov_b32_e32 v50, 0x7f800001
	s_xor_b32 exec_lo, exec_lo, s28
	s_cbranch_execz .LBB4_2089
.LBB4_2628:                             ;   in Loop: Header=BB4_2077 Depth=2
	v_cmp_ne_u16_e32 vcc_lo, 0, v16
	v_mov_b32_e32 v50, 0
	s_andn2_b32 s13, s13, exec_lo
	s_and_b32 s29, vcc_lo, exec_lo
	s_or_b32 s13, s13, s29
	s_or_b32 exec_lo, exec_lo, s28
	s_and_saveexec_b32 s28, s13
	s_cbranch_execnz .LBB4_2090
	s_branch .LBB4_2091
.LBB4_2629:                             ;   in Loop: Header=BB4_2077 Depth=2
	s_or_saveexec_b32 s28, s28
	v_mov_b32_e32 v51, 0x7f800001
	s_xor_b32 exec_lo, exec_lo, s28
	s_cbranch_execz .LBB4_2103
.LBB4_2630:                             ;   in Loop: Header=BB4_2077 Depth=2
	v_cmp_ne_u16_e32 vcc_lo, 0, v16
	v_mov_b32_e32 v51, 0
	s_andn2_b32 s13, s13, exec_lo
	s_and_b32 s29, vcc_lo, exec_lo
	s_or_b32 s13, s13, s29
	s_or_b32 exec_lo, exec_lo, s28
	s_and_saveexec_b32 s28, s13
	s_cbranch_execnz .LBB4_2104
	s_branch .LBB4_2105
.LBB4_2631:                             ;   in Loop: Header=BB4_2077 Depth=2
	s_or_saveexec_b32 s28, s28
	v_mov_b32_e32 v51, 0x7f800001
	s_xor_b32 exec_lo, exec_lo, s28
	s_cbranch_execz .LBB4_2117
.LBB4_2632:                             ;   in Loop: Header=BB4_2077 Depth=2
	v_cmp_ne_u16_e32 vcc_lo, 0, v16
	v_mov_b32_e32 v51, 0
	s_andn2_b32 s13, s13, exec_lo
	s_and_b32 s29, vcc_lo, exec_lo
	s_or_b32 s13, s13, s29
	s_or_b32 exec_lo, exec_lo, s28
	s_and_saveexec_b32 s28, s13
	s_cbranch_execnz .LBB4_2118
	s_branch .LBB4_2119
.LBB4_2633:                             ;   in Loop: Header=BB4_2077 Depth=2
	s_or_saveexec_b32 s28, s28
	v_mov_b32_e32 v51, 0x7f800001
	s_xor_b32 exec_lo, exec_lo, s28
	s_cbranch_execz .LBB4_2131
.LBB4_2634:                             ;   in Loop: Header=BB4_2077 Depth=2
	v_cmp_ne_u16_e32 vcc_lo, 0, v16
	v_mov_b32_e32 v51, 0
	s_andn2_b32 s13, s13, exec_lo
	s_and_b32 s29, vcc_lo, exec_lo
	s_or_b32 s13, s13, s29
	s_or_b32 exec_lo, exec_lo, s28
	s_and_saveexec_b32 s28, s13
	s_cbranch_execnz .LBB4_2132
	s_branch .LBB4_2133
.LBB4_2635:                             ;   in Loop: Header=BB4_2077 Depth=2
	s_or_saveexec_b32 s28, s28
	v_mov_b32_e32 v51, 0x7f800001
	s_xor_b32 exec_lo, exec_lo, s28
	s_cbranch_execz .LBB4_2145
.LBB4_2636:                             ;   in Loop: Header=BB4_2077 Depth=2
	v_cmp_ne_u16_e32 vcc_lo, 0, v16
	v_mov_b32_e32 v51, 0
	s_andn2_b32 s13, s13, exec_lo
	s_and_b32 s29, vcc_lo, exec_lo
	s_or_b32 s13, s13, s29
	s_or_b32 exec_lo, exec_lo, s28
	s_and_saveexec_b32 s28, s13
	s_cbranch_execnz .LBB4_2146
	s_branch .LBB4_2147
.LBB4_2637:                             ;   in Loop: Header=BB4_2077 Depth=2
	s_or_saveexec_b32 s28, s28
	v_mov_b32_e32 v51, 0x7f800001
	s_xor_b32 exec_lo, exec_lo, s28
	s_cbranch_execz .LBB4_2159
.LBB4_2638:                             ;   in Loop: Header=BB4_2077 Depth=2
	v_cmp_ne_u16_e32 vcc_lo, 0, v16
	v_mov_b32_e32 v51, 0
	s_andn2_b32 s13, s13, exec_lo
	s_and_b32 s29, vcc_lo, exec_lo
	s_or_b32 s13, s13, s29
	s_or_b32 exec_lo, exec_lo, s28
	s_and_saveexec_b32 s28, s13
	s_cbranch_execnz .LBB4_2160
	s_branch .LBB4_2161
.LBB4_2639:                             ;   in Loop: Header=BB4_2077 Depth=2
	s_or_saveexec_b32 s28, s28
	v_mov_b32_e32 v51, 0x7f800001
	s_xor_b32 exec_lo, exec_lo, s28
	s_cbranch_execz .LBB4_2173
.LBB4_2640:                             ;   in Loop: Header=BB4_2077 Depth=2
	v_cmp_ne_u16_e32 vcc_lo, 0, v16
	v_mov_b32_e32 v51, 0
	s_andn2_b32 s13, s13, exec_lo
	s_and_b32 s29, vcc_lo, exec_lo
	s_or_b32 s13, s13, s29
	s_or_b32 exec_lo, exec_lo, s28
	s_and_saveexec_b32 s28, s13
	s_cbranch_execnz .LBB4_2174
	s_branch .LBB4_2175
.LBB4_2641:                             ;   in Loop: Header=BB4_2077 Depth=2
	s_or_saveexec_b32 s28, s28
	v_mov_b32_e32 v51, 0x7f800001
	s_xor_b32 exec_lo, exec_lo, s28
	s_cbranch_execz .LBB4_2187
.LBB4_2642:                             ;   in Loop: Header=BB4_2077 Depth=2
	v_cmp_ne_u16_e32 vcc_lo, 0, v16
	v_mov_b32_e32 v51, 0
	s_andn2_b32 s13, s13, exec_lo
	s_and_b32 s29, vcc_lo, exec_lo
	s_or_b32 s13, s13, s29
	s_or_b32 exec_lo, exec_lo, s28
	s_and_saveexec_b32 s28, s13
	s_cbranch_execnz .LBB4_2188
	s_branch .LBB4_2189
.LBB4_2643:                             ;   in Loop: Header=BB4_2077 Depth=2
	s_or_saveexec_b32 s28, s28
	v_mov_b32_e32 v51, 0x7f800001
	s_xor_b32 exec_lo, exec_lo, s28
	s_cbranch_execz .LBB4_2201
.LBB4_2644:                             ;   in Loop: Header=BB4_2077 Depth=2
	v_cmp_ne_u16_e32 vcc_lo, 0, v16
	v_mov_b32_e32 v51, 0
	s_andn2_b32 s13, s13, exec_lo
	s_and_b32 s29, vcc_lo, exec_lo
	s_or_b32 s13, s13, s29
	s_or_b32 exec_lo, exec_lo, s28
	s_and_saveexec_b32 s28, s13
	s_cbranch_execnz .LBB4_2202
	s_branch .LBB4_2203
.LBB4_2645:                             ;   in Loop: Header=BB4_2077 Depth=2
	s_or_saveexec_b32 s28, s28
	v_mov_b32_e32 v51, 0x7f800001
	s_xor_b32 exec_lo, exec_lo, s28
	s_cbranch_execz .LBB4_2215
.LBB4_2646:                             ;   in Loop: Header=BB4_2077 Depth=2
	v_cmp_ne_u16_e32 vcc_lo, 0, v16
	v_mov_b32_e32 v51, 0
	s_andn2_b32 s13, s13, exec_lo
	s_and_b32 s29, vcc_lo, exec_lo
	s_or_b32 s13, s13, s29
	s_or_b32 exec_lo, exec_lo, s28
	s_and_saveexec_b32 s28, s13
	s_cbranch_execnz .LBB4_2216
	s_branch .LBB4_2217
.LBB4_2647:                             ;   in Loop: Header=BB4_2077 Depth=2
	s_or_saveexec_b32 s28, s28
	v_mov_b32_e32 v51, 0x7f800001
	s_xor_b32 exec_lo, exec_lo, s28
	s_cbranch_execz .LBB4_2229
.LBB4_2648:                             ;   in Loop: Header=BB4_2077 Depth=2
	v_cmp_ne_u16_e32 vcc_lo, 0, v16
	v_mov_b32_e32 v51, 0
	s_andn2_b32 s13, s13, exec_lo
	s_and_b32 s29, vcc_lo, exec_lo
	s_or_b32 s13, s13, s29
	s_or_b32 exec_lo, exec_lo, s28
	s_and_saveexec_b32 s28, s13
	s_cbranch_execnz .LBB4_2230
	s_branch .LBB4_2231
.LBB4_2649:                             ;   in Loop: Header=BB4_2077 Depth=2
	s_or_saveexec_b32 s28, s28
	v_mov_b32_e32 v51, 0x7f800001
	s_xor_b32 exec_lo, exec_lo, s28
	s_cbranch_execz .LBB4_2243
.LBB4_2650:                             ;   in Loop: Header=BB4_2077 Depth=2
	v_cmp_ne_u16_e32 vcc_lo, 0, v16
	v_mov_b32_e32 v51, 0
	s_andn2_b32 s13, s13, exec_lo
	s_and_b32 s29, vcc_lo, exec_lo
	s_or_b32 s13, s13, s29
	s_or_b32 exec_lo, exec_lo, s28
	s_and_saveexec_b32 s28, s13
	s_cbranch_execnz .LBB4_2244
	s_branch .LBB4_2245
.LBB4_2651:                             ;   in Loop: Header=BB4_2077 Depth=2
	s_or_saveexec_b32 s28, s28
	v_mov_b32_e32 v51, 0x7f800001
	s_xor_b32 exec_lo, exec_lo, s28
	s_cbranch_execz .LBB4_2257
.LBB4_2652:                             ;   in Loop: Header=BB4_2077 Depth=2
	v_cmp_ne_u16_e32 vcc_lo, 0, v16
	v_mov_b32_e32 v51, 0
	s_andn2_b32 s13, s13, exec_lo
	s_and_b32 s29, vcc_lo, exec_lo
	s_or_b32 s13, s13, s29
	s_or_b32 exec_lo, exec_lo, s28
	s_and_saveexec_b32 s28, s13
	s_cbranch_execnz .LBB4_2258
	s_branch .LBB4_2259
.LBB4_2653:                             ;   in Loop: Header=BB4_2077 Depth=2
	s_or_saveexec_b32 s28, s28
	v_mov_b32_e32 v51, 0x7f800001
	s_xor_b32 exec_lo, exec_lo, s28
	s_cbranch_execz .LBB4_2271
.LBB4_2654:                             ;   in Loop: Header=BB4_2077 Depth=2
	v_cmp_ne_u16_e32 vcc_lo, 0, v16
	v_mov_b32_e32 v51, 0
	s_andn2_b32 s13, s13, exec_lo
	s_and_b32 s29, vcc_lo, exec_lo
	s_or_b32 s13, s13, s29
	s_or_b32 exec_lo, exec_lo, s28
	s_and_saveexec_b32 s28, s13
	s_cbranch_execnz .LBB4_2272
	s_branch .LBB4_2273
.LBB4_2655:                             ;   in Loop: Header=BB4_2077 Depth=2
	s_or_saveexec_b32 s28, s28
	v_mov_b32_e32 v51, 0x7f800001
	s_xor_b32 exec_lo, exec_lo, s28
	s_cbranch_execz .LBB4_2285
.LBB4_2656:                             ;   in Loop: Header=BB4_2077 Depth=2
	v_cmp_ne_u16_e32 vcc_lo, 0, v16
	v_mov_b32_e32 v51, 0
	s_andn2_b32 s13, s13, exec_lo
	s_and_b32 s29, vcc_lo, exec_lo
	s_or_b32 s13, s13, s29
	s_or_b32 exec_lo, exec_lo, s28
	s_and_saveexec_b32 s28, s13
	s_cbranch_execnz .LBB4_2286
	s_branch .LBB4_2287
.LBB4_2657:                             ;   in Loop: Header=BB4_2077 Depth=2
	s_or_saveexec_b32 s28, s28
	v_mov_b32_e32 v53, 0x7f800001
	s_xor_b32 exec_lo, exec_lo, s28
	s_cbranch_execz .LBB4_2299
.LBB4_2658:                             ;   in Loop: Header=BB4_2077 Depth=2
	v_cmp_ne_u16_e32 vcc_lo, 0, v16
	v_mov_b32_e32 v53, 0
	s_andn2_b32 s13, s13, exec_lo
	s_and_b32 s29, vcc_lo, exec_lo
	s_or_b32 s13, s13, s29
	s_or_b32 exec_lo, exec_lo, s28
	s_and_saveexec_b32 s28, s13
	s_cbranch_execnz .LBB4_2300
	s_branch .LBB4_2301
.LBB4_2659:                             ;   in Loop: Header=BB4_2077 Depth=2
	s_or_saveexec_b32 s28, s28
	v_mov_b32_e32 v63, 0x7f800001
	s_xor_b32 exec_lo, exec_lo, s28
	s_cbranch_execz .LBB4_2313
.LBB4_2660:                             ;   in Loop: Header=BB4_2077 Depth=2
	v_cmp_ne_u16_sdwa s29, v50, v36 src0_sel:BYTE_0 src1_sel:DWORD
	v_mov_b32_e32 v63, 0
	s_andn2_b32 s13, s13, exec_lo
	s_and_b32 s29, s29, exec_lo
	s_or_b32 s13, s13, s29
	s_or_b32 exec_lo, exec_lo, s28
	s_and_saveexec_b32 s28, s13
	s_cbranch_execnz .LBB4_2314
	s_branch .LBB4_2315
.LBB4_2661:                             ;   in Loop: Header=BB4_2077 Depth=2
	s_or_saveexec_b32 s28, s28
	v_mov_b32_e32 v50, 0x7f800001
	s_xor_b32 exec_lo, exec_lo, s28
	s_cbranch_execz .LBB4_2319
.LBB4_2662:                             ;   in Loop: Header=BB4_2077 Depth=2
	v_cmp_ne_u16_sdwa s29, v62, v36 src0_sel:BYTE_0 src1_sel:DWORD
	v_mov_b32_e32 v50, 0
	s_andn2_b32 s13, s13, exec_lo
	s_and_b32 s29, s29, exec_lo
	s_or_b32 s13, s13, s29
	s_or_b32 exec_lo, exec_lo, s28
	s_and_saveexec_b32 s28, s13
	s_cbranch_execnz .LBB4_2320
	s_branch .LBB4_2321
.LBB4_2663:                             ;   in Loop: Header=BB4_2077 Depth=2
	s_or_saveexec_b32 s28, s28
	v_mov_b32_e32 v62, 0x7f800001
	s_xor_b32 exec_lo, exec_lo, s28
	s_cbranch_execz .LBB4_2333
.LBB4_2664:                             ;   in Loop: Header=BB4_2077 Depth=2
	v_cmp_ne_u16_sdwa s29, v103, v36 src0_sel:BYTE_0 src1_sel:DWORD
	v_mov_b32_e32 v62, 0
	s_andn2_b32 s13, s13, exec_lo
	s_and_b32 s29, s29, exec_lo
	s_or_b32 s13, s13, s29
	s_or_b32 exec_lo, exec_lo, s28
	s_and_saveexec_b32 s28, s13
	s_cbranch_execnz .LBB4_2334
	s_branch .LBB4_2335
.LBB4_2665:                             ;   in Loop: Header=BB4_2077 Depth=2
	s_or_saveexec_b32 s28, s28
	v_mov_b32_e32 v103, 0x7f800001
	s_xor_b32 exec_lo, exec_lo, s28
	s_cbranch_execz .LBB4_2339
.LBB4_2666:                             ;   in Loop: Header=BB4_2077 Depth=2
	v_cmp_ne_u16_sdwa s29, v61, v36 src0_sel:BYTE_0 src1_sel:DWORD
	v_mov_b32_e32 v103, 0
	s_andn2_b32 s13, s13, exec_lo
	s_and_b32 s29, s29, exec_lo
	s_or_b32 s13, s13, s29
	s_or_b32 exec_lo, exec_lo, s28
	s_and_saveexec_b32 s28, s13
	s_cbranch_execnz .LBB4_2340
	s_branch .LBB4_2341
.LBB4_2667:                             ;   in Loop: Header=BB4_2077 Depth=2
	s_or_saveexec_b32 s28, s28
	v_mov_b32_e32 v61, 0x7f800001
	s_xor_b32 exec_lo, exec_lo, s28
	s_cbranch_execz .LBB4_2353
.LBB4_2668:                             ;   in Loop: Header=BB4_2077 Depth=2
	v_cmp_ne_u16_sdwa s29, v116, v36 src0_sel:BYTE_0 src1_sel:DWORD
	v_mov_b32_e32 v61, 0
	s_andn2_b32 s13, s13, exec_lo
	s_and_b32 s29, s29, exec_lo
	s_or_b32 s13, s13, s29
	s_or_b32 exec_lo, exec_lo, s28
	s_and_saveexec_b32 s28, s13
	s_cbranch_execnz .LBB4_2354
	s_branch .LBB4_2355
.LBB4_2669:                             ;   in Loop: Header=BB4_2077 Depth=2
	s_or_saveexec_b32 s28, s28
	v_mov_b32_e32 v116, 0x7f800001
	s_xor_b32 exec_lo, exec_lo, s28
	s_cbranch_execz .LBB4_2359
.LBB4_2670:                             ;   in Loop: Header=BB4_2077 Depth=2
	v_cmp_ne_u16_sdwa s29, v60, v36 src0_sel:BYTE_0 src1_sel:DWORD
	v_mov_b32_e32 v116, 0
	s_andn2_b32 s13, s13, exec_lo
	s_and_b32 s29, s29, exec_lo
	s_or_b32 s13, s13, s29
	s_or_b32 exec_lo, exec_lo, s28
	s_and_saveexec_b32 s28, s13
	s_cbranch_execnz .LBB4_2360
	s_branch .LBB4_2361
.LBB4_2671:                             ;   in Loop: Header=BB4_2077 Depth=2
	s_or_saveexec_b32 s28, s28
	v_mov_b32_e32 v60, 0x7f800001
	s_xor_b32 exec_lo, exec_lo, s28
	s_cbranch_execz .LBB4_2373
.LBB4_2672:                             ;   in Loop: Header=BB4_2077 Depth=2
	v_cmp_ne_u16_sdwa s29, v41, v36 src0_sel:BYTE_0 src1_sel:DWORD
	v_mov_b32_e32 v60, 0
	s_andn2_b32 s13, s13, exec_lo
	s_and_b32 s29, s29, exec_lo
	s_or_b32 s13, s13, s29
	s_or_b32 exec_lo, exec_lo, s28
	s_and_saveexec_b32 s28, s13
	s_cbranch_execnz .LBB4_2374
	s_branch .LBB4_2375
.LBB4_2673:                             ;   in Loop: Header=BB4_2077 Depth=2
	s_or_saveexec_b32 s28, s28
	v_mov_b32_e32 v41, 0x7f800001
	s_xor_b32 exec_lo, exec_lo, s28
	s_cbranch_execz .LBB4_2379
.LBB4_2674:                             ;   in Loop: Header=BB4_2077 Depth=2
	v_cmp_ne_u16_sdwa s29, v59, v36 src0_sel:BYTE_0 src1_sel:DWORD
	v_mov_b32_e32 v41, 0
	s_andn2_b32 s13, s13, exec_lo
	s_and_b32 s29, s29, exec_lo
	s_or_b32 s13, s13, s29
	s_or_b32 exec_lo, exec_lo, s28
	s_and_saveexec_b32 s28, s13
	s_cbranch_execnz .LBB4_2380
	s_branch .LBB4_2381
.LBB4_2675:                             ;   in Loop: Header=BB4_2077 Depth=2
	s_or_saveexec_b32 s28, s28
	v_mov_b32_e32 v59, 0x7f800001
	s_xor_b32 exec_lo, exec_lo, s28
	s_cbranch_execz .LBB4_2393
.LBB4_2676:                             ;   in Loop: Header=BB4_2077 Depth=2
	v_cmp_ne_u16_sdwa s29, v42, v36 src0_sel:BYTE_0 src1_sel:DWORD
	v_mov_b32_e32 v59, 0
	s_andn2_b32 s13, s13, exec_lo
	s_and_b32 s29, s29, exec_lo
	s_or_b32 s13, s13, s29
	s_or_b32 exec_lo, exec_lo, s28
	s_and_saveexec_b32 s28, s13
	s_cbranch_execnz .LBB4_2394
	s_branch .LBB4_2395
.LBB4_2677:                             ;   in Loop: Header=BB4_2077 Depth=2
	s_or_saveexec_b32 s28, s28
	v_mov_b32_e32 v42, 0x7f800001
	s_xor_b32 exec_lo, exec_lo, s28
	s_cbranch_execz .LBB4_2399
.LBB4_2678:                             ;   in Loop: Header=BB4_2077 Depth=2
	v_cmp_ne_u16_sdwa s29, v58, v36 src0_sel:BYTE_0 src1_sel:DWORD
	v_mov_b32_e32 v42, 0
	s_andn2_b32 s13, s13, exec_lo
	s_and_b32 s29, s29, exec_lo
	s_or_b32 s13, s13, s29
	s_or_b32 exec_lo, exec_lo, s28
	s_and_saveexec_b32 s28, s13
	s_cbranch_execnz .LBB4_2400
	s_branch .LBB4_2401
.LBB4_2679:                             ;   in Loop: Header=BB4_2077 Depth=2
	s_or_saveexec_b32 s28, s28
	v_mov_b32_e32 v58, 0x7f800001
	s_xor_b32 exec_lo, exec_lo, s28
	s_cbranch_execz .LBB4_2413
.LBB4_2680:                             ;   in Loop: Header=BB4_2077 Depth=2
	v_cmp_ne_u16_sdwa s29, v40, v36 src0_sel:BYTE_0 src1_sel:DWORD
	v_mov_b32_e32 v58, 0
	s_andn2_b32 s13, s13, exec_lo
	s_and_b32 s29, s29, exec_lo
	s_or_b32 s13, s13, s29
	s_or_b32 exec_lo, exec_lo, s28
	s_and_saveexec_b32 s28, s13
	s_cbranch_execnz .LBB4_2414
	s_branch .LBB4_2415
.LBB4_2681:                             ;   in Loop: Header=BB4_2077 Depth=2
	s_or_saveexec_b32 s28, s28
	v_mov_b32_e32 v40, 0x7f800001
	s_xor_b32 exec_lo, exec_lo, s28
	s_cbranch_execz .LBB4_2419
.LBB4_2682:                             ;   in Loop: Header=BB4_2077 Depth=2
	v_cmp_ne_u16_sdwa s29, v57, v36 src0_sel:BYTE_0 src1_sel:DWORD
	v_mov_b32_e32 v40, 0
	s_andn2_b32 s13, s13, exec_lo
	s_and_b32 s29, s29, exec_lo
	s_or_b32 s13, s13, s29
	s_or_b32 exec_lo, exec_lo, s28
	s_and_saveexec_b32 s28, s13
	s_cbranch_execnz .LBB4_2420
	s_branch .LBB4_2421
.LBB4_2683:                             ;   in Loop: Header=BB4_2077 Depth=2
	s_or_saveexec_b32 s28, s28
	v_mov_b32_e32 v57, 0x7f800001
	s_xor_b32 exec_lo, exec_lo, s28
	s_cbranch_execz .LBB4_2433
.LBB4_2684:                             ;   in Loop: Header=BB4_2077 Depth=2
	v_cmp_ne_u16_sdwa s29, v118, v36 src0_sel:BYTE_0 src1_sel:DWORD
	v_mov_b32_e32 v57, 0
	s_andn2_b32 s13, s13, exec_lo
	s_and_b32 s29, s29, exec_lo
	s_or_b32 s13, s13, s29
	s_or_b32 exec_lo, exec_lo, s28
	s_and_saveexec_b32 s28, s13
	s_cbranch_execnz .LBB4_2434
	s_branch .LBB4_2435
.LBB4_2685:                             ;   in Loop: Header=BB4_2077 Depth=2
	s_or_saveexec_b32 s28, s28
	v_mov_b32_e32 v118, 0x7f800001
	s_xor_b32 exec_lo, exec_lo, s28
	s_cbranch_execz .LBB4_2439
.LBB4_2686:                             ;   in Loop: Header=BB4_2077 Depth=2
	v_cmp_ne_u16_sdwa s29, v56, v36 src0_sel:BYTE_0 src1_sel:DWORD
	v_mov_b32_e32 v118, 0
	s_andn2_b32 s13, s13, exec_lo
	s_and_b32 s29, s29, exec_lo
	s_or_b32 s13, s13, s29
	s_or_b32 exec_lo, exec_lo, s28
	s_and_saveexec_b32 s28, s13
	s_cbranch_execnz .LBB4_2440
	s_branch .LBB4_2441
.LBB4_2687:                             ;   in Loop: Header=BB4_2077 Depth=2
	s_or_saveexec_b32 s28, s28
	v_mov_b32_e32 v56, 0x7f800001
	s_xor_b32 exec_lo, exec_lo, s28
	s_cbranch_execz .LBB4_2453
.LBB4_2688:                             ;   in Loop: Header=BB4_2077 Depth=2
	v_cmp_ne_u16_sdwa s29, v117, v36 src0_sel:BYTE_0 src1_sel:DWORD
	v_mov_b32_e32 v56, 0
	s_andn2_b32 s13, s13, exec_lo
	s_and_b32 s29, s29, exec_lo
	s_or_b32 s13, s13, s29
	s_or_b32 exec_lo, exec_lo, s28
	s_and_saveexec_b32 s28, s13
	s_cbranch_execnz .LBB4_2454
	s_branch .LBB4_2455
.LBB4_2689:                             ;   in Loop: Header=BB4_2077 Depth=2
	s_or_saveexec_b32 s28, s28
	v_mov_b32_e32 v117, 0x7f800001
	s_xor_b32 exec_lo, exec_lo, s28
	s_cbranch_execz .LBB4_2459
.LBB4_2690:                             ;   in Loop: Header=BB4_2077 Depth=2
	v_cmp_ne_u16_sdwa s29, v47, v36 src0_sel:BYTE_0 src1_sel:DWORD
	v_mov_b32_e32 v117, 0
	s_andn2_b32 s13, s13, exec_lo
	s_and_b32 s29, s29, exec_lo
	s_or_b32 s13, s13, s29
	s_or_b32 exec_lo, exec_lo, s28
	s_and_saveexec_b32 s28, s13
	s_cbranch_execnz .LBB4_2460
	s_branch .LBB4_2461
.LBB4_2691:                             ;   in Loop: Header=BB4_2077 Depth=2
	s_or_saveexec_b32 s28, s28
	v_mov_b32_e32 v47, 0x7f800001
	s_xor_b32 exec_lo, exec_lo, s28
	s_cbranch_execz .LBB4_2473
.LBB4_2692:                             ;   in Loop: Header=BB4_2077 Depth=2
	v_cmp_ne_u16_sdwa s29, v115, v36 src0_sel:BYTE_0 src1_sel:DWORD
	v_mov_b32_e32 v47, 0
	s_andn2_b32 s13, s13, exec_lo
	s_and_b32 s29, s29, exec_lo
	s_or_b32 s13, s13, s29
	s_or_b32 exec_lo, exec_lo, s28
	s_and_saveexec_b32 s28, s13
	s_cbranch_execnz .LBB4_2474
	s_branch .LBB4_2475
.LBB4_2693:                             ;   in Loop: Header=BB4_2077 Depth=2
	s_or_saveexec_b32 s28, s28
	v_mov_b32_e32 v115, 0x7f800001
	s_xor_b32 exec_lo, exec_lo, s28
	s_cbranch_execz .LBB4_2479
.LBB4_2694:                             ;   in Loop: Header=BB4_2077 Depth=2
	v_cmp_ne_u16_sdwa s29, v46, v36 src0_sel:BYTE_0 src1_sel:DWORD
	v_mov_b32_e32 v115, 0
	s_andn2_b32 s13, s13, exec_lo
	s_and_b32 s29, s29, exec_lo
	s_or_b32 s13, s13, s29
	s_or_b32 exec_lo, exec_lo, s28
	s_and_saveexec_b32 s28, s13
	s_cbranch_execnz .LBB4_2480
	s_branch .LBB4_2481
.LBB4_2695:                             ;   in Loop: Header=BB4_2077 Depth=2
	s_or_saveexec_b32 s28, s28
	v_mov_b32_e32 v46, 0x7f800001
	s_xor_b32 exec_lo, exec_lo, s28
	s_cbranch_execz .LBB4_2493
.LBB4_2696:                             ;   in Loop: Header=BB4_2077 Depth=2
	v_cmp_ne_u16_sdwa s29, v113, v36 src0_sel:BYTE_0 src1_sel:DWORD
	v_mov_b32_e32 v46, 0
	s_andn2_b32 s13, s13, exec_lo
	s_and_b32 s29, s29, exec_lo
	s_or_b32 s13, s13, s29
	s_or_b32 exec_lo, exec_lo, s28
	s_and_saveexec_b32 s28, s13
	s_cbranch_execnz .LBB4_2494
	s_branch .LBB4_2495
.LBB4_2697:                             ;   in Loop: Header=BB4_2077 Depth=2
	s_or_saveexec_b32 s28, s28
	v_mov_b32_e32 v113, 0x7f800001
	s_xor_b32 exec_lo, exec_lo, s28
	s_cbranch_execz .LBB4_2499
.LBB4_2698:                             ;   in Loop: Header=BB4_2077 Depth=2
	v_cmp_ne_u16_sdwa s29, v45, v36 src0_sel:BYTE_0 src1_sel:DWORD
	v_mov_b32_e32 v113, 0
	s_andn2_b32 s13, s13, exec_lo
	s_and_b32 s29, s29, exec_lo
	s_or_b32 s13, s13, s29
	s_or_b32 exec_lo, exec_lo, s28
	s_and_saveexec_b32 s28, s13
	s_cbranch_execnz .LBB4_2500
	s_branch .LBB4_2501
.LBB4_2699:                             ;   in Loop: Header=BB4_2077 Depth=2
	s_or_saveexec_b32 s28, s28
	v_mov_b32_e32 v45, 0x7f800001
	s_xor_b32 exec_lo, exec_lo, s28
	s_cbranch_execz .LBB4_2513
.LBB4_2700:                             ;   in Loop: Header=BB4_2077 Depth=2
	v_cmp_ne_u16_sdwa s29, v112, v36 src0_sel:BYTE_0 src1_sel:DWORD
	v_mov_b32_e32 v45, 0
	s_andn2_b32 s13, s13, exec_lo
	s_and_b32 s29, s29, exec_lo
	s_or_b32 s13, s13, s29
	s_or_b32 exec_lo, exec_lo, s28
	s_and_saveexec_b32 s28, s13
	s_cbranch_execnz .LBB4_2514
	s_branch .LBB4_2515
.LBB4_2701:                             ;   in Loop: Header=BB4_2077 Depth=2
	s_or_saveexec_b32 s28, s28
	v_mov_b32_e32 v112, 0x7f800001
	s_xor_b32 exec_lo, exec_lo, s28
	s_cbranch_execz .LBB4_2519
.LBB4_2702:                             ;   in Loop: Header=BB4_2077 Depth=2
	v_cmp_ne_u16_sdwa s29, v44, v36 src0_sel:BYTE_0 src1_sel:DWORD
	v_mov_b32_e32 v112, 0
	s_andn2_b32 s13, s13, exec_lo
	s_and_b32 s29, s29, exec_lo
	s_or_b32 s13, s13, s29
	s_or_b32 exec_lo, exec_lo, s28
	s_and_saveexec_b32 s28, s13
	s_cbranch_execnz .LBB4_2520
	s_branch .LBB4_2521
.LBB4_2703:                             ;   in Loop: Header=BB4_2077 Depth=2
	s_or_saveexec_b32 s28, s28
	v_mov_b32_e32 v44, 0x7f800001
	s_xor_b32 exec_lo, exec_lo, s28
	s_cbranch_execz .LBB4_2533
.LBB4_2704:                             ;   in Loop: Header=BB4_2077 Depth=2
	v_cmp_ne_u16_sdwa s29, v102, v36 src0_sel:BYTE_0 src1_sel:DWORD
	v_mov_b32_e32 v44, 0
	s_andn2_b32 s13, s13, exec_lo
	s_and_b32 s29, s29, exec_lo
	s_or_b32 s13, s13, s29
	s_or_b32 exec_lo, exec_lo, s28
	s_and_saveexec_b32 s28, s13
	s_cbranch_execnz .LBB4_2534
	s_branch .LBB4_2535
.LBB4_2705:                             ;   in Loop: Header=BB4_2077 Depth=2
	s_or_saveexec_b32 s28, s28
	v_mov_b32_e32 v102, 0x7f800001
	s_xor_b32 exec_lo, exec_lo, s28
	s_cbranch_execz .LBB4_2539
.LBB4_2706:                             ;   in Loop: Header=BB4_2077 Depth=2
	v_cmp_ne_u16_sdwa s29, v43, v36 src0_sel:BYTE_0 src1_sel:DWORD
	v_mov_b32_e32 v102, 0
	s_andn2_b32 s13, s13, exec_lo
	s_and_b32 s29, s29, exec_lo
	s_or_b32 s13, s13, s29
	s_or_b32 exec_lo, exec_lo, s28
	s_and_saveexec_b32 s28, s13
	s_cbranch_execnz .LBB4_2540
	s_branch .LBB4_2541
.LBB4_2707:                             ;   in Loop: Header=BB4_2077 Depth=2
	s_or_saveexec_b32 s28, s28
	v_mov_b32_e32 v43, 0x7f800001
	s_xor_b32 exec_lo, exec_lo, s28
	s_cbranch_execz .LBB4_2553
.LBB4_2708:                             ;   in Loop: Header=BB4_2077 Depth=2
	v_cmp_ne_u16_sdwa s29, v67, v36 src0_sel:BYTE_0 src1_sel:DWORD
	v_mov_b32_e32 v43, 0
	s_andn2_b32 s13, s13, exec_lo
	s_and_b32 s29, s29, exec_lo
	s_or_b32 s13, s13, s29
	s_or_b32 exec_lo, exec_lo, s28
	s_and_saveexec_b32 s28, s13
	s_cbranch_execnz .LBB4_2554
	s_branch .LBB4_2555
.LBB4_2709:                             ;   in Loop: Header=BB4_2077 Depth=2
	s_or_saveexec_b32 s28, s28
	v_mov_b32_e32 v67, 0x7f800001
	s_xor_b32 exec_lo, exec_lo, s28
	s_cbranch_execz .LBB4_2559
.LBB4_2710:                             ;   in Loop: Header=BB4_2077 Depth=2
	v_cmp_ne_u16_sdwa s29, v119, v36 src0_sel:BYTE_0 src1_sel:DWORD
	v_mov_b32_e32 v67, 0
	s_andn2_b32 s13, s13, exec_lo
	s_and_b32 s29, s29, exec_lo
	s_or_b32 s13, s13, s29
	s_or_b32 exec_lo, exec_lo, s28
	s_and_saveexec_b32 s28, s13
	s_cbranch_execnz .LBB4_2560
	s_branch .LBB4_2561
.LBB4_2711:                             ;   in Loop: Header=BB4_2077 Depth=2
	s_or_saveexec_b32 s28, s28
	v_mov_b32_e32 v119, 0x7f800001
	s_xor_b32 exec_lo, exec_lo, s28
	s_cbranch_execz .LBB4_2573
.LBB4_2712:                             ;   in Loop: Header=BB4_2077 Depth=2
	v_cmp_ne_u16_sdwa s29, v52, v36 src0_sel:BYTE_0 src1_sel:DWORD
	v_mov_b32_e32 v119, 0
	s_andn2_b32 s13, s13, exec_lo
	s_and_b32 s29, s29, exec_lo
	s_or_b32 s13, s13, s29
	s_or_b32 exec_lo, exec_lo, s28
	s_and_saveexec_b32 s28, s13
	s_cbranch_execnz .LBB4_2574
	s_branch .LBB4_2575
.LBB4_2713:                             ;   in Loop: Header=BB4_2077 Depth=2
	s_or_saveexec_b32 s28, s28
	v_mov_b32_e32 v52, 0x7f800001
	s_xor_b32 exec_lo, exec_lo, s28
	s_cbranch_execz .LBB4_2579
.LBB4_2714:                             ;   in Loop: Header=BB4_2077 Depth=2
	v_cmp_ne_u16_sdwa s29, v114, v36 src0_sel:BYTE_0 src1_sel:DWORD
	v_mov_b32_e32 v52, 0
	s_andn2_b32 s13, s13, exec_lo
	s_and_b32 s29, s29, exec_lo
	s_or_b32 s13, s13, s29
	s_or_b32 exec_lo, exec_lo, s28
	s_and_saveexec_b32 s28, s13
	s_cbranch_execnz .LBB4_2580
	s_branch .LBB4_2581
.LBB4_2715:                             ;   in Loop: Header=BB4_2077 Depth=2
	s_or_saveexec_b32 s28, s28
	v_mov_b32_e32 v114, 0x7f800001
	s_xor_b32 exec_lo, exec_lo, s28
	s_cbranch_execz .LBB4_2593
.LBB4_2716:                             ;   in Loop: Header=BB4_2077 Depth=2
	v_cmp_ne_u16_sdwa s29, v51, v36 src0_sel:BYTE_0 src1_sel:DWORD
	v_mov_b32_e32 v114, 0
	s_andn2_b32 s13, s13, exec_lo
	s_and_b32 s29, s29, exec_lo
	s_or_b32 s13, s13, s29
	s_or_b32 exec_lo, exec_lo, s28
	s_and_saveexec_b32 s28, s13
	s_cbranch_execnz .LBB4_2594
	s_branch .LBB4_2595
.LBB4_2717:                             ;   in Loop: Header=BB4_2077 Depth=2
	s_or_saveexec_b32 s28, s28
	v_mov_b32_e32 v51, 0x7f800001
	s_xor_b32 exec_lo, exec_lo, s28
	s_cbranch_execz .LBB4_2599
.LBB4_2718:                             ;   in Loop: Header=BB4_2077 Depth=2
	v_cmp_ne_u16_sdwa s29, v53, v36 src0_sel:BYTE_0 src1_sel:DWORD
	v_mov_b32_e32 v51, 0
	s_andn2_b32 s13, s13, exec_lo
	s_and_b32 s29, s29, exec_lo
	s_or_b32 s13, s13, s29
	s_or_b32 exec_lo, exec_lo, s28
	s_and_saveexec_b32 s28, s13
	s_cbranch_execnz .LBB4_2600
	s_branch .LBB4_2601
.LBB4_2719:                             ;   in Loop: Header=BB4_2077 Depth=2
	s_or_saveexec_b32 s28, s28
	v_mov_b32_e32 v53, 0x7f800001
	s_xor_b32 exec_lo, exec_lo, s28
	s_cbranch_execz .LBB4_2613
.LBB4_2720:                             ;   in Loop: Header=BB4_2077 Depth=2
	v_cmp_ne_u16_sdwa s29, v17, v36 src0_sel:BYTE_0 src1_sel:DWORD
	v_mov_b32_e32 v53, 0
	s_andn2_b32 s13, s13, exec_lo
	s_and_b32 s29, s29, exec_lo
	s_or_b32 s13, s13, s29
	s_or_b32 exec_lo, exec_lo, s28
	s_and_saveexec_b32 s28, s13
	s_cbranch_execnz .LBB4_2614
	s_branch .LBB4_2615
.LBB4_2721:                             ;   in Loop: Header=BB4_2077 Depth=2
	s_or_saveexec_b32 s28, s28
	v_mov_b32_e32 v17, 0x7f800001
	s_xor_b32 exec_lo, exec_lo, s28
	s_cbranch_execz .LBB4_2619
.LBB4_2722:                             ;   in Loop: Header=BB4_2077 Depth=2
	v_cmp_ne_u16_sdwa s29, v16, v36 src0_sel:BYTE_0 src1_sel:DWORD
	v_mov_b32_e32 v17, 0
	s_andn2_b32 s13, s13, exec_lo
	s_and_b32 s29, s29, exec_lo
	s_or_b32 s13, s13, s29
	s_or_b32 exec_lo, exec_lo, s28
	s_and_saveexec_b32 s28, s13
	s_cbranch_execnz .LBB4_2620
	s_branch .LBB4_2621
.LBB4_2723:                             ;   in Loop: Header=BB4_49 Depth=1
	s_or_b32 exec_lo, exec_lo, s27
.LBB4_2724:                             ;   in Loop: Header=BB4_49 Depth=1
	s_or_b32 exec_lo, exec_lo, s26
	v_and_b32_e32 v10, 0xfffffe00, v55
	v_cmp_ne_u32_e32 vcc_lo, v55, v10
	s_and_b32 exec_lo, exec_lo, vcc_lo
	s_cbranch_execz .LBB4_2776
; %bb.2725:                             ;   in Loop: Header=BB4_49 Depth=1
	v_lshlrev_b32_e32 v11, 5, v65
	v_lshlrev_b32_e32 v12, 5, v66
	v_sub_nc_u32_e32 v11, v64, v11
	v_sub_nc_u32_e32 v11, v11, v12
	v_and_b32_e32 v12, 0x1ff, v55
	v_sub_nc_u32_e32 v50, v12, v11
	v_cmp_lt_i32_e32 vcc_lo, 0, v50
	s_and_b32 exec_lo, exec_lo, vcc_lo
	s_cbranch_execz .LBB4_2776
; %bb.2726:                             ;   in Loop: Header=BB4_49 Depth=1
	s_trap 2
	ds_read_b128 v[12:15], v0
	ds_read_b64 v[16:17], v0
	v_add3_u32 v51, v10, v54, v11
	s_mov_b32 s26, 0
	v_ashrrev_i32_e32 v52, 31, v51
	s_waitcnt lgkmcnt(1)
	v_add_co_u32 v10, vcc_lo, v12, v51
	v_add_co_ci_u32_e64 v11, null, v13, v52, vcc_lo
	v_add_co_u32 v12, vcc_lo, v14, v51
	v_add_co_ci_u32_e64 v13, null, v15, v52, vcc_lo
	s_waitcnt lgkmcnt(0)
	v_add_co_u32 v14, vcc_lo, v16, v51
	v_add_co_ci_u32_e64 v15, null, v17, v52, vcc_lo
	s_branch .LBB4_2730
.LBB4_2727:                             ;   in Loop: Header=BB4_2730 Depth=2
	s_or_b32 exec_lo, exec_lo, s13
	v_lshrrev_b32_e32 v51, 20, v51
	v_cmp_gt_i32_e32 vcc_lo, 16, v17
	v_min_i32_e32 v52, 15, v17
	v_and_b32_sdwa v16, v16, v97 dst_sel:DWORD dst_unused:UNUSED_PAD src0_sel:BYTE_3 src1_sel:DWORD
	v_cndmask_b32_e32 v51, 7, v51, vcc_lo
	v_lshlrev_b32_e32 v52, 3, v52
	v_and_b32_e32 v53, 7, v51
	v_or_b32_e32 v17, v17, v51
	v_or3_b32 v16, v52, v16, v53
	v_cmp_ne_u32_e32 vcc_lo, 0, v17
	v_cndmask_b32_e32 v17, 0, v16, vcc_lo
.LBB4_2728:                             ;   in Loop: Header=BB4_2730 Depth=2
	s_or_b32 exec_lo, exec_lo, s28
.LBB4_2729:                             ;   in Loop: Header=BB4_2730 Depth=2
	s_or_b32 exec_lo, exec_lo, s27
	v_sub_nc_u32_e32 v50, v50, v85
	v_add_co_u32 v10, vcc_lo, v10, v85
	v_add_co_ci_u32_e64 v11, null, 0, v11, vcc_lo
	v_add_co_u32 v12, vcc_lo, v12, v85
	flat_store_byte v[14:15], v17 glc slc
	v_add_co_ci_u32_e64 v13, null, 0, v13, vcc_lo
	v_cmp_gt_i32_e32 vcc_lo, 1, v50
	v_add_co_u32 v14, s13, v14, v85
	v_add_co_ci_u32_e64 v15, null, 0, v15, s13
	s_or_b32 s26, vcc_lo, s26
	s_andn2_b32 exec_lo, exec_lo, s26
	s_cbranch_execz .LBB4_2776
.LBB4_2730:                             ;   Parent Loop BB4_49 Depth=1
                                        ; =>  This Inner Loop Header: Depth=2
	s_trap 2
	ds_read_b64 v[16:17], v0
	s_waitcnt lgkmcnt(0)
	v_readfirstlane_b32 s13, v16
	s_and_b32 s27, s13, 0xff
	s_cmpk_lt_i32 s27, 0x80
	s_cbranch_scc1 .LBB4_2734
; %bb.2731:                             ;   in Loop: Header=BB4_2730 Depth=2
	s_and_b32 s28, 0xffff, s27
	s_cmpk_eq_i32 s28, 0x80
	s_mov_b32 s28, -1
	s_cbranch_scc0 .LBB4_2733
; %bb.2732:                             ;   in Loop: Header=BB4_2730 Depth=2
	s_mov_b32 s28, 0
.LBB4_2733:                             ;   in Loop: Header=BB4_2730 Depth=2
	s_mov_b32 s29, 0x7f800001
	s_branch .LBB4_2736
.LBB4_2734:                             ;   in Loop: Header=BB4_2730 Depth=2
	s_mov_b32 s28, 0
	s_mov_b32 s29, 0x7f800001
	s_cbranch_execz .LBB4_2736
; %bb.2735:                             ;   in Loop: Header=BB4_2730 Depth=2
	s_and_b32 s27, 0xffff, s27
	s_mov_b32 s29, 0
	s_cmp_lg_u32 s27, 0
	s_cselect_b32 s28, -1, 0
.LBB4_2736:                             ;   in Loop: Header=BB4_2730 Depth=2
	v_mov_b32_e32 v17, s29
	s_andn2_b32 vcc_lo, exec_lo, s28
	s_cbranch_vccnz .LBB4_2738
; %bb.2737:                             ;   in Loop: Header=BB4_2730 Depth=2
	s_and_b32 s27, s13, 7
	s_bfe_u32 s29, s13, 0x40003
	s_flbit_i32_b32 s28, s27
	v_lshlrev_b32_e32 v16, 24, v16
	s_min_u32 s28, s28, 32
	s_sub_i32 s40, s28, 28
	s_sub_i32 s28, 29, s28
	s_lshl_b32 s13, s13, s40
	v_and_b32_e32 v16, 0x80000000, v16
	s_and_b32 s13, s13, 7
	s_cmp_eq_u32 s29, 0
	s_cselect_b32 s28, s28, s29
	s_cselect_b32 s13, s13, s27
	s_lshl_b32 s27, s28, 23
	s_lshl_b32 s13, s13, 20
	s_add_i32 s27, s27, 0x3b800000
	v_or_b32_e32 v16, s27, v16
	v_or_b32_e32 v17, s13, v16
.LBB4_2738:                             ;   in Loop: Header=BB4_2730 Depth=2
	flat_load_ubyte v16, v[10:11] slc
	s_mov_b32 s13, 0
	s_mov_b32 s27, exec_lo
	s_waitcnt vmcnt(0) lgkmcnt(0)
	v_cmpx_lt_i16_e32 0x7f, v16
	s_xor_b32 s27, exec_lo, s27
	s_cbranch_execz .LBB4_2770
; %bb.2739:                             ;   in Loop: Header=BB4_2730 Depth=2
	s_mov_b32 s13, -1
	s_mov_b32 s28, exec_lo
	v_cmpx_eq_u16_e32 0x80, v16
; %bb.2740:                             ;   in Loop: Header=BB4_2730 Depth=2
	s_xor_b32 s13, exec_lo, -1
; %bb.2741:                             ;   in Loop: Header=BB4_2730 Depth=2
	s_or_b32 exec_lo, exec_lo, s28
	s_and_b32 s13, s13, exec_lo
	s_or_saveexec_b32 s27, s27
	v_mov_b32_e32 v51, 0x7f800001
	s_xor_b32 exec_lo, exec_lo, s27
	s_cbranch_execnz .LBB4_2771
.LBB4_2742:                             ;   in Loop: Header=BB4_2730 Depth=2
	s_or_b32 exec_lo, exec_lo, s27
	s_and_saveexec_b32 s27, s13
	s_cbranch_execz .LBB4_2744
.LBB4_2743:                             ;   in Loop: Header=BB4_2730 Depth=2
	v_and_b32_e32 v51, 0xffff, v16
	v_lshlrev_b32_e32 v16, 24, v16
	v_and_b32_e32 v52, 7, v51
	v_bfe_u32 v55, v51, 3, 4
	v_and_b32_e32 v16, 0x80000000, v16
	v_ffbh_u32_e32 v53, v52
	v_cmp_eq_u32_e32 vcc_lo, 0, v55
	v_min_u32_e32 v53, 32, v53
	v_subrev_nc_u32_e32 v54, 28, v53
	v_sub_nc_u32_e32 v53, 29, v53
	v_lshlrev_b32_e32 v51, v54, v51
	v_cndmask_b32_e32 v53, v55, v53, vcc_lo
	v_and_b32_e32 v51, 7, v51
	v_cndmask_b32_e32 v51, v52, v51, vcc_lo
	v_lshl_add_u32 v52, v53, 23, 0x3b800000
	v_lshlrev_b32_e32 v51, 20, v51
	v_or3_b32 v51, v16, v52, v51
.LBB4_2744:                             ;   in Loop: Header=BB4_2730 Depth=2
	s_or_b32 exec_lo, exec_lo, s27
	v_mul_f32_e32 v16, v17, v51
	v_mov_b32_e32 v51, 0x80
	s_mov_b32 s27, exec_lo
	v_and_b32_e32 v17, 0x7f800000, v16
	v_cmpx_ne_u32_e32 0x7f800000, v17
	s_cbranch_execz .LBB4_2752
; %bb.2745:                             ;   in Loop: Header=BB4_2730 Depth=2
	v_mov_b32_e32 v51, 0
	s_mov_b32 s28, exec_lo
	v_cmpx_ne_u32_e32 0, v16
	s_cbranch_execz .LBB4_2751
; %bb.2746:                             ;   in Loop: Header=BB4_2730 Depth=2
	v_bfe_u32 v17, v16, 23, 8
	v_and_b32_e32 v51, 0x7fffff, v16
	v_sub_nc_u32_e32 v52, 0x78, v17
	v_cmp_gt_u32_e32 vcc_lo, 0x79, v17
	v_or_b32_e32 v53, 0x800000, v51
	v_cndmask_b32_e32 v52, 0, v52, vcc_lo
	v_cmp_eq_u32_e32 vcc_lo, 0, v17
	v_add_nc_u32_e32 v17, 0xffffff89, v17
	v_cndmask_b32_e64 v52, v52, 0x77, vcc_lo
	v_cndmask_b32_e32 v51, v53, v51, vcc_lo
	v_cndmask_b32_e64 v17, v17, 0xffffff8a, vcc_lo
	v_lshl_add_u32 v53, 0x100000, v52, -1
	v_lshrrev_b32_e32 v54, v52, v51
	v_lshlrev_b32_e64 v64, v52, 0x80000
	v_add_nc_u32_e32 v52, v52, v17
	v_and_b32_e32 v51, v53, v51
	v_bfe_u32 v55, v54, 20, 1
	v_cmp_eq_u32_e64 s13, v51, v64
	v_add_nc_u32_e32 v53, -1, v55
	v_cndmask_b32_e64 v51, 0, v53, s13
	v_lshrrev_b32_e32 v53, 23, v54
	s_mov_b32 s13, exec_lo
	v_add_nc_u32_e32 v51, v51, v54
	v_xor_b32_e32 v53, 1, v53
	v_and_b32_e32 v17, 0xfffff, v51
	v_add_nc_u32_e32 v51, v17, v54
                                        ; implicit-def: $vgpr17
	v_cmpx_ne_u32_e64 v52, v53
	s_xor_b32 s13, exec_lo, s13
; %bb.2747:                             ;   in Loop: Header=BB4_2730 Depth=2
	v_cmp_lt_u32_e32 vcc_lo, 0xffffff, v51
	v_sub_nc_u32_e32 v17, v52, v53
	v_cndmask_b32_e64 v52, 0, 1, vcc_lo
	v_add_co_ci_u32_e64 v17, null, 0, v17, vcc_lo
	v_lshrrev_b32_e32 v51, v52, v51
; %bb.2748:                             ;   in Loop: Header=BB4_2730 Depth=2
	s_andn2_saveexec_b32 s13, s13
; %bb.2749:                             ;   in Loop: Header=BB4_2730 Depth=2
	v_bfe_u32 v17, v51, 23, 1
; %bb.2750:                             ;   in Loop: Header=BB4_2730 Depth=2
	s_or_b32 exec_lo, exec_lo, s13
	v_lshrrev_b32_e32 v51, 20, v51
	v_cmp_gt_i32_e32 vcc_lo, 16, v17
	v_min_i32_e32 v52, 15, v17
	v_and_b32_sdwa v16, v16, v97 dst_sel:DWORD dst_unused:UNUSED_PAD src0_sel:BYTE_3 src1_sel:DWORD
	v_cndmask_b32_e32 v51, 7, v51, vcc_lo
	v_lshlrev_b32_e32 v52, 3, v52
	v_and_b32_e32 v53, 7, v51
	v_or_b32_e32 v17, v17, v51
	v_or3_b32 v16, v52, v16, v53
	v_cmp_ne_u32_e32 vcc_lo, 0, v17
	v_cndmask_b32_e32 v51, 0, v16, vcc_lo
.LBB4_2751:                             ;   in Loop: Header=BB4_2730 Depth=2
	s_or_b32 exec_lo, exec_lo, s28
.LBB4_2752:                             ;   in Loop: Header=BB4_2730 Depth=2
	s_or_b32 exec_lo, exec_lo, s27
	flat_load_ubyte v16, v[12:13] slc
	v_cmp_gt_i16_sdwa s27, v51, v96 src0_sel:BYTE_0 src1_sel:DWORD
	s_mov_b32 s13, 0
	s_and_saveexec_b32 s28, s27
	s_xor_b32 s27, exec_lo, s28
	s_cbranch_execz .LBB4_2772
; %bb.2753:                             ;   in Loop: Header=BB4_2730 Depth=2
	v_cmp_eq_u16_sdwa s29, v51, v97 src0_sel:BYTE_0 src1_sel:DWORD
	s_mov_b32 s13, -1
	s_and_saveexec_b32 s28, s29
; %bb.2754:                             ;   in Loop: Header=BB4_2730 Depth=2
	s_xor_b32 s13, exec_lo, -1
; %bb.2755:                             ;   in Loop: Header=BB4_2730 Depth=2
	s_or_b32 exec_lo, exec_lo, s28
	s_and_b32 s13, s13, exec_lo
	s_or_saveexec_b32 s27, s27
	v_mov_b32_e32 v17, 0x7f800001
	s_xor_b32 exec_lo, exec_lo, s27
	s_cbranch_execnz .LBB4_2773
.LBB4_2756:                             ;   in Loop: Header=BB4_2730 Depth=2
	s_or_b32 exec_lo, exec_lo, s27
	s_and_saveexec_b32 s27, s13
	s_cbranch_execz .LBB4_2758
.LBB4_2757:                             ;   in Loop: Header=BB4_2730 Depth=2
	v_and_b32_e32 v17, 7, v51
	v_lshrrev_b16 v53, 3, v51
	v_ffbh_u32_e32 v52, v17
	v_and_b32_e32 v53, 15, v53
	v_min_u32_e32 v52, 32, v52
	v_cmp_eq_u32_e32 vcc_lo, 0, v53
	v_subrev_nc_u32_e32 v54, 28, v52
	v_sub_nc_u32_e32 v52, 29, v52
	v_lshlrev_b32_e32 v54, v54, v51
	v_lshlrev_b32_e32 v51, 24, v51
	v_cndmask_b32_e32 v52, v53, v52, vcc_lo
	v_and_b32_e32 v54, 7, v54
	v_and_b32_e32 v51, 0x80000000, v51
	v_lshl_add_u32 v52, v52, 23, 0x3b800000
	v_cndmask_b32_e32 v17, v17, v54, vcc_lo
	v_lshlrev_b32_e32 v17, 20, v17
	v_or3_b32 v17, v51, v52, v17
.LBB4_2758:                             ;   in Loop: Header=BB4_2730 Depth=2
	s_or_b32 exec_lo, exec_lo, s27
	s_waitcnt vmcnt(0) lgkmcnt(0)
	v_cmp_gt_i16_sdwa s27, v16, v96 src0_sel:BYTE_0 src1_sel:DWORD
	s_mov_b32 s13, 0
	s_and_saveexec_b32 s28, s27
	s_xor_b32 s27, exec_lo, s28
	s_cbranch_execz .LBB4_2774
; %bb.2759:                             ;   in Loop: Header=BB4_2730 Depth=2
	v_cmp_eq_u16_sdwa s29, v16, v97 src0_sel:BYTE_0 src1_sel:DWORD
	s_mov_b32 s13, -1
	s_and_saveexec_b32 s28, s29
; %bb.2760:                             ;   in Loop: Header=BB4_2730 Depth=2
	s_xor_b32 s13, exec_lo, -1
; %bb.2761:                             ;   in Loop: Header=BB4_2730 Depth=2
	s_or_b32 exec_lo, exec_lo, s28
	s_and_b32 s13, s13, exec_lo
	s_or_saveexec_b32 s27, s27
	v_mov_b32_e32 v51, 0x7f800001
	s_xor_b32 exec_lo, exec_lo, s27
	s_cbranch_execnz .LBB4_2775
.LBB4_2762:                             ;   in Loop: Header=BB4_2730 Depth=2
	s_or_b32 exec_lo, exec_lo, s27
	s_and_saveexec_b32 s27, s13
	s_cbranch_execz .LBB4_2764
.LBB4_2763:                             ;   in Loop: Header=BB4_2730 Depth=2
	v_and_b32_e32 v51, 7, v16
	v_lshrrev_b16 v53, 3, v16
	v_ffbh_u32_e32 v52, v51
	v_and_b32_e32 v53, 15, v53
	v_min_u32_e32 v52, 32, v52
	v_cmp_eq_u32_e32 vcc_lo, 0, v53
	v_subrev_nc_u32_e32 v54, 28, v52
	v_sub_nc_u32_e32 v52, 29, v52
	v_lshlrev_b32_e32 v54, v54, v16
	v_lshlrev_b32_e32 v16, 24, v16
	v_cndmask_b32_e32 v52, v53, v52, vcc_lo
	v_and_b32_e32 v54, 7, v54
	v_and_b32_e32 v16, 0x80000000, v16
	v_lshl_add_u32 v52, v52, 23, 0x3b800000
	v_cndmask_b32_e32 v51, v51, v54, vcc_lo
	v_lshlrev_b32_e32 v51, 20, v51
	v_or3_b32 v51, v16, v52, v51
.LBB4_2764:                             ;   in Loop: Header=BB4_2730 Depth=2
	s_or_b32 exec_lo, exec_lo, s27
	v_add_f32_e32 v16, v17, v51
	v_and_b32_e32 v17, 0x7f800000, v16
	v_cmp_ne_u32_e32 vcc_lo, 0x7f800000, v17
	v_mov_b32_e32 v17, 0x80
	s_and_saveexec_b32 s27, vcc_lo
	s_cbranch_execz .LBB4_2729
; %bb.2765:                             ;   in Loop: Header=BB4_2730 Depth=2
	v_mov_b32_e32 v17, 0
	s_mov_b32 s28, exec_lo
	v_cmpx_ne_u32_e32 0, v16
	s_cbranch_execz .LBB4_2728
; %bb.2766:                             ;   in Loop: Header=BB4_2730 Depth=2
	v_bfe_u32 v17, v16, 23, 8
	v_and_b32_e32 v51, 0x7fffff, v16
	v_sub_nc_u32_e32 v52, 0x78, v17
	v_cmp_gt_u32_e32 vcc_lo, 0x79, v17
	v_or_b32_e32 v53, 0x800000, v51
	v_cndmask_b32_e32 v52, 0, v52, vcc_lo
	v_cmp_eq_u32_e32 vcc_lo, 0, v17
	v_add_nc_u32_e32 v17, 0xffffff89, v17
	v_cndmask_b32_e64 v52, v52, 0x77, vcc_lo
	v_cndmask_b32_e32 v51, v53, v51, vcc_lo
	v_cndmask_b32_e64 v17, v17, 0xffffff8a, vcc_lo
	v_lshl_add_u32 v53, 0x100000, v52, -1
	v_lshrrev_b32_e32 v54, v52, v51
	v_lshlrev_b32_e64 v64, v52, 0x80000
	v_add_nc_u32_e32 v52, v52, v17
	v_and_b32_e32 v51, v53, v51
	v_bfe_u32 v55, v54, 20, 1
	v_cmp_eq_u32_e64 s13, v51, v64
	v_add_nc_u32_e32 v53, -1, v55
	v_cndmask_b32_e64 v51, 0, v53, s13
	v_lshrrev_b32_e32 v53, 23, v54
	s_mov_b32 s13, exec_lo
	v_add_nc_u32_e32 v51, v51, v54
	v_xor_b32_e32 v53, 1, v53
	v_and_b32_e32 v17, 0xfffff, v51
	v_add_nc_u32_e32 v51, v17, v54
                                        ; implicit-def: $vgpr17
	v_cmpx_ne_u32_e64 v52, v53
	s_xor_b32 s13, exec_lo, s13
; %bb.2767:                             ;   in Loop: Header=BB4_2730 Depth=2
	v_cmp_lt_u32_e32 vcc_lo, 0xffffff, v51
	v_sub_nc_u32_e32 v17, v52, v53
	v_cndmask_b32_e64 v52, 0, 1, vcc_lo
	v_add_co_ci_u32_e64 v17, null, 0, v17, vcc_lo
	v_lshrrev_b32_e32 v51, v52, v51
; %bb.2768:                             ;   in Loop: Header=BB4_2730 Depth=2
	s_andn2_saveexec_b32 s13, s13
	s_cbranch_execz .LBB4_2727
; %bb.2769:                             ;   in Loop: Header=BB4_2730 Depth=2
	v_bfe_u32 v17, v51, 23, 1
	s_branch .LBB4_2727
.LBB4_2770:                             ;   in Loop: Header=BB4_2730 Depth=2
	s_or_saveexec_b32 s27, s27
	v_mov_b32_e32 v51, 0x7f800001
	s_xor_b32 exec_lo, exec_lo, s27
	s_cbranch_execz .LBB4_2742
.LBB4_2771:                             ;   in Loop: Header=BB4_2730 Depth=2
	v_cmp_ne_u16_e32 vcc_lo, 0, v16
	v_mov_b32_e32 v51, 0
	s_andn2_b32 s13, s13, exec_lo
	s_and_b32 s28, vcc_lo, exec_lo
	s_or_b32 s13, s13, s28
	s_or_b32 exec_lo, exec_lo, s27
	s_and_saveexec_b32 s27, s13
	s_cbranch_execnz .LBB4_2743
	s_branch .LBB4_2744
.LBB4_2772:                             ;   in Loop: Header=BB4_2730 Depth=2
	s_or_saveexec_b32 s27, s27
	v_mov_b32_e32 v17, 0x7f800001
	s_xor_b32 exec_lo, exec_lo, s27
	s_cbranch_execz .LBB4_2756
.LBB4_2773:                             ;   in Loop: Header=BB4_2730 Depth=2
	v_cmp_ne_u16_sdwa s28, v51, v36 src0_sel:BYTE_0 src1_sel:DWORD
	v_mov_b32_e32 v17, 0
	s_andn2_b32 s13, s13, exec_lo
	s_and_b32 s28, s28, exec_lo
	s_or_b32 s13, s13, s28
	s_or_b32 exec_lo, exec_lo, s27
	s_and_saveexec_b32 s27, s13
	s_cbranch_execnz .LBB4_2757
	s_branch .LBB4_2758
.LBB4_2774:                             ;   in Loop: Header=BB4_2730 Depth=2
	s_or_saveexec_b32 s27, s27
	v_mov_b32_e32 v51, 0x7f800001
	s_xor_b32 exec_lo, exec_lo, s27
	s_cbranch_execz .LBB4_2762
.LBB4_2775:                             ;   in Loop: Header=BB4_2730 Depth=2
	v_cmp_ne_u16_sdwa s28, v16, v36 src0_sel:BYTE_0 src1_sel:DWORD
	v_mov_b32_e32 v51, 0
	s_andn2_b32 s13, s13, exec_lo
	s_and_b32 s28, s28, exec_lo
	s_or_b32 s13, s13, s28
	s_or_b32 exec_lo, exec_lo, s27
	s_and_saveexec_b32 s27, s13
	s_cbranch_execnz .LBB4_2763
	s_branch .LBB4_2764
.LBB4_2776:                             ;   in Loop: Header=BB4_49 Depth=1
	s_or_b32 exec_lo, exec_lo, s14
	v_cmp_ne_u32_e64 s13, 0, v37
	s_and_saveexec_b32 s14, s6
	s_cbranch_execz .LBB4_2795
.LBB4_2777:                             ;   in Loop: Header=BB4_49 Depth=1
	s_and_saveexec_b32 s26, s20
	s_xor_b32 s26, exec_lo, s26
	s_cbranch_execz .LBB4_2792
; %bb.2778:                             ;   in Loop: Header=BB4_49 Depth=1
	s_and_saveexec_b32 s27, s7
	s_cbranch_execz .LBB4_2791
; %bb.2779:                             ;   in Loop: Header=BB4_49 Depth=1
	s_mov_b32 s29, exec_lo
	s_mov_b32 s28, exec_lo
	v_mbcnt_lo_u32_b32 v10, s29, 0
	s_waitcnt vmcnt(0) lgkmcnt(0)
	s_waitcnt_vscnt null, 0x0
	buffer_gl1_inv
	buffer_gl0_inv
	v_cmpx_eq_u32_e32 0, v10
	s_cbranch_execz .LBB4_2781
; %bb.2780:                             ;   in Loop: Header=BB4_49 Depth=1
	s_bcnt1_i32_b32 s29, s29
	v_mov_b32_e32 v11, v36
	v_mov_b32_e32 v10, s29
	ds_add_u64 v0, v[10:11]
	s_trap 2
.LBB4_2781:                             ;   in Loop: Header=BB4_49 Depth=1
	s_or_b32 exec_lo, exec_lo, s28
	s_trap 2
	ds_read_b64 v[10:11], v0
	s_waitcnt lgkmcnt(0)
	buffer_gl0_inv
	v_add_co_u32 v26, vcc_lo, v26, v81
	v_add_co_ci_u32_e64 v27, null, 0, v27, vcc_lo
	s_mov_b32 s28, exec_lo
	v_cmpx_lt_u64_e64 v[10:11], v[26:27]
	s_cbranch_execz .LBB4_2790
; %bb.2782:                             ;   in Loop: Header=BB4_49 Depth=1
	s_mov_b32 s29, 0
	s_mov_b32 s42, 0
                                        ; implicit-def: $sgpr40
                                        ; implicit-def: $sgpr41
	s_inst_prefetch 0x1
	s_branch .LBB4_2784
	.p2align	6
.LBB4_2783:                             ;   in Loop: Header=BB4_2784 Depth=2
	s_or_b32 exec_lo, exec_lo, s44
	s_and_b32 s43, exec_lo, s45
	s_or_b32 s29, s43, s29
	s_andn2_b32 s40, s40, exec_lo
	s_and_b32 s43, s41, exec_lo
	s_or_b32 s40, s40, s43
	s_andn2_b32 exec_lo, exec_lo, s29
	s_cbranch_execz .LBB4_2788
.LBB4_2784:                             ;   Parent Loop BB4_49 Depth=1
                                        ; =>  This Inner Loop Header: Depth=2
	s_add_i32 s42, s42, 1
	s_cmpk_lg_i32 s42, 0x2710
	s_cselect_b32 s43, -1, 0
	s_and_b32 vcc_lo, exec_lo, s43
	s_cbranch_vccz .LBB4_2786
; %bb.2785:                             ;   in Loop: Header=BB4_2784 Depth=2
	s_mov_b32 s45, -1
	s_or_b32 s41, s41, exec_lo
	s_and_saveexec_b32 s44, s43
	s_cbranch_execz .LBB4_2783
	s_branch .LBB4_2787
	.p2align	6
.LBB4_2786:                             ;   in Loop: Header=BB4_2784 Depth=2
	s_trap 2
	ds_read_b64 v[10:11], v0
	s_andn2_b32 s43, s43, exec_lo
	s_mov_b32 s42, 0
	s_waitcnt lgkmcnt(0)
	flat_load_dword v10, v[10:11] glc dlc
	s_waitcnt vmcnt(0) lgkmcnt(0)
	buffer_gl1_inv
	buffer_gl0_inv
	v_cmp_eq_u32_e32 vcc_lo, 0, v10
	s_and_b32 s44, vcc_lo, exec_lo
	s_or_b32 s43, s43, s44
	s_mov_b32 s45, -1
	s_or_b32 s41, s41, exec_lo
	s_and_saveexec_b32 s44, s43
	s_cbranch_execz .LBB4_2783
.LBB4_2787:                             ;   in Loop: Header=BB4_2784 Depth=2
	s_sleep 1
	s_trap 2
	ds_read_b64 v[10:11], v0
	s_waitcnt lgkmcnt(0)
	buffer_gl0_inv
	s_andn2_b32 s41, s41, exec_lo
	v_cmp_ge_u64_e32 vcc_lo, v[10:11], v[26:27]
	s_orn2_b32 s45, vcc_lo, exec_lo
	s_branch .LBB4_2783
.LBB4_2788:                             ;   in Loop: Header=BB4_49 Depth=1
	s_inst_prefetch 0x2
	s_or_b32 exec_lo, exec_lo, s29
	s_and_saveexec_b32 s29, s40
	s_xor_b32 s29, exec_lo, s29
	s_cbranch_execz .LBB4_2790
; %bb.2789:                             ;   in Loop: Header=BB4_49 Depth=1
	ds_write_b32 v0, v86
	s_trap 2
.LBB4_2790:                             ;   in Loop: Header=BB4_49 Depth=1
	s_or_b32 exec_lo, exec_lo, s28
	;;#ASMSTART
	s_wakeup
	;;#ASMEND
.LBB4_2791:                             ;   in Loop: Header=BB4_49 Depth=1
	s_or_b32 exec_lo, exec_lo, s27
.LBB4_2792:                             ;   in Loop: Header=BB4_49 Depth=1
	s_andn2_saveexec_b32 s26, s26
	s_cbranch_execz .LBB4_2794
; %bb.2793:                             ;   in Loop: Header=BB4_49 Depth=1
	s_waitcnt vmcnt(0) lgkmcnt(0)
	s_waitcnt_vscnt null, 0x0
	buffer_gl1_inv
	buffer_gl0_inv
	s_barrier
.LBB4_2794:                             ;   in Loop: Header=BB4_49 Depth=1
	s_or_b32 exec_lo, exec_lo, s26
.LBB4_2795:                             ;   in Loop: Header=BB4_49 Depth=1
	s_or_b32 exec_lo, exec_lo, s14
	v_and_b32_e32 v10, 16, v68
	v_cmp_ne_u32_e32 vcc_lo, 0, v10
	s_and_b32 s14, vcc_lo, s13
	s_and_saveexec_b32 s13, s14
	s_cbranch_execz .LBB4_2797
; %bb.2796:                             ;   in Loop: Header=BB4_49 Depth=1
	s_waitcnt vmcnt(0) lgkmcnt(0)
	s_waitcnt_vscnt null, 0x0
	buffer_gl1_inv
	buffer_gl0_inv
.LBB4_2797:                             ;   in Loop: Header=BB4_49 Depth=1
	s_or_b32 exec_lo, exec_lo, s13
	v_cmp_ne_u32_e32 vcc_lo, 0, v10
	s_xor_b32 s13, s12, -1
	s_and_b32 s14, vcc_lo, s13
	s_and_saveexec_b32 s13, s14
	s_cbranch_execz .LBB4_2799
; %bb.2798:                             ;   in Loop: Header=BB4_49 Depth=1
	s_waitcnt vmcnt(0) lgkmcnt(0)
	s_waitcnt_vscnt null, 0x0
	flat_store_dword v[34:35], v86
.LBB4_2799:                             ;   in Loop: Header=BB4_49 Depth=1
	s_or_b32 exec_lo, exec_lo, s13
	v_and_b32_e32 v10, 48, v68
	s_mov_b32 s13, exec_lo
	v_cmpx_ne_u32_e32 0, v10
	s_cbranch_execz .LBB4_2801
; %bb.2800:                             ;   in Loop: Header=BB4_49 Depth=1
	v_add_co_u32 v8, vcc_lo, v8, 1
	v_add_co_ci_u32_e64 v9, null, 0, v9, vcc_lo
	s_waitcnt vmcnt(0) lgkmcnt(0)
	s_waitcnt_vscnt null, 0x0
	flat_store_dwordx2 v[22:23], v[8:9]
.LBB4_2801:                             ;   in Loop: Header=BB4_49 Depth=1
	s_or_b32 exec_lo, exec_lo, s13
	v_mov_b32_e32 v10, v49
.LBB4_2802:                             ;   in Loop: Header=BB4_49 Depth=1
	s_or_b32 exec_lo, exec_lo, s25
	s_and_saveexec_b32 s14, s24
	s_cbranch_execz .LBB4_48
; %bb.2803:                             ;   in Loop: Header=BB4_49 Depth=1
	v_sub_nc_u32_e32 v10, v48, v10
	v_and_b32_e32 v11, 12, v68
	s_mov_b32 s24, exec_lo
	v_min_i32_e32 v10, v49, v10
	v_cmpx_ne_u32_e32 0, v11
	s_cbranch_execz .LBB4_2829
; %bb.2804:                             ;   in Loop: Header=BB4_49 Depth=1
	v_and_b32_e32 v16, 8, v68
	s_mov_b32 s25, exec_lo
	s_waitcnt vmcnt(0)
	v_add_co_u32 v14, vcc_lo, v28, v16
	v_add_co_ci_u32_e64 v15, null, 0, v29, vcc_lo
	s_waitcnt lgkmcnt(0)
	v_add_co_u32 v12, vcc_lo, v8, 1
	v_add_co_ci_u32_e64 v13, null, 0, v9, vcc_lo
	v_cmpx_lt_u64_e64 v[14:15], v[12:13]
	s_cbranch_execz .LBB4_2816
; %bb.2805:                             ;   in Loop: Header=BB4_49 Depth=1
	v_and_b32_e32 v9, 64, v68
	s_mov_b32 s26, 0
	s_mov_b32 s40, 0
                                        ; implicit-def: $sgpr27
                                        ; implicit-def: $sgpr28
                                        ; implicit-def: $sgpr29
	v_cmp_eq_u32_e32 vcc_lo, 0, v9
	s_branch .LBB4_2809
.LBB4_2806:                             ;   in Loop: Header=BB4_2809 Depth=2
	s_waitcnt vmcnt(0) lgkmcnt(0)
	v_add_co_u32 v14, s13, v28, v16
	v_add_co_ci_u32_e64 v15, null, 0, v29, s13
	s_or_b32 s43, s43, exec_lo
	v_cmp_ge_u64_e64 s13, v[14:15], v[12:13]
	s_orn2_b32 s42, s13, exec_lo
.LBB4_2807:                             ;   in Loop: Header=BB4_2809 Depth=2
	s_or_b32 exec_lo, exec_lo, s45
	s_andn2_b32 s13, s29, exec_lo
	s_and_b32 s29, s43, exec_lo
	s_andn2_b32 s28, s28, exec_lo
	s_and_b32 s42, s42, exec_lo
	s_or_b32 s29, s13, s29
	s_or_b32 s28, s28, s42
.LBB4_2808:                             ;   in Loop: Header=BB4_2809 Depth=2
	s_or_b32 exec_lo, exec_lo, s41
	s_and_b32 s13, exec_lo, s28
	s_or_b32 s26, s13, s26
	s_andn2_b32 s13, s27, exec_lo
	s_and_b32 s27, s29, exec_lo
	s_or_b32 s27, s13, s27
	s_andn2_b32 exec_lo, exec_lo, s26
	s_cbranch_execz .LBB4_2813
.LBB4_2809:                             ;   Parent Loop BB4_49 Depth=1
                                        ; =>  This Inner Loop Header: Depth=2
	s_sleep 1
	s_waitcnt vmcnt(0) lgkmcnt(0)
	flat_load_dwordx2 v[28:29], v[22:23] glc dlc
	s_or_b32 s29, s29, exec_lo
	s_or_b32 s28, s28, exec_lo
                                        ; implicit-def: $vgpr9
	s_and_saveexec_b32 s41, vcc_lo
	s_cbranch_execz .LBB4_2808
; %bb.2810:                             ;   in Loop: Header=BB4_2809 Depth=2
	s_cmpk_lt_i32 s40, 0x270f
	s_mov_b32 s42, -1
	s_cselect_b32 s44, -1, 0
	s_cmpk_gt_i32 s40, 0x270e
	s_cbranch_scc0 .LBB4_2812
; %bb.2811:                             ;   in Loop: Header=BB4_2809 Depth=2
	s_trap 2
	ds_read_b64 v[14:15], v0
	s_andn2_b32 s40, s44, exec_lo
	s_mov_b32 s43, 0
	s_waitcnt vmcnt(0) lgkmcnt(0)
	s_waitcnt_vscnt null, 0x0
	flat_load_dword v9, v[14:15] glc dlc
	s_waitcnt vmcnt(0) lgkmcnt(0)
	buffer_gl1_inv
	buffer_gl0_inv
	v_cmp_eq_u32_e64 s13, 0, v9
	s_and_b32 s13, s13, exec_lo
	s_or_b32 s44, s40, s13
	s_mov_b32 s40, 0
	s_and_saveexec_b32 s45, s44
	s_cbranch_execz .LBB4_2807
	s_branch .LBB4_2806
.LBB4_2812:                             ;   in Loop: Header=BB4_2809 Depth=2
	s_add_i32 s40, s40, 1
	s_mov_b32 s43, -1
                                        ; implicit-def: $vgpr9
	s_and_saveexec_b32 s45, s44
	s_cbranch_execz .LBB4_2807
	s_branch .LBB4_2806
.LBB4_2813:                             ;   in Loop: Header=BB4_49 Depth=1
	s_or_b32 exec_lo, exec_lo, s26
	s_xor_b32 s13, s27, -1
	s_and_saveexec_b32 s26, s13
	s_xor_b32 s13, exec_lo, s26
	s_cbranch_execz .LBB4_2815
; %bb.2814:                             ;   in Loop: Header=BB4_49 Depth=1
	v_or_b32_e32 v68, 64, v68
	s_waitcnt vmcnt(0) lgkmcnt(0)
	s_waitcnt_vscnt null, 0x0
	ds_write_b32 v0, v9
	s_trap 2
.LBB4_2815:                             ;   in Loop: Header=BB4_49 Depth=1
	s_or_b32 exec_lo, exec_lo, s13
.LBB4_2816:                             ;   in Loop: Header=BB4_49 Depth=1
	s_or_b32 exec_lo, exec_lo, s25
	v_and_b32_e32 v9, 0x108, v68
	v_and_b32_e32 v17, 7, v8
	s_mov_b32 s13, exec_lo
	;;#ASMSTART
	s_wakeup
	;;#ASMEND
	v_cmpx_ne_u32_e32 0x108, v9
	s_xor_b32 s13, exec_lo, s13
                                        ; implicit-def: $vgpr37
; %bb.2817:                             ;   in Loop: Header=BB4_49 Depth=1
	v_mov_b32_e32 v37, v36
; %bb.2818:                             ;   in Loop: Header=BB4_49 Depth=1
	s_andn2_saveexec_b32 s13, s13
	s_cbranch_execz .LBB4_2820
; %bb.2819:                             ;   in Loop: Header=BB4_49 Depth=1
	v_mad_u64_u32 v[8:9], null, v17, 24, v[6:7]
	v_ashrrev_i32_e32 v11, 31, v10
	v_mov_b32_e32 v37, v36
	flat_store_dwordx2 v[8:9], v[10:11] offset:8
.LBB4_2820:                             ;   in Loop: Header=BB4_49 Depth=1
	s_or_b32 exec_lo, exec_lo, s13
	v_and_b32_e32 v8, 0x100, v68
	s_mov_b32 s13, -1
	v_cmp_ne_u32_e32 vcc_lo, 0, v8
                                        ; implicit-def: $vgpr8_vgpr9
	s_and_saveexec_b32 s25, vcc_lo
	s_cbranch_execz .LBB4_2824
; %bb.2821:                             ;   in Loop: Header=BB4_49 Depth=1
	v_mad_u64_u32 v[14:15], null, v17, 24, v[6:7]
	v_mov_b32_e32 v8, v15
	v_mad_u64_u32 v[8:9], null, v37, 24, v[8:9]
	v_mov_b32_e32 v15, v8
	flat_load_dword v8, v[14:15]
	s_waitcnt vmcnt(0) lgkmcnt(0)
	v_cmp_eq_u32_e64 s13, 1, v8
	v_cmp_ne_u32_e32 vcc_lo, 1, v8
                                        ; implicit-def: $vgpr8_vgpr9
	s_and_saveexec_b32 s26, s13
	s_cbranch_execz .LBB4_2823
; %bb.2822:                             ;   in Loop: Header=BB4_49 Depth=1
	flat_load_dword v8, v[14:15] offset:4 glc dlc
	s_waitcnt vmcnt(0) lgkmcnt(0)
	v_ashrrev_i32_e32 v9, 31, v8
.LBB4_2823:                             ;   in Loop: Header=BB4_49 Depth=1
	s_or_b32 exec_lo, exec_lo, s26
	s_orn2_b32 s13, vcc_lo, exec_lo
.LBB4_2824:                             ;   in Loop: Header=BB4_49 Depth=1
	s_or_b32 exec_lo, exec_lo, s25
	s_and_saveexec_b32 s25, s13
; %bb.2825:                             ;   in Loop: Header=BB4_49 Depth=1
	v_mul_lo_u32 v11, v37, v69
	v_mul_lo_u32 v14, v17, v70
	v_mad_u64_u32 v[8:9], null, v17, v69, 0
	v_add3_u32 v9, v9, v14, v11
; %bb.2826:                             ;   in Loop: Header=BB4_49 Depth=1
	s_or_b32 exec_lo, exec_lo, s25
	v_cmp_eq_u32_e32 vcc_lo, 0, v16
	v_and_b32_e32 v14, 0x2000, v68
	s_mov_b32 s13, exec_lo
	v_cndmask_b32_e32 v11, 0xc8, v87, vcc_lo
	v_add_co_u32 v8, vcc_lo, v24, v8
	v_add_co_ci_u32_e64 v9, null, v25, v9, vcc_lo
	v_add_nc_u32_e32 v11, v0, v11
	ds_write_b64 v11, v[8:9] offset:584
	v_cmpx_ne_u32_e32 0, v14
	s_cbranch_execz .LBB4_2828
; %bb.2827:                             ;   in Loop: Header=BB4_49 Depth=1
	ds_read_b64 v[8:9], v0 offset:872
	s_waitcnt lgkmcnt(0)
	v_add_co_u32 v8, vcc_lo, v8, 1
	v_add_co_ci_u32_e64 v9, null, 0, v9, vcc_lo
	ds_write_b64 v0, v[8:9] offset:872
.LBB4_2828:                             ;   in Loop: Header=BB4_49 Depth=1
	s_or_b32 exec_lo, exec_lo, s13
	v_mov_b32_e32 v8, v12
	v_mov_b32_e32 v9, v13
.LBB4_2829:                             ;   in Loop: Header=BB4_49 Depth=1
	s_or_b32 exec_lo, exec_lo, s24
	s_and_saveexec_b32 s13, s6
	s_cbranch_execz .LBB4_2848
; %bb.2830:                             ;   in Loop: Header=BB4_49 Depth=1
	s_and_saveexec_b32 s24, s20
	s_xor_b32 s24, exec_lo, s24
	s_cbranch_execz .LBB4_2845
; %bb.2831:                             ;   in Loop: Header=BB4_49 Depth=1
	s_and_saveexec_b32 s25, s7
	s_cbranch_execz .LBB4_2844
; %bb.2832:                             ;   in Loop: Header=BB4_49 Depth=1
	s_mov_b32 s27, exec_lo
	s_mov_b32 s26, exec_lo
	v_mbcnt_lo_u32_b32 v11, s27, 0
	s_waitcnt vmcnt(0) lgkmcnt(0)
	s_waitcnt_vscnt null, 0x0
	buffer_gl1_inv
	buffer_gl0_inv
	v_cmpx_eq_u32_e32 0, v11
	s_cbranch_execz .LBB4_2834
; %bb.2833:                             ;   in Loop: Header=BB4_49 Depth=1
	s_bcnt1_i32_b32 s27, s27
	v_mov_b32_e32 v12, v36
	v_mov_b32_e32 v11, s27
	ds_add_u64 v0, v[11:12]
	s_trap 2
.LBB4_2834:                             ;   in Loop: Header=BB4_49 Depth=1
	s_or_b32 exec_lo, exec_lo, s26
	s_trap 2
	ds_read_b64 v[11:12], v0
	s_waitcnt lgkmcnt(0)
	buffer_gl0_inv
	v_add_co_u32 v26, vcc_lo, v26, v81
	v_add_co_ci_u32_e64 v27, null, 0, v27, vcc_lo
	s_mov_b32 s26, exec_lo
	v_cmpx_lt_u64_e64 v[11:12], v[26:27]
	s_cbranch_execz .LBB4_2843
; %bb.2835:                             ;   in Loop: Header=BB4_49 Depth=1
	s_mov_b32 s27, 0
	s_mov_b32 s40, 0
                                        ; implicit-def: $sgpr28
                                        ; implicit-def: $sgpr29
	s_inst_prefetch 0x1
	s_branch .LBB4_2837
	.p2align	6
.LBB4_2836:                             ;   in Loop: Header=BB4_2837 Depth=2
	s_or_b32 exec_lo, exec_lo, s42
	s_and_b32 s41, exec_lo, s43
	s_or_b32 s27, s41, s27
	s_andn2_b32 s28, s28, exec_lo
	s_and_b32 s41, s29, exec_lo
	s_or_b32 s28, s28, s41
	s_andn2_b32 exec_lo, exec_lo, s27
	s_cbranch_execz .LBB4_2841
.LBB4_2837:                             ;   Parent Loop BB4_49 Depth=1
                                        ; =>  This Inner Loop Header: Depth=2
	s_add_i32 s40, s40, 1
	s_cmpk_lg_i32 s40, 0x2710
	s_cselect_b32 s41, -1, 0
	s_and_b32 vcc_lo, exec_lo, s41
	s_cbranch_vccz .LBB4_2839
; %bb.2838:                             ;   in Loop: Header=BB4_2837 Depth=2
	s_mov_b32 s43, -1
	s_or_b32 s29, s29, exec_lo
	s_and_saveexec_b32 s42, s41
	s_cbranch_execz .LBB4_2836
	s_branch .LBB4_2840
	.p2align	6
.LBB4_2839:                             ;   in Loop: Header=BB4_2837 Depth=2
	s_trap 2
	ds_read_b64 v[11:12], v0
	s_andn2_b32 s41, s41, exec_lo
	s_mov_b32 s40, 0
	s_waitcnt lgkmcnt(0)
	flat_load_dword v11, v[11:12] glc dlc
	s_waitcnt vmcnt(0) lgkmcnt(0)
	buffer_gl1_inv
	buffer_gl0_inv
	v_cmp_eq_u32_e32 vcc_lo, 0, v11
	s_and_b32 s42, vcc_lo, exec_lo
	s_or_b32 s41, s41, s42
	s_mov_b32 s43, -1
	s_or_b32 s29, s29, exec_lo
	s_and_saveexec_b32 s42, s41
	s_cbranch_execz .LBB4_2836
.LBB4_2840:                             ;   in Loop: Header=BB4_2837 Depth=2
	s_sleep 1
	s_trap 2
	ds_read_b64 v[11:12], v0
	s_waitcnt lgkmcnt(0)
	buffer_gl0_inv
	s_andn2_b32 s29, s29, exec_lo
	v_cmp_ge_u64_e32 vcc_lo, v[11:12], v[26:27]
	s_orn2_b32 s43, vcc_lo, exec_lo
	s_branch .LBB4_2836
.LBB4_2841:                             ;   in Loop: Header=BB4_49 Depth=1
	s_inst_prefetch 0x2
	s_or_b32 exec_lo, exec_lo, s27
	s_and_saveexec_b32 s27, s28
	s_xor_b32 s27, exec_lo, s27
	s_cbranch_execz .LBB4_2843
; %bb.2842:                             ;   in Loop: Header=BB4_49 Depth=1
	ds_write_b32 v0, v86
	s_trap 2
.LBB4_2843:                             ;   in Loop: Header=BB4_49 Depth=1
	s_or_b32 exec_lo, exec_lo, s26
	;;#ASMSTART
	s_wakeup
	;;#ASMEND
.LBB4_2844:                             ;   in Loop: Header=BB4_49 Depth=1
	s_or_b32 exec_lo, exec_lo, s25
.LBB4_2845:                             ;   in Loop: Header=BB4_49 Depth=1
	s_andn2_saveexec_b32 s24, s24
	s_cbranch_execz .LBB4_2847
; %bb.2846:                             ;   in Loop: Header=BB4_49 Depth=1
	s_waitcnt vmcnt(0) lgkmcnt(0)
	s_waitcnt_vscnt null, 0x0
	buffer_gl1_inv
	buffer_gl0_inv
	s_barrier
.LBB4_2847:                             ;   in Loop: Header=BB4_49 Depth=1
	s_or_b32 exec_lo, exec_lo, s24
.LBB4_2848:                             ;   in Loop: Header=BB4_49 Depth=1
	s_or_b32 exec_lo, exec_lo, s13
	s_trap 2
	ds_read_b32 v11, v0
	v_cmp_lt_i32_e32 vcc_lo, 0, v10
	s_waitcnt lgkmcnt(0)
	v_readfirstlane_b32 s13, v11
	v_and_b32_e32 v11, 16, v68
	s_cmp_eq_u32 s13, 0
	v_cmp_ne_u32_e64 s13, 0, v11
	s_cselect_b32 s24, -1, 0
	s_and_b32 s24, vcc_lo, s24
	s_and_b32 s24, s13, s24
	s_and_saveexec_b32 s13, s24
	s_cbranch_execz .LBB4_2850
; %bb.2849:                             ;   in Loop: Header=BB4_49 Depth=1
	s_waitcnt vmcnt(0)
	s_waitcnt_vscnt null, 0x0
	buffer_gl1_inv
	buffer_gl0_inv
.LBB4_2850:                             ;   in Loop: Header=BB4_49 Depth=1
	s_or_b32 exec_lo, exec_lo, s13
	v_cmp_ne_u32_e32 vcc_lo, 0, v11
	s_xor_b32 s13, s12, -1
	s_and_b32 s24, vcc_lo, s13
	s_and_saveexec_b32 s13, s24
	s_cbranch_execz .LBB4_2852
; %bb.2851:                             ;   in Loop: Header=BB4_49 Depth=1
	s_waitcnt vmcnt(0)
	s_waitcnt_vscnt null, 0x0
	flat_store_dword v[34:35], v86
.LBB4_2852:                             ;   in Loop: Header=BB4_49 Depth=1
	s_or_b32 exec_lo, exec_lo, s13
	v_and_b32_e32 v10, 48, v68
	s_mov_b32 s13, exec_lo
	v_cmpx_ne_u32_e32 0, v10
	s_cbranch_execz .LBB4_47
; %bb.2853:                             ;   in Loop: Header=BB4_49 Depth=1
	v_add_co_u32 v8, vcc_lo, v8, 1
	v_add_co_ci_u32_e64 v9, null, 0, v9, vcc_lo
	s_waitcnt vmcnt(0) lgkmcnt(0)
	s_waitcnt_vscnt null, 0x0
	flat_store_dwordx2 v[22:23], v[8:9]
	s_branch .LBB4_47
.LBB4_2854:
	s_or_b32 exec_lo, exec_lo, s21
.LBB4_2855:
	s_or_b32 exec_lo, exec_lo, s19
                                        ; implicit-def: $vgpr18_vgpr19
                                        ; implicit-def: $vgpr4_vgpr5
                                        ; implicit-def: $vgpr69
                                        ; implicit-def: $vgpr28_vgpr29
                                        ; implicit-def: $vgpr24_vgpr25
                                        ; implicit-def: $vgpr22_vgpr23
                                        ; implicit-def: $vgpr0
                                        ; implicit-def: $vgpr38
                                        ; implicit-def: $vgpr32
.LBB4_2856:
	s_andn2_saveexec_b32 s14, s18
	s_cbranch_execz .LBB4_5656
; %bb.2857:
	v_mov_b32_e32 v26, 0
	v_mov_b32_e32 v27, 0
	s_mov_b32 s18, exec_lo
	v_cmpx_ne_u64_e32 0, v[4:5]
	s_cbranch_execz .LBB4_5655
; %bb.2858:
	v_and_b32_e32 v10, 31, v31
	v_lshrrev_b32_e32 v66, 5, v0
	v_and_b32_e32 v67, 31, v0
	v_lshrrev_b32_e32 v70, 5, v1
	s_ashr_i32 s6, s16, 31
	v_cmp_eq_u32_e64 s7, 0, v10
	v_lshlrev_b32_e32 v10, 10, v66
	s_lshr_b32 s6, s6, 24
	v_cmp_eq_u32_e32 vcc_lo, 32, v1
	v_mov_b32_e32 v36, 0
	v_mov_b32_e32 v26, 0
	v_cmp_ge_u32_e64 s5, v0, v1
	s_add_i32 s12, s16, s6
	v_cmp_ne_u32_e64 s6, 32, v1
	s_waitcnt vmcnt(0)
	v_cmp_ne_u32_sdwa s19, v1, v30 src0_sel:DWORD src1_sel:WORD_0
	s_waitcnt lgkmcnt(1)
	v_mov_b32_e32 v35, 0
	v_cmp_le_u32_e64 s10, v67, v38
	v_cmp_eq_u32_e64 s11, 0, v67
	v_lshl_or_b32 v71, v67, 4, v10
	v_lshlrev_b32_e32 v80, 10, v70
	v_lshlrev_b32_e32 v81, 9, v70
	v_and_b32_e32 v82, 0x1fe0, v1
	v_mov_b32_e32 v37, 0
	v_mov_b32_e32 v83, 1
	v_mov_b32_e32 v84, 0x7f
	v_mov_b32_e32 v85, 0x80
	v_mov_b32_e32 v86, 0xffff
	v_mov_b32_e32 v87, 24
	v_mov_b32_e32 v96, 0xff
	v_mov_b32_e32 v27, 0
	v_mov_b32_e32 v97, 7
	s_ashr_i32 s21, s12, 8
	s_mov_b32 s20, 0
	s_xor_b32 s22, vcc_lo, -1
	s_trap 2
	s_branch .LBB4_2861
.LBB4_2859:                             ;   in Loop: Header=BB4_2861 Depth=1
	s_or_b32 exec_lo, exec_lo, s12
.LBB4_2860:                             ;   in Loop: Header=BB4_2861 Depth=1
	s_or_b32 exec_lo, exec_lo, s13
	v_add_co_u32 v36, vcc_lo, v36, v32
	v_add_co_ci_u32_e64 v37, null, 0, v37, vcc_lo
	v_cmp_ge_u64_e32 vcc_lo, v[36:37], v[4:5]
	s_or_b32 s20, vcc_lo, s20
	s_andn2_b32 exec_lo, exec_lo, s20
	s_cbranch_execz .LBB4_5654
.LBB4_2861:                             ; =>This Loop Header: Depth=1
                                        ;     Child Loop BB4_2870 Depth 2
                                        ;     Child Loop BB4_2894 Depth 2
	;; [unrolled: 1-line block ×10, first 2 shown]
	v_sub_co_u32 v10, vcc_lo, v4, v36
	v_sub_co_ci_u32_e64 v11, null, v5, v37, vcc_lo
	v_mov_b32_e32 v14, 0
	v_cmp_lt_u64_e32 vcc_lo, v[32:33], v[10:11]
	v_cndmask_b32_e32 v38, v10, v32, vcc_lo
	v_cndmask_b32_e64 v39, v11, 0, vcc_lo
	v_add_nc_u32_e32 v10, 15, v38
	v_cmp_eq_u64_e32 vcc_lo, 0, v[38:39]
	v_and_b32_e32 v10, 0x7ffffff0, v10
	s_or_b32 s23, s5, vcc_lo
	s_xor_b32 s12, s23, -1
	v_max_i32_e32 v39, s21, v10
	s_and_saveexec_b32 s24, s12
	s_cbranch_execz .LBB4_5608
; %bb.2862:                             ;   in Loop: Header=BB4_2861 Depth=1
	s_and_saveexec_b32 s13, s4
	s_cbranch_execz .LBB4_2864
; %bb.2863:                             ;   in Loop: Header=BB4_2861 Depth=1
	s_trap 2
	ds_read2_b64 v[10:13], v0 offset1:1
	ds_read_b64 v[14:15], v0
	v_add_co_u32 v16, vcc_lo, v36, v18
	v_add_co_ci_u32_e64 v17, null, v37, v19, vcc_lo
	s_waitcnt lgkmcnt(1)
	v_add_co_u32 v10, vcc_lo, v10, v16
	v_add_co_ci_u32_e64 v11, null, v11, v17, vcc_lo
	s_waitcnt lgkmcnt(0)
	v_add_co_u32 v34, vcc_lo, v14, v16
	v_add_co_ci_u32_e64 v48, null, v15, v17, vcc_lo
	v_cmp_ne_u64_e32 vcc_lo, 0, v[14:15]
	v_add_co_u32 v12, s12, v12, v16
	v_add_co_ci_u32_e64 v13, null, v13, v17, s12
	v_cndmask_b32_e32 v15, 0, v48, vcc_lo
	v_cndmask_b32_e32 v14, 0, v34, vcc_lo
	ds_write_b64 v0, v[10:11]
	ds_write_b64 v0, v[12:13]
	;; [unrolled: 1-line block ×3, first 2 shown]
.LBB4_2864:                             ;   in Loop: Header=BB4_2861 Depth=1
	s_or_b32 exec_lo, exec_lo, s13
	v_and_b32_e32 v10, 4, v68
	s_mov_b32 s13, exec_lo
	v_cmpx_ne_u32_e32 0, v10
	s_cbranch_execz .LBB4_2886
; %bb.2865:                             ;   in Loop: Header=BB4_2861 Depth=1
	s_waitcnt lgkmcnt(0)
	v_add_co_u32 v10, vcc_lo, v8, 1
	v_add_co_ci_u32_e64 v11, null, 0, v9, vcc_lo
	s_mov_b32 s25, exec_lo
	s_waitcnt vmcnt(0)
	v_cmpx_lt_u64_e64 v[28:29], v[10:11]
	s_cbranch_execz .LBB4_2877
; %bb.2866:                             ;   in Loop: Header=BB4_2861 Depth=1
	v_and_b32_e32 v9, 64, v68
	s_mov_b32 s26, 0
	s_mov_b32 s40, 0
                                        ; implicit-def: $sgpr27
                                        ; implicit-def: $sgpr28
                                        ; implicit-def: $sgpr29
	v_cmp_eq_u32_e32 vcc_lo, 0, v9
	s_branch .LBB4_2870
.LBB4_2867:                             ;   in Loop: Header=BB4_2870 Depth=2
	s_waitcnt vmcnt(0) lgkmcnt(0)
	v_cmp_ge_u64_e64 s12, v[28:29], v[10:11]
	s_or_b32 s43, s43, exec_lo
	s_orn2_b32 s42, s12, exec_lo
.LBB4_2868:                             ;   in Loop: Header=BB4_2870 Depth=2
	s_or_b32 exec_lo, exec_lo, s45
	s_andn2_b32 s12, s29, exec_lo
	s_and_b32 s29, s43, exec_lo
	s_andn2_b32 s28, s28, exec_lo
	s_and_b32 s42, s42, exec_lo
	s_or_b32 s29, s12, s29
	s_or_b32 s28, s28, s42
.LBB4_2869:                             ;   in Loop: Header=BB4_2870 Depth=2
	s_or_b32 exec_lo, exec_lo, s41
	s_and_b32 s12, exec_lo, s28
	s_or_b32 s26, s12, s26
	s_andn2_b32 s12, s27, exec_lo
	s_and_b32 s27, s29, exec_lo
	s_or_b32 s27, s12, s27
	s_andn2_b32 exec_lo, exec_lo, s26
	s_cbranch_execz .LBB4_2874
.LBB4_2870:                             ;   Parent Loop BB4_2861 Depth=1
                                        ; =>  This Inner Loop Header: Depth=2
	s_sleep 1
	s_waitcnt vmcnt(0) lgkmcnt(0)
	flat_load_dwordx2 v[28:29], v[22:23] glc dlc
	s_or_b32 s29, s29, exec_lo
	s_or_b32 s28, s28, exec_lo
                                        ; implicit-def: $vgpr9
	s_and_saveexec_b32 s41, vcc_lo
	s_cbranch_execz .LBB4_2869
; %bb.2871:                             ;   in Loop: Header=BB4_2870 Depth=2
	s_cmpk_lt_i32 s40, 0x270f
	s_mov_b32 s42, -1
	s_cselect_b32 s44, -1, 0
	s_cmpk_gt_i32 s40, 0x270e
	s_cbranch_scc0 .LBB4_2873
; %bb.2872:                             ;   in Loop: Header=BB4_2870 Depth=2
	s_trap 2
	ds_read_b64 v[12:13], v0
	s_andn2_b32 s40, s44, exec_lo
	s_mov_b32 s43, 0
	s_waitcnt vmcnt(0) lgkmcnt(0)
	s_waitcnt_vscnt null, 0x0
	flat_load_dword v9, v[12:13] glc dlc
	s_waitcnt vmcnt(0) lgkmcnt(0)
	buffer_gl1_inv
	buffer_gl0_inv
	v_cmp_eq_u32_e64 s12, 0, v9
	s_and_b32 s12, s12, exec_lo
	s_or_b32 s44, s40, s12
	s_mov_b32 s40, 0
	s_and_saveexec_b32 s45, s44
	s_cbranch_execz .LBB4_2868
	s_branch .LBB4_2867
.LBB4_2873:                             ;   in Loop: Header=BB4_2870 Depth=2
	s_add_i32 s40, s40, 1
	s_mov_b32 s43, -1
                                        ; implicit-def: $vgpr9
	s_and_saveexec_b32 s45, s44
	s_cbranch_execz .LBB4_2868
	s_branch .LBB4_2867
.LBB4_2874:                             ;   in Loop: Header=BB4_2861 Depth=1
	s_or_b32 exec_lo, exec_lo, s26
	s_xor_b32 s12, s27, -1
	s_and_saveexec_b32 s26, s12
	s_xor_b32 s12, exec_lo, s26
	s_cbranch_execz .LBB4_2876
; %bb.2875:                             ;   in Loop: Header=BB4_2861 Depth=1
	v_or_b32_e32 v68, 64, v68
	s_waitcnt vmcnt(0) lgkmcnt(0)
	s_waitcnt_vscnt null, 0x0
	ds_write_b32 v0, v9
	s_trap 2
.LBB4_2876:                             ;   in Loop: Header=BB4_2861 Depth=1
	s_or_b32 exec_lo, exec_lo, s12
.LBB4_2877:                             ;   in Loop: Header=BB4_2861 Depth=1
	s_or_b32 exec_lo, exec_lo, s25
	v_and_b32_e32 v9, 0x100, v68
	v_and_b32_e32 v14, 7, v8
	s_mov_b32 s12, -1
	;;#ASMSTART
	s_wakeup
	;;#ASMEND
	v_cmp_ne_u32_e32 vcc_lo, 0, v9
                                        ; implicit-def: $vgpr8_vgpr9
	s_and_saveexec_b32 s25, vcc_lo
	s_cbranch_execz .LBB4_2881
; %bb.2878:                             ;   in Loop: Header=BB4_2861 Depth=1
	v_mad_u64_u32 v[12:13], null, v14, 24, v[6:7]
	flat_load_dword v8, v[12:13]
	s_waitcnt vmcnt(0) lgkmcnt(0)
	v_cmp_eq_u32_e64 s12, 1, v8
	v_cmp_ne_u32_e32 vcc_lo, 1, v8
                                        ; implicit-def: $vgpr8_vgpr9
	s_and_saveexec_b32 s26, s12
	s_cbranch_execz .LBB4_2880
; %bb.2879:                             ;   in Loop: Header=BB4_2861 Depth=1
	flat_load_dword v8, v[12:13] offset:4 glc dlc
	s_waitcnt vmcnt(0) lgkmcnt(0)
	v_ashrrev_i32_e32 v9, 31, v8
.LBB4_2880:                             ;   in Loop: Header=BB4_2861 Depth=1
	s_or_b32 exec_lo, exec_lo, s26
	s_orn2_b32 s12, vcc_lo, exec_lo
.LBB4_2881:                             ;   in Loop: Header=BB4_2861 Depth=1
	s_or_b32 exec_lo, exec_lo, s25
	s_and_saveexec_b32 s25, s12
; %bb.2882:                             ;   in Loop: Header=BB4_2861 Depth=1
	v_mad_i64_i32 v[8:9], null, v14, v69, 0
; %bb.2883:                             ;   in Loop: Header=BB4_2861 Depth=1
	s_or_b32 exec_lo, exec_lo, s25
	v_add_co_u32 v8, vcc_lo, v24, v8
	v_and_b32_e32 v12, 0x2000, v68
	v_add_co_ci_u32_e64 v9, null, v25, v9, vcc_lo
	s_mov_b32 s12, exec_lo
	ds_write_b64 v0, v[8:9] offset:728
	v_cmpx_ne_u32_e32 0, v12
	s_cbranch_execz .LBB4_2885
; %bb.2884:                             ;   in Loop: Header=BB4_2861 Depth=1
	ds_read_b64 v[8:9], v0 offset:872
	s_waitcnt lgkmcnt(0)
	v_add_co_u32 v8, vcc_lo, v8, 1
	v_add_co_ci_u32_e64 v9, null, 0, v9, vcc_lo
	ds_write_b64 v0, v[8:9] offset:872
.LBB4_2885:                             ;   in Loop: Header=BB4_2861 Depth=1
	s_or_b32 exec_lo, exec_lo, s12
	v_mov_b32_e32 v8, v10
	v_mov_b32_e32 v9, v11
.LBB4_2886:                             ;   in Loop: Header=BB4_2861 Depth=1
	s_or_b32 exec_lo, exec_lo, s13
	s_and_saveexec_b32 s12, s6
	s_cbranch_execz .LBB4_2905
; %bb.2887:                             ;   in Loop: Header=BB4_2861 Depth=1
	s_and_saveexec_b32 s13, s19
	s_xor_b32 s13, exec_lo, s13
	s_cbranch_execz .LBB4_2902
; %bb.2888:                             ;   in Loop: Header=BB4_2861 Depth=1
	s_and_saveexec_b32 s25, s7
	s_cbranch_execz .LBB4_2901
; %bb.2889:                             ;   in Loop: Header=BB4_2861 Depth=1
	s_mov_b32 s27, exec_lo
	s_mov_b32 s26, exec_lo
	v_mbcnt_lo_u32_b32 v10, s27, 0
	s_waitcnt vmcnt(0) lgkmcnt(0)
	s_waitcnt_vscnt null, 0x0
	buffer_gl1_inv
	buffer_gl0_inv
	v_cmpx_eq_u32_e32 0, v10
	s_cbranch_execz .LBB4_2891
; %bb.2890:                             ;   in Loop: Header=BB4_2861 Depth=1
	s_bcnt1_i32_b32 s27, s27
	v_mov_b32_e32 v34, s27
	ds_add_u64 v0, v[34:35]
	s_trap 2
.LBB4_2891:                             ;   in Loop: Header=BB4_2861 Depth=1
	s_or_b32 exec_lo, exec_lo, s26
	s_trap 2
	ds_read_b64 v[10:11], v0
	s_waitcnt lgkmcnt(0)
	buffer_gl0_inv
	v_add_co_u32 v26, vcc_lo, v26, v70
	v_add_co_ci_u32_e64 v27, null, 0, v27, vcc_lo
	s_mov_b32 s26, exec_lo
	v_cmpx_lt_u64_e64 v[10:11], v[26:27]
	s_cbranch_execz .LBB4_2900
; %bb.2892:                             ;   in Loop: Header=BB4_2861 Depth=1
	s_mov_b32 s27, 0
	s_mov_b32 s40, 0
                                        ; implicit-def: $sgpr28
                                        ; implicit-def: $sgpr29
	s_inst_prefetch 0x1
	s_branch .LBB4_2894
	.p2align	6
.LBB4_2893:                             ;   in Loop: Header=BB4_2894 Depth=2
	s_or_b32 exec_lo, exec_lo, s42
	s_and_b32 s41, exec_lo, s43
	s_or_b32 s27, s41, s27
	s_andn2_b32 s28, s28, exec_lo
	s_and_b32 s41, s29, exec_lo
	s_or_b32 s28, s28, s41
	s_andn2_b32 exec_lo, exec_lo, s27
	s_cbranch_execz .LBB4_2898
.LBB4_2894:                             ;   Parent Loop BB4_2861 Depth=1
                                        ; =>  This Inner Loop Header: Depth=2
	s_add_i32 s40, s40, 1
	s_cmpk_lg_i32 s40, 0x2710
	s_cselect_b32 s41, -1, 0
	s_and_b32 vcc_lo, exec_lo, s41
	s_cbranch_vccz .LBB4_2896
; %bb.2895:                             ;   in Loop: Header=BB4_2894 Depth=2
	s_mov_b32 s43, -1
	s_or_b32 s29, s29, exec_lo
	s_and_saveexec_b32 s42, s41
	s_cbranch_execz .LBB4_2893
	s_branch .LBB4_2897
	.p2align	6
.LBB4_2896:                             ;   in Loop: Header=BB4_2894 Depth=2
	s_trap 2
	ds_read_b64 v[10:11], v0
	s_andn2_b32 s41, s41, exec_lo
	s_mov_b32 s40, 0
	s_waitcnt lgkmcnt(0)
	flat_load_dword v10, v[10:11] glc dlc
	s_waitcnt vmcnt(0) lgkmcnt(0)
	buffer_gl1_inv
	buffer_gl0_inv
	v_cmp_eq_u32_e32 vcc_lo, 0, v10
	s_and_b32 s42, vcc_lo, exec_lo
	s_or_b32 s41, s41, s42
	s_mov_b32 s43, -1
	s_or_b32 s29, s29, exec_lo
	s_and_saveexec_b32 s42, s41
	s_cbranch_execz .LBB4_2893
.LBB4_2897:                             ;   in Loop: Header=BB4_2894 Depth=2
	s_sleep 1
	s_trap 2
	ds_read_b64 v[10:11], v0
	s_waitcnt lgkmcnt(0)
	buffer_gl0_inv
	s_andn2_b32 s29, s29, exec_lo
	v_cmp_ge_u64_e32 vcc_lo, v[10:11], v[26:27]
	s_orn2_b32 s43, vcc_lo, exec_lo
	s_branch .LBB4_2893
.LBB4_2898:                             ;   in Loop: Header=BB4_2861 Depth=1
	s_inst_prefetch 0x2
	s_or_b32 exec_lo, exec_lo, s27
	s_and_saveexec_b32 s27, s28
	s_xor_b32 s27, exec_lo, s27
	s_cbranch_execz .LBB4_2900
; %bb.2899:                             ;   in Loop: Header=BB4_2861 Depth=1
	ds_write_b32 v0, v83
	s_trap 2
.LBB4_2900:                             ;   in Loop: Header=BB4_2861 Depth=1
	s_or_b32 exec_lo, exec_lo, s26
	;;#ASMSTART
	s_wakeup
	;;#ASMEND
.LBB4_2901:                             ;   in Loop: Header=BB4_2861 Depth=1
	s_or_b32 exec_lo, exec_lo, s25
.LBB4_2902:                             ;   in Loop: Header=BB4_2861 Depth=1
	s_andn2_saveexec_b32 s13, s13
	s_cbranch_execz .LBB4_2904
; %bb.2903:                             ;   in Loop: Header=BB4_2861 Depth=1
	s_waitcnt vmcnt(0) lgkmcnt(0)
	s_waitcnt_vscnt null, 0x0
	buffer_gl1_inv
	buffer_gl0_inv
	s_barrier
.LBB4_2904:                             ;   in Loop: Header=BB4_2861 Depth=1
	s_or_b32 exec_lo, exec_lo, s13
.LBB4_2905:                             ;   in Loop: Header=BB4_2861 Depth=1
	s_or_b32 exec_lo, exec_lo, s12
	s_trap 2
	ds_read_b32 v10, v0
	v_and_b32_e32 v11, 0x4000, v68
	v_cmp_ne_u32_e32 vcc_lo, 0, v11
	s_and_b32 s13, s22, vcc_lo
	s_and_saveexec_b32 s12, s13
	s_cbranch_execz .LBB4_2924
; %bb.2906:                             ;   in Loop: Header=BB4_2861 Depth=1
	s_and_saveexec_b32 s13, s19
	s_xor_b32 s13, exec_lo, s13
	s_cbranch_execz .LBB4_2921
; %bb.2907:                             ;   in Loop: Header=BB4_2861 Depth=1
	s_and_saveexec_b32 s25, s7
	s_cbranch_execz .LBB4_2920
; %bb.2908:                             ;   in Loop: Header=BB4_2861 Depth=1
	s_mov_b32 s27, exec_lo
	s_mov_b32 s26, exec_lo
	v_mbcnt_lo_u32_b32 v11, s27, 0
	s_waitcnt vmcnt(0) lgkmcnt(0)
	s_waitcnt_vscnt null, 0x0
	buffer_gl1_inv
	buffer_gl0_inv
	v_cmpx_eq_u32_e32 0, v11
	s_cbranch_execz .LBB4_2910
; %bb.2909:                             ;   in Loop: Header=BB4_2861 Depth=1
	s_bcnt1_i32_b32 s27, s27
	v_mov_b32_e32 v34, s27
	ds_add_u64 v0, v[34:35]
	s_trap 2
.LBB4_2910:                             ;   in Loop: Header=BB4_2861 Depth=1
	s_or_b32 exec_lo, exec_lo, s26
	s_trap 2
	ds_read_b64 v[11:12], v0
	s_waitcnt lgkmcnt(0)
	buffer_gl0_inv
	v_add_co_u32 v26, vcc_lo, v26, v70
	v_add_co_ci_u32_e64 v27, null, 0, v27, vcc_lo
	s_mov_b32 s26, exec_lo
	v_cmpx_lt_u64_e64 v[11:12], v[26:27]
	s_cbranch_execz .LBB4_2919
; %bb.2911:                             ;   in Loop: Header=BB4_2861 Depth=1
	s_mov_b32 s27, 0
	s_mov_b32 s40, 0
                                        ; implicit-def: $sgpr28
                                        ; implicit-def: $sgpr29
	s_inst_prefetch 0x1
	s_branch .LBB4_2913
	.p2align	6
.LBB4_2912:                             ;   in Loop: Header=BB4_2913 Depth=2
	s_or_b32 exec_lo, exec_lo, s42
	s_and_b32 s41, exec_lo, s43
	s_or_b32 s27, s41, s27
	s_andn2_b32 s28, s28, exec_lo
	s_and_b32 s41, s29, exec_lo
	s_or_b32 s28, s28, s41
	s_andn2_b32 exec_lo, exec_lo, s27
	s_cbranch_execz .LBB4_2917
.LBB4_2913:                             ;   Parent Loop BB4_2861 Depth=1
                                        ; =>  This Inner Loop Header: Depth=2
	s_add_i32 s40, s40, 1
	s_cmpk_lg_i32 s40, 0x2710
	s_cselect_b32 s41, -1, 0
	s_and_b32 vcc_lo, exec_lo, s41
	s_cbranch_vccz .LBB4_2915
; %bb.2914:                             ;   in Loop: Header=BB4_2913 Depth=2
	s_mov_b32 s43, -1
	s_or_b32 s29, s29, exec_lo
	s_and_saveexec_b32 s42, s41
	s_cbranch_execz .LBB4_2912
	s_branch .LBB4_2916
	.p2align	6
.LBB4_2915:                             ;   in Loop: Header=BB4_2913 Depth=2
	s_trap 2
	ds_read_b64 v[11:12], v0
	s_andn2_b32 s41, s41, exec_lo
	s_mov_b32 s40, 0
	s_waitcnt lgkmcnt(0)
	flat_load_dword v11, v[11:12] glc dlc
	s_waitcnt vmcnt(0) lgkmcnt(0)
	buffer_gl1_inv
	buffer_gl0_inv
	v_cmp_eq_u32_e32 vcc_lo, 0, v11
	s_and_b32 s42, vcc_lo, exec_lo
	s_or_b32 s41, s41, s42
	s_mov_b32 s43, -1
	s_or_b32 s29, s29, exec_lo
	s_and_saveexec_b32 s42, s41
	s_cbranch_execz .LBB4_2912
.LBB4_2916:                             ;   in Loop: Header=BB4_2913 Depth=2
	s_sleep 1
	s_trap 2
	ds_read_b64 v[11:12], v0
	s_waitcnt lgkmcnt(0)
	buffer_gl0_inv
	s_andn2_b32 s29, s29, exec_lo
	v_cmp_ge_u64_e32 vcc_lo, v[11:12], v[26:27]
	s_orn2_b32 s43, vcc_lo, exec_lo
	s_branch .LBB4_2912
.LBB4_2917:                             ;   in Loop: Header=BB4_2861 Depth=1
	s_inst_prefetch 0x2
	s_or_b32 exec_lo, exec_lo, s27
	s_and_saveexec_b32 s27, s28
	s_xor_b32 s27, exec_lo, s27
	s_cbranch_execz .LBB4_2919
; %bb.2918:                             ;   in Loop: Header=BB4_2861 Depth=1
	ds_write_b32 v0, v83
	s_trap 2
.LBB4_2919:                             ;   in Loop: Header=BB4_2861 Depth=1
	s_or_b32 exec_lo, exec_lo, s26
	;;#ASMSTART
	s_wakeup
	;;#ASMEND
.LBB4_2920:                             ;   in Loop: Header=BB4_2861 Depth=1
	s_or_b32 exec_lo, exec_lo, s25
.LBB4_2921:                             ;   in Loop: Header=BB4_2861 Depth=1
	s_andn2_saveexec_b32 s13, s13
	s_cbranch_execz .LBB4_2923
; %bb.2922:                             ;   in Loop: Header=BB4_2861 Depth=1
	s_waitcnt vmcnt(0) lgkmcnt(0)
	s_waitcnt_vscnt null, 0x0
	buffer_gl1_inv
	buffer_gl0_inv
	s_barrier
.LBB4_2923:                             ;   in Loop: Header=BB4_2861 Depth=1
	s_or_b32 exec_lo, exec_lo, s13
.LBB4_2924:                             ;   in Loop: Header=BB4_2861 Depth=1
	s_or_b32 exec_lo, exec_lo, s12
	s_trap 2
	ds_read_b64 v[48:49], v0
	v_min_u32_e32 v39, v39, v38
	s_waitcnt lgkmcnt(0)
	v_cmp_eq_u64_e32 vcc_lo, 0, v[48:49]
	s_cbranch_vccnz .LBB4_2932
; %bb.2925:                             ;   in Loop: Header=BB4_2861 Depth=1
	s_trap 2
	ds_read_b64 v[50:51], v0
	s_waitcnt lgkmcnt(0)
	v_cmp_eq_u64_e32 vcc_lo, 0, v[50:51]
	s_cbranch_vccnz .LBB4_2932
; %bb.2926:                             ;   in Loop: Header=BB4_2861 Depth=1
	s_mov_b32 s12, -1
	s_and_saveexec_b32 s13, s10
	s_cbranch_execz .LBB4_2928
; %bb.2927:                             ;   in Loop: Header=BB4_2861 Depth=1
	ds_read_b32 v11, v0 offset:720
	s_waitcnt lgkmcnt(0)
	v_and_b32_e32 v11, 15, v11
	v_cmp_eq_u32_e32 vcc_lo, 0, v11
	s_orn2_b32 s12, vcc_lo, exec_lo
.LBB4_2928:                             ;   in Loop: Header=BB4_2861 Depth=1
	s_or_b32 exec_lo, exec_lo, s13
	s_and_saveexec_b32 s13, s11
	s_cbranch_execz .LBB4_2930
; %bb.2929:                             ;   in Loop: Header=BB4_2861 Depth=1
	ds_read_b32 v11, v0 offset:784
	s_waitcnt lgkmcnt(0)
	v_and_b32_e32 v11, 15, v11
	v_cmp_eq_u32_e32 vcc_lo, 0, v11
	s_and_b32 s25, s12, vcc_lo
	s_andn2_b32 s12, s12, exec_lo
	s_and_b32 s25, s25, exec_lo
	s_or_b32 s12, s12, s25
.LBB4_2930:                             ;   in Loop: Header=BB4_2861 Depth=1
	s_or_b32 exec_lo, exec_lo, s13
	v_cmp_eq_u32_e32 vcc_lo, 0, v10
	s_xor_b32 s12, s12, -1
	v_mov_b32_e32 v52, 0
	v_cndmask_b32_e64 v11, 0, 1, s12
	v_mov_b32_e32 v54, v0
	v_cndmask_b32_e32 v34, 0, v39, vcc_lo
	s_mov_b32 s12, -1
	v_cmp_ne_u32_e32 vcc_lo, 0, v11
	v_mov_b32_e32 v53, v34
	s_cbranch_vccz .LBB4_2933
; %bb.2931:                             ;   in Loop: Header=BB4_2861 Depth=1
	s_and_saveexec_b32 s13, s12
	s_cbranch_execnz .LBB4_4880
	s_branch .LBB4_5584
.LBB4_2932:                             ;   in Loop: Header=BB4_2861 Depth=1
	s_mov_b32 s12, 0
	s_and_saveexec_b32 s13, s6
	s_cbranch_execnz .LBB4_5585
	s_branch .LBB4_5603
.LBB4_2933:                             ;   in Loop: Header=BB4_2861 Depth=1
	v_lshrrev_b32_e32 v10, 10, v34
	s_mov_b32 s13, exec_lo
	v_sub_nc_u32_e32 v98, v10, v66
	v_cmpx_lt_i32_e32 0, v98
	s_cbranch_execz .LBB4_4225
; %bb.2934:                             ;   in Loop: Header=BB4_2861 Depth=1
	s_trap 2
	ds_read_b64 v[10:11], v0
	v_add_co_u32 v52, vcc_lo, v48, v71
	v_add_co_ci_u32_e64 v53, null, 0, v49, vcc_lo
	v_add_co_u32 v54, vcc_lo, v50, v71
	v_add_co_ci_u32_e64 v55, null, 0, v51, vcc_lo
	s_waitcnt lgkmcnt(0)
	v_readfirstlane_b32 s12, v10
	v_add_co_u32 v64, vcc_lo, v10, v71
	v_add_co_ci_u32_e64 v65, null, 0, v11, vcc_lo
	s_and_b32 s26, s12, 7
	s_bfe_u32 s29, s12, 0x40003
	s_flbit_i32_b32 s25, s26
	s_min_u32 s27, s25, 32
	s_mov_b32 s25, 0
	s_sub_i32 s28, s27, 28
	s_sub_i32 s27, 29, s27
	s_lshl_b32 s28, s12, s28
	s_and_b32 s28, s28, 7
	s_cmp_eq_u32 s29, 0
	s_cselect_b32 s27, s27, s29
	s_cselect_b32 s26, s28, s26
	s_lshl_b32 s28, s12, 24
	s_lshl_b32 s27, s27, 23
	s_and_b32 s28, s28, 0x80000000
	s_add_i32 s27, s27, 0x3b800000
	s_lshl_b32 s29, s26, 20
	s_or_b32 s27, s28, s27
	s_and_b32 s26, s12, 0xff
	s_or_b32 s27, s27, s29
	s_and_b32 s28, 0xffff, s26
	s_branch .LBB4_2938
.LBB4_2935:                             ;   in Loop: Header=BB4_2938 Depth=2
	s_or_b32 exec_lo, exec_lo, s12
	v_lshrrev_b32_e32 v113, 20, v113
	v_min_i32_e32 v40, 15, v102
	v_cmp_gt_i32_e32 vcc_lo, 16, v102
	v_and_b32_sdwa v13, v13, v85 dst_sel:DWORD dst_unused:UNUSED_PAD src0_sel:BYTE_3 src1_sel:DWORD
	v_lshlrev_b32_e32 v40, 3, v40
	v_cndmask_b32_e32 v113, 7, v113, vcc_lo
	v_and_b32_e32 v40, 0xf8, v40
	v_and_b32_e32 v45, 7, v113
	v_or_b32_e32 v102, v102, v113
	v_or3_b32 v13, v13, v40, v45
	v_cmp_ne_u32_e32 vcc_lo, 0, v102
	v_lshlrev_b32_e32 v13, 8, v13
	v_cndmask_b32_e32 v102, 0, v13, vcc_lo
.LBB4_2936:                             ;   in Loop: Header=BB4_2938 Depth=2
	s_or_b32 exec_lo, exec_lo, s40
.LBB4_2937:                             ;   in Loop: Header=BB4_2938 Depth=2
	s_or_b32 exec_lo, exec_lo, s29
	v_or_b32_sdwa v13, v15, v59 dst_sel:WORD_1 dst_unused:UNUSED_PAD src0_sel:DWORD src1_sel:DWORD
	v_or_b32_sdwa v15, v14, v115 dst_sel:WORD_1 dst_unused:UNUSED_PAD src0_sel:DWORD src1_sel:DWORD
	v_or_b32_sdwa v16, v16, v60 dst_sel:WORD_1 dst_unused:UNUSED_PAD src0_sel:DWORD src1_sel:DWORD
	v_or_b32_sdwa v11, v11, v117 dst_sel:WORD_1 dst_unused:UNUSED_PAD src0_sel:DWORD src1_sel:DWORD
	v_or_b32_sdwa v10, v10, v41 dst_sel:WORD_1 dst_unused:UNUSED_PAD src0_sel:DWORD src1_sel:DWORD
	v_or3_b32 v14, v47, v43, v13
	v_or3_b32 v13, v103, v99, v15
	;; [unrolled: 1-line block ×3, first 2 shown]
	v_or_b32_sdwa v16, v17, v46 dst_sel:WORD_1 dst_unused:UNUSED_PAD src0_sel:DWORD src1_sel:DWORD
	v_or_b32_sdwa v12, v12, v112 dst_sel:WORD_1 dst_unused:UNUSED_PAD src0_sel:DWORD src1_sel:DWORD
	;; [unrolled: 1-line block ×3, first 2 shown]
	v_sub_nc_u32_e32 v98, v98, v70
	v_or3_b32 v113, v42, v119, v11
	v_or3_b32 v16, v61, v57, v16
	;; [unrolled: 1-line block ×5, first 2 shown]
	v_add_co_u32 v52, vcc_lo, v52, v80
	v_add_co_ci_u32_e64 v53, null, 0, v53, vcc_lo
	v_add_co_u32 v64, vcc_lo, v64, v80
	global_store_dwordx4 v[54:55], v[13:16], off glc slc
	global_store_dwordx4 v[54:55], v[112:115], off offset:512 glc slc
	v_add_co_ci_u32_e64 v65, null, 0, v65, vcc_lo
	v_cmp_gt_i32_e32 vcc_lo, 1, v98
	v_add_co_u32 v54, s12, v54, v80
	v_add_co_ci_u32_e64 v55, null, 0, v55, s12
	s_or_b32 s25, vcc_lo, s25
	s_andn2_b32 exec_lo, exec_lo, s25
	s_cbranch_execz .LBB4_4224
.LBB4_2938:                             ;   Parent Loop BB4_2861 Depth=1
                                        ; =>  This Inner Loop Header: Depth=2
	s_cmpk_lt_i32 s26, 0x80
	s_cbranch_scc1 .LBB4_2942
; %bb.2939:                             ;   in Loop: Header=BB4_2938 Depth=2
	s_cmpk_eq_i32 s28, 0x80
	s_mov_b32 s12, -1
	s_cbranch_scc0 .LBB4_2941
; %bb.2940:                             ;   in Loop: Header=BB4_2938 Depth=2
	s_mov_b32 s12, 0
.LBB4_2941:                             ;   in Loop: Header=BB4_2938 Depth=2
	s_mov_b32 s29, 0x7f800001
	s_branch .LBB4_2944
.LBB4_2942:                             ;   in Loop: Header=BB4_2938 Depth=2
	s_mov_b32 s12, 0
	s_mov_b32 s29, 0x7f800001
	s_cbranch_execz .LBB4_2944
; %bb.2943:                             ;   in Loop: Header=BB4_2938 Depth=2
	s_cmp_lg_u32 s28, 0
	s_mov_b32 s29, 0
	s_cselect_b32 s12, -1, 0
.LBB4_2944:                             ;   in Loop: Header=BB4_2938 Depth=2
	s_andn2_b32 vcc_lo, exec_lo, s12
	s_cbranch_vccnz .LBB4_2946
; %bb.2945:                             ;   in Loop: Header=BB4_2938 Depth=2
	s_mov_b32 s29, s27
.LBB4_2946:                             ;   in Loop: Header=BB4_2938 Depth=2
	global_load_dwordx4 v[10:13], v[52:53], off slc
	s_mov_b32 s12, 0
	s_waitcnt vmcnt(0)
	v_cmp_gt_i16_sdwa s40, v10, v84 src0_sel:BYTE_0 src1_sel:DWORD
	s_and_saveexec_b32 s41, s40
	s_xor_b32 s40, exec_lo, s41
	s_cbranch_execz .LBB4_4032
; %bb.2947:                             ;   in Loop: Header=BB4_2938 Depth=2
	v_cmp_eq_u16_sdwa s42, v10, v85 src0_sel:BYTE_0 src1_sel:DWORD
	s_mov_b32 s12, -1
	s_and_saveexec_b32 s41, s42
; %bb.2948:                             ;   in Loop: Header=BB4_2938 Depth=2
	s_xor_b32 s12, exec_lo, -1
; %bb.2949:                             ;   in Loop: Header=BB4_2938 Depth=2
	s_or_b32 exec_lo, exec_lo, s41
	s_and_b32 s12, s12, exec_lo
	s_or_saveexec_b32 s40, s40
	v_mov_b32_e32 v14, 0x7f800001
	s_xor_b32 exec_lo, exec_lo, s40
	s_cbranch_execnz .LBB4_4033
.LBB4_2950:                             ;   in Loop: Header=BB4_2938 Depth=2
	s_or_b32 exec_lo, exec_lo, s40
	s_and_saveexec_b32 s40, s12
	s_cbranch_execz .LBB4_2952
.LBB4_2951:                             ;   in Loop: Header=BB4_2938 Depth=2
	v_and_b32_e32 v14, 7, v10
	v_bfe_u32 v17, v10, 3, 4
	v_lshlrev_b32_e32 v99, 24, v10
	v_ffbh_u32_e32 v15, v14
	v_cmp_eq_u32_e32 vcc_lo, 0, v17
	v_min_u32_e32 v15, 32, v15
	v_subrev_nc_u32_e32 v16, 28, v15
	v_sub_nc_u32_e32 v15, 29, v15
	v_lshlrev_b32_e32 v16, v16, v10
	v_cndmask_b32_e32 v15, v17, v15, vcc_lo
	v_and_b32_e32 v16, 7, v16
	v_lshl_add_u32 v15, v15, 23, 0x3b800000
	v_cndmask_b32_e32 v14, v14, v16, vcc_lo
	v_and_b32_e32 v16, 0x80000000, v99
	v_lshlrev_b32_e32 v14, 20, v14
	v_or3_b32 v14, v16, v15, v14
.LBB4_2952:                             ;   in Loop: Header=BB4_2938 Depth=2
	s_or_b32 exec_lo, exec_lo, s40
	v_mul_f32_e32 v14, s29, v14
	v_mov_b32_e32 v99, 0x80
	s_mov_b32 s40, exec_lo
	v_and_b32_e32 v15, 0x7f800000, v14
	v_cmpx_ne_u32_e32 0x7f800000, v15
	s_cbranch_execz .LBB4_2960
; %bb.2953:                             ;   in Loop: Header=BB4_2938 Depth=2
	v_mov_b32_e32 v99, 0
	s_mov_b32 s41, exec_lo
	v_cmpx_ne_u32_e32 0, v14
	s_cbranch_execz .LBB4_2959
; %bb.2954:                             ;   in Loop: Header=BB4_2938 Depth=2
	v_bfe_u32 v15, v14, 23, 8
	v_and_b32_e32 v16, 0x7fffff, v14
	v_sub_nc_u32_e32 v17, 0x78, v15
	v_cmp_gt_u32_e32 vcc_lo, 0x79, v15
	v_or_b32_e32 v99, 0x800000, v16
	v_cndmask_b32_e32 v17, 0, v17, vcc_lo
	v_cmp_eq_u32_e32 vcc_lo, 0, v15
	v_add_nc_u32_e32 v15, 0xffffff89, v15
	v_cndmask_b32_e64 v17, v17, 0x77, vcc_lo
	v_cndmask_b32_e32 v16, v99, v16, vcc_lo
	v_cndmask_b32_e64 v15, v15, 0xffffff8a, vcc_lo
	v_lshl_add_u32 v99, 0x100000, v17, -1
	v_lshrrev_b32_e32 v100, v17, v16
	v_lshlrev_b32_e64 v102, v17, 0x80000
	v_add_nc_u32_e32 v17, v17, v15
	v_and_b32_e32 v16, v99, v16
	v_bfe_u32 v101, v100, 20, 1
	v_cmp_eq_u32_e64 s12, v16, v102
	v_add_nc_u32_e32 v99, -1, v101
	v_cndmask_b32_e64 v16, 0, v99, s12
	v_lshrrev_b32_e32 v99, 23, v100
	s_mov_b32 s12, exec_lo
	v_add_nc_u32_e32 v16, v16, v100
	v_xor_b32_e32 v99, 1, v99
	v_and_b32_e32 v15, 0xfffff, v16
	v_add_nc_u32_e32 v16, v15, v100
                                        ; implicit-def: $vgpr15
	v_cmpx_ne_u32_e64 v17, v99
	s_xor_b32 s12, exec_lo, s12
; %bb.2955:                             ;   in Loop: Header=BB4_2938 Depth=2
	v_cmp_lt_u32_e32 vcc_lo, 0xffffff, v16
	v_sub_nc_u32_e32 v15, v17, v99
	v_cndmask_b32_e64 v17, 0, 1, vcc_lo
	v_add_co_ci_u32_e64 v15, null, 0, v15, vcc_lo
	v_lshrrev_b32_e32 v16, v17, v16
; %bb.2956:                             ;   in Loop: Header=BB4_2938 Depth=2
	s_andn2_saveexec_b32 s12, s12
; %bb.2957:                             ;   in Loop: Header=BB4_2938 Depth=2
	v_bfe_u32 v15, v16, 23, 1
; %bb.2958:                             ;   in Loop: Header=BB4_2938 Depth=2
	s_or_b32 exec_lo, exec_lo, s12
	v_lshrrev_b32_e32 v16, 20, v16
	v_min_i32_e32 v17, 15, v15
	v_cmp_gt_i32_e32 vcc_lo, 16, v15
	v_and_b32_sdwa v14, v14, v85 dst_sel:DWORD dst_unused:UNUSED_PAD src0_sel:BYTE_3 src1_sel:DWORD
	v_lshlrev_b32_e32 v17, 3, v17
	v_cndmask_b32_e32 v16, 7, v16, vcc_lo
	v_and_b32_e32 v17, 0xf8, v17
	v_and_b32_e32 v99, 7, v16
	v_or_b32_e32 v15, v15, v16
	v_or3_b32 v14, v17, v14, v99
	v_cmp_ne_u32_e32 vcc_lo, 0, v15
	v_cndmask_b32_e32 v99, 0, v14, vcc_lo
.LBB4_2959:                             ;   in Loop: Header=BB4_2938 Depth=2
	s_or_b32 exec_lo, exec_lo, s41
.LBB4_2960:                             ;   in Loop: Header=BB4_2938 Depth=2
	s_or_b32 exec_lo, exec_lo, s40
	v_cmp_gt_i16_sdwa s40, v10, v84 src0_sel:BYTE_1 src1_sel:DWORD
	s_mov_b32 s12, 0
	s_and_saveexec_b32 s41, s40
	s_xor_b32 s40, exec_lo, s41
	s_cbranch_execz .LBB4_4034
; %bb.2961:                             ;   in Loop: Header=BB4_2938 Depth=2
	v_cmp_eq_u16_sdwa s42, v10, v85 src0_sel:BYTE_1 src1_sel:DWORD
	s_mov_b32 s12, -1
	s_and_saveexec_b32 s41, s42
; %bb.2962:                             ;   in Loop: Header=BB4_2938 Depth=2
	s_xor_b32 s12, exec_lo, -1
; %bb.2963:                             ;   in Loop: Header=BB4_2938 Depth=2
	s_or_b32 exec_lo, exec_lo, s41
	s_and_b32 s12, s12, exec_lo
	s_or_saveexec_b32 s40, s40
	v_mov_b32_e32 v14, 0x7f800001
	s_xor_b32 exec_lo, exec_lo, s40
	s_cbranch_execnz .LBB4_4035
.LBB4_2964:                             ;   in Loop: Header=BB4_2938 Depth=2
	s_or_b32 exec_lo, exec_lo, s40
	s_and_saveexec_b32 s40, s12
	s_cbranch_execz .LBB4_2966
.LBB4_2965:                             ;   in Loop: Header=BB4_2938 Depth=2
	v_and_b32_sdwa v14, v86, v10 dst_sel:DWORD dst_unused:UNUSED_PAD src0_sel:DWORD src1_sel:BYTE_1
	v_and_b32_e32 v15, 7, v14
	v_bfe_u32 v100, v14, 3, 4
	v_ffbh_u32_e32 v16, v15
	v_cmp_eq_u32_e32 vcc_lo, 0, v100
	v_min_u32_e32 v16, 32, v16
	v_subrev_nc_u32_e32 v17, 28, v16
	v_sub_nc_u32_e32 v16, 29, v16
	v_lshlrev_b32_e32 v14, v17, v14
	v_lshlrev_b32_sdwa v17, v87, v10 dst_sel:DWORD dst_unused:UNUSED_PAD src0_sel:DWORD src1_sel:BYTE_1
	v_cndmask_b32_e32 v16, v100, v16, vcc_lo
	v_and_b32_e32 v14, 7, v14
	v_lshl_add_u32 v16, v16, 23, 0x3b800000
	v_cndmask_b32_e32 v14, v15, v14, vcc_lo
	v_and_b32_e32 v15, 0x80000000, v17
	v_lshlrev_b32_e32 v14, 20, v14
	v_or3_b32 v14, v15, v16, v14
.LBB4_2966:                             ;   in Loop: Header=BB4_2938 Depth=2
	s_or_b32 exec_lo, exec_lo, s40
	v_mul_f32_e32 v14, s29, v14
	v_mov_b32_e32 v103, 0x8000
	s_mov_b32 s40, exec_lo
	v_and_b32_e32 v15, 0x7f800000, v14
	v_cmpx_ne_u32_e32 0x7f800000, v15
	s_cbranch_execz .LBB4_2974
; %bb.2967:                             ;   in Loop: Header=BB4_2938 Depth=2
	v_mov_b32_e32 v103, 0
	s_mov_b32 s41, exec_lo
	v_cmpx_ne_u32_e32 0, v14
	s_cbranch_execz .LBB4_2973
; %bb.2968:                             ;   in Loop: Header=BB4_2938 Depth=2
	v_bfe_u32 v15, v14, 23, 8
	v_and_b32_e32 v16, 0x7fffff, v14
	v_sub_nc_u32_e32 v17, 0x78, v15
	v_cmp_gt_u32_e32 vcc_lo, 0x79, v15
	v_or_b32_e32 v100, 0x800000, v16
	v_cndmask_b32_e32 v17, 0, v17, vcc_lo
	v_cmp_eq_u32_e32 vcc_lo, 0, v15
	v_add_nc_u32_e32 v15, 0xffffff89, v15
	v_cndmask_b32_e64 v17, v17, 0x77, vcc_lo
	v_cndmask_b32_e32 v16, v100, v16, vcc_lo
	v_cndmask_b32_e64 v15, v15, 0xffffff8a, vcc_lo
	v_lshl_add_u32 v100, 0x100000, v17, -1
	v_lshrrev_b32_e32 v101, v17, v16
	v_lshlrev_b32_e64 v103, v17, 0x80000
	v_add_nc_u32_e32 v17, v17, v15
	v_and_b32_e32 v16, v100, v16
	v_bfe_u32 v102, v101, 20, 1
	v_cmp_eq_u32_e64 s12, v16, v103
	v_add_nc_u32_e32 v100, -1, v102
	v_cndmask_b32_e64 v16, 0, v100, s12
	v_lshrrev_b32_e32 v100, 23, v101
	s_mov_b32 s12, exec_lo
	v_add_nc_u32_e32 v16, v16, v101
	v_xor_b32_e32 v100, 1, v100
	v_and_b32_e32 v15, 0xfffff, v16
	v_add_nc_u32_e32 v16, v15, v101
                                        ; implicit-def: $vgpr15
	v_cmpx_ne_u32_e64 v17, v100
	s_xor_b32 s12, exec_lo, s12
; %bb.2969:                             ;   in Loop: Header=BB4_2938 Depth=2
	v_cmp_lt_u32_e32 vcc_lo, 0xffffff, v16
	v_sub_nc_u32_e32 v15, v17, v100
	v_cndmask_b32_e64 v17, 0, 1, vcc_lo
	v_add_co_ci_u32_e64 v15, null, 0, v15, vcc_lo
	v_lshrrev_b32_e32 v16, v17, v16
; %bb.2970:                             ;   in Loop: Header=BB4_2938 Depth=2
	s_andn2_saveexec_b32 s12, s12
; %bb.2971:                             ;   in Loop: Header=BB4_2938 Depth=2
	v_bfe_u32 v15, v16, 23, 1
; %bb.2972:                             ;   in Loop: Header=BB4_2938 Depth=2
	s_or_b32 exec_lo, exec_lo, s12
	v_lshrrev_b32_e32 v16, 20, v16
	v_min_i32_e32 v17, 15, v15
	v_cmp_gt_i32_e32 vcc_lo, 16, v15
	v_and_b32_sdwa v14, v14, v85 dst_sel:DWORD dst_unused:UNUSED_PAD src0_sel:BYTE_3 src1_sel:DWORD
	v_lshlrev_b32_e32 v17, 3, v17
	v_cndmask_b32_e32 v16, 7, v16, vcc_lo
	v_and_b32_e32 v17, 0xf8, v17
	v_and_b32_e32 v100, 7, v16
	v_or_b32_e32 v15, v15, v16
	v_or3_b32 v14, v14, v17, v100
	v_cmp_ne_u32_e32 vcc_lo, 0, v15
	v_lshlrev_b32_e32 v14, 8, v14
	v_cndmask_b32_e32 v103, 0, v14, vcc_lo
.LBB4_2973:                             ;   in Loop: Header=BB4_2938 Depth=2
	s_or_b32 exec_lo, exec_lo, s41
.LBB4_2974:                             ;   in Loop: Header=BB4_2938 Depth=2
	s_or_b32 exec_lo, exec_lo, s40
	v_and_b32_sdwa v15, v10, v96 dst_sel:DWORD dst_unused:UNUSED_PAD src0_sel:WORD_1 src1_sel:DWORD
	s_mov_b32 s12, 0
	s_mov_b32 s40, exec_lo
	v_cmpx_lt_i16_e32 0x7f, v15
	s_xor_b32 s40, exec_lo, s40
	s_cbranch_execz .LBB4_4036
; %bb.2975:                             ;   in Loop: Header=BB4_2938 Depth=2
	s_mov_b32 s12, -1
	s_mov_b32 s41, exec_lo
	v_cmpx_eq_u16_e32 0x80, v15
; %bb.2976:                             ;   in Loop: Header=BB4_2938 Depth=2
	s_xor_b32 s12, exec_lo, -1
; %bb.2977:                             ;   in Loop: Header=BB4_2938 Depth=2
	s_or_b32 exec_lo, exec_lo, s41
	s_and_b32 s12, s12, exec_lo
                                        ; implicit-def: $vgpr15
	s_or_saveexec_b32 s40, s40
	v_mov_b32_e32 v14, 0x7f800001
	s_xor_b32 exec_lo, exec_lo, s40
	s_cbranch_execnz .LBB4_4037
.LBB4_2978:                             ;   in Loop: Header=BB4_2938 Depth=2
	s_or_b32 exec_lo, exec_lo, s40
	s_and_saveexec_b32 s40, s12
	s_cbranch_execz .LBB4_2980
.LBB4_2979:                             ;   in Loop: Header=BB4_2938 Depth=2
	v_bfe_u32 v14, v10, 16, 3
	v_bfe_u32 v17, v10, 19, 4
	v_lshlrev_b32_e32 v100, 8, v10
	v_ffbh_u32_e32 v15, v14
	v_cmp_eq_u32_e32 vcc_lo, 0, v17
	v_min_u32_e32 v15, 32, v15
	v_subrev_nc_u32_e32 v16, 28, v15
	v_sub_nc_u32_e32 v15, 29, v15
	v_lshlrev_b32_sdwa v16, v16, v10 dst_sel:DWORD dst_unused:UNUSED_PAD src0_sel:DWORD src1_sel:WORD_1
	v_cndmask_b32_e32 v15, v17, v15, vcc_lo
	v_and_b32_e32 v16, 7, v16
	v_lshl_add_u32 v15, v15, 23, 0x3b800000
	v_cndmask_b32_e32 v14, v14, v16, vcc_lo
	v_and_b32_e32 v16, 0x80000000, v100
	v_lshlrev_b32_e32 v14, 20, v14
	v_or3_b32 v14, v16, v15, v14
.LBB4_2980:                             ;   in Loop: Header=BB4_2938 Depth=2
	s_or_b32 exec_lo, exec_lo, s40
	v_mul_f32_e32 v14, s29, v14
	v_mov_b32_e32 v115, 0x80
	s_mov_b32 s40, exec_lo
	v_and_b32_e32 v15, 0x7f800000, v14
	v_cmpx_ne_u32_e32 0x7f800000, v15
	s_cbranch_execz .LBB4_2988
; %bb.2981:                             ;   in Loop: Header=BB4_2938 Depth=2
	v_mov_b32_e32 v115, 0
	s_mov_b32 s41, exec_lo
	v_cmpx_ne_u32_e32 0, v14
	s_cbranch_execz .LBB4_2987
; %bb.2982:                             ;   in Loop: Header=BB4_2938 Depth=2
	v_bfe_u32 v15, v14, 23, 8
	v_and_b32_e32 v16, 0x7fffff, v14
	v_sub_nc_u32_e32 v17, 0x78, v15
	v_cmp_gt_u32_e32 vcc_lo, 0x79, v15
	v_or_b32_e32 v100, 0x800000, v16
	v_cndmask_b32_e32 v17, 0, v17, vcc_lo
	v_cmp_eq_u32_e32 vcc_lo, 0, v15
	v_add_nc_u32_e32 v15, 0xffffff89, v15
	v_cndmask_b32_e64 v17, v17, 0x77, vcc_lo
	v_cndmask_b32_e32 v16, v100, v16, vcc_lo
	v_cndmask_b32_e64 v15, v15, 0xffffff8a, vcc_lo
	v_lshl_add_u32 v100, 0x100000, v17, -1
	v_lshrrev_b32_e32 v101, v17, v16
	v_lshlrev_b32_e64 v112, v17, 0x80000
	v_add_nc_u32_e32 v17, v17, v15
	v_and_b32_e32 v16, v100, v16
	v_bfe_u32 v102, v101, 20, 1
	v_cmp_eq_u32_e64 s12, v16, v112
	v_add_nc_u32_e32 v100, -1, v102
	v_cndmask_b32_e64 v16, 0, v100, s12
	v_lshrrev_b32_e32 v100, 23, v101
	s_mov_b32 s12, exec_lo
	v_add_nc_u32_e32 v16, v16, v101
	v_xor_b32_e32 v100, 1, v100
	v_and_b32_e32 v15, 0xfffff, v16
	v_add_nc_u32_e32 v16, v15, v101
                                        ; implicit-def: $vgpr15
	v_cmpx_ne_u32_e64 v17, v100
	s_xor_b32 s12, exec_lo, s12
; %bb.2983:                             ;   in Loop: Header=BB4_2938 Depth=2
	v_cmp_lt_u32_e32 vcc_lo, 0xffffff, v16
	v_sub_nc_u32_e32 v15, v17, v100
	v_cndmask_b32_e64 v17, 0, 1, vcc_lo
	v_add_co_ci_u32_e64 v15, null, 0, v15, vcc_lo
	v_lshrrev_b32_e32 v16, v17, v16
; %bb.2984:                             ;   in Loop: Header=BB4_2938 Depth=2
	s_andn2_saveexec_b32 s12, s12
; %bb.2985:                             ;   in Loop: Header=BB4_2938 Depth=2
	v_bfe_u32 v15, v16, 23, 1
; %bb.2986:                             ;   in Loop: Header=BB4_2938 Depth=2
	s_or_b32 exec_lo, exec_lo, s12
	v_lshrrev_b32_e32 v16, 20, v16
	v_min_i32_e32 v17, 15, v15
	v_cmp_gt_i32_e32 vcc_lo, 16, v15
	v_and_b32_sdwa v14, v14, v85 dst_sel:DWORD dst_unused:UNUSED_PAD src0_sel:BYTE_3 src1_sel:DWORD
	v_lshlrev_b32_e32 v17, 3, v17
	v_cndmask_b32_e32 v16, 7, v16, vcc_lo
	v_and_b32_e32 v17, 0xf8, v17
	v_and_b32_e32 v100, 7, v16
	v_or_b32_e32 v15, v15, v16
	v_or3_b32 v14, v17, v14, v100
	v_cmp_ne_u32_e32 vcc_lo, 0, v15
	v_cndmask_b32_e32 v115, 0, v14, vcc_lo
.LBB4_2987:                             ;   in Loop: Header=BB4_2938 Depth=2
	s_or_b32 exec_lo, exec_lo, s41
.LBB4_2988:                             ;   in Loop: Header=BB4_2938 Depth=2
	s_or_b32 exec_lo, exec_lo, s40
	v_cmp_gt_i16_sdwa s40, v10, v84 src0_sel:BYTE_3 src1_sel:DWORD
	s_mov_b32 s12, 0
	s_and_saveexec_b32 s41, s40
	s_xor_b32 s40, exec_lo, s41
	s_cbranch_execz .LBB4_4038
; %bb.2989:                             ;   in Loop: Header=BB4_2938 Depth=2
	v_cmp_eq_u16_sdwa s42, v10, v85 src0_sel:BYTE_3 src1_sel:DWORD
	s_mov_b32 s12, -1
	s_and_saveexec_b32 s41, s42
; %bb.2990:                             ;   in Loop: Header=BB4_2938 Depth=2
	s_xor_b32 s12, exec_lo, -1
; %bb.2991:                             ;   in Loop: Header=BB4_2938 Depth=2
	s_or_b32 exec_lo, exec_lo, s41
	s_and_b32 s12, s12, exec_lo
	s_or_saveexec_b32 s40, s40
	v_mov_b32_e32 v14, 0x7f800001
	s_xor_b32 exec_lo, exec_lo, s40
	s_cbranch_execnz .LBB4_4039
.LBB4_2992:                             ;   in Loop: Header=BB4_2938 Depth=2
	s_or_b32 exec_lo, exec_lo, s40
	s_and_saveexec_b32 s40, s12
	s_cbranch_execz .LBB4_2994
.LBB4_2993:                             ;   in Loop: Header=BB4_2938 Depth=2
	v_bfe_u32 v14, v10, 24, 3
	v_bfe_u32 v17, v10, 27, 4
	v_ffbh_u32_e32 v15, v14
	v_cmp_eq_u32_e32 vcc_lo, 0, v17
	v_min_u32_e32 v15, 32, v15
	v_subrev_nc_u32_e32 v16, 28, v15
	v_sub_nc_u32_e32 v15, 29, v15
	v_lshlrev_b32_sdwa v16, v16, v10 dst_sel:DWORD dst_unused:UNUSED_PAD src0_sel:DWORD src1_sel:BYTE_3
	v_cndmask_b32_e32 v15, v17, v15, vcc_lo
	v_and_b32_e32 v10, 0x80000000, v10
	v_and_b32_e32 v16, 7, v16
	v_lshl_add_u32 v15, v15, 23, 0x3b800000
	v_cndmask_b32_e32 v14, v14, v16, vcc_lo
	v_lshlrev_b32_e32 v14, 20, v14
	v_or3_b32 v14, v10, v15, v14
.LBB4_2994:                             ;   in Loop: Header=BB4_2938 Depth=2
	s_or_b32 exec_lo, exec_lo, s40
	v_mul_f32_e32 v10, s29, v14
	v_mov_b32_e32 v74, 0x8000
	s_mov_b32 s40, exec_lo
	v_and_b32_e32 v14, 0x7f800000, v10
	v_cmpx_ne_u32_e32 0x7f800000, v14
	s_cbranch_execz .LBB4_3002
; %bb.2995:                             ;   in Loop: Header=BB4_2938 Depth=2
	v_mov_b32_e32 v74, 0
	s_mov_b32 s41, exec_lo
	v_cmpx_ne_u32_e32 0, v10
	s_cbranch_execz .LBB4_3001
; %bb.2996:                             ;   in Loop: Header=BB4_2938 Depth=2
	v_bfe_u32 v14, v10, 23, 8
	v_and_b32_e32 v15, 0x7fffff, v10
	v_sub_nc_u32_e32 v16, 0x78, v14
	v_cmp_gt_u32_e32 vcc_lo, 0x79, v14
	v_or_b32_e32 v17, 0x800000, v15
	v_cndmask_b32_e32 v16, 0, v16, vcc_lo
	v_cmp_eq_u32_e32 vcc_lo, 0, v14
	v_add_nc_u32_e32 v14, 0xffffff89, v14
	v_cndmask_b32_e64 v16, v16, 0x77, vcc_lo
	v_cndmask_b32_e32 v15, v17, v15, vcc_lo
	v_cndmask_b32_e64 v14, v14, 0xffffff8a, vcc_lo
	v_lshl_add_u32 v17, 0x100000, v16, -1
	v_lshrrev_b32_e32 v100, v16, v15
	v_lshlrev_b32_e64 v102, v16, 0x80000
	v_add_nc_u32_e32 v16, v16, v14
	v_and_b32_e32 v15, v17, v15
	v_bfe_u32 v101, v100, 20, 1
	v_cmp_eq_u32_e64 s12, v15, v102
	v_add_nc_u32_e32 v17, -1, v101
	v_cndmask_b32_e64 v15, 0, v17, s12
	v_lshrrev_b32_e32 v17, 23, v100
	s_mov_b32 s12, exec_lo
	v_add_nc_u32_e32 v15, v15, v100
	v_xor_b32_e32 v17, 1, v17
	v_and_b32_e32 v14, 0xfffff, v15
	v_add_nc_u32_e32 v15, v14, v100
                                        ; implicit-def: $vgpr14
	v_cmpx_ne_u32_e64 v16, v17
	s_xor_b32 s12, exec_lo, s12
; %bb.2997:                             ;   in Loop: Header=BB4_2938 Depth=2
	v_cmp_lt_u32_e32 vcc_lo, 0xffffff, v15
	v_sub_nc_u32_e32 v14, v16, v17
	v_cndmask_b32_e64 v16, 0, 1, vcc_lo
	v_add_co_ci_u32_e64 v14, null, 0, v14, vcc_lo
	v_lshrrev_b32_e32 v15, v16, v15
; %bb.2998:                             ;   in Loop: Header=BB4_2938 Depth=2
	s_andn2_saveexec_b32 s12, s12
; %bb.2999:                             ;   in Loop: Header=BB4_2938 Depth=2
	v_bfe_u32 v14, v15, 23, 1
; %bb.3000:                             ;   in Loop: Header=BB4_2938 Depth=2
	s_or_b32 exec_lo, exec_lo, s12
	v_lshrrev_b32_e32 v15, 20, v15
	v_min_i32_e32 v16, 15, v14
	v_cmp_gt_i32_e32 vcc_lo, 16, v14
	v_and_b32_sdwa v10, v10, v85 dst_sel:DWORD dst_unused:UNUSED_PAD src0_sel:BYTE_3 src1_sel:DWORD
	v_lshlrev_b32_e32 v16, 3, v16
	v_cndmask_b32_e32 v15, 7, v15, vcc_lo
	v_and_b32_e32 v16, 0xf8, v16
	v_and_b32_e32 v17, 7, v15
	v_or_b32_e32 v14, v14, v15
	v_or3_b32 v10, v10, v16, v17
	v_cmp_ne_u32_e32 vcc_lo, 0, v14
	v_lshlrev_b32_e32 v10, 8, v10
	v_cndmask_b32_e32 v74, 0, v10, vcc_lo
.LBB4_3001:                             ;   in Loop: Header=BB4_2938 Depth=2
	s_or_b32 exec_lo, exec_lo, s41
.LBB4_3002:                             ;   in Loop: Header=BB4_2938 Depth=2
	s_or_b32 exec_lo, exec_lo, s40
	v_cmp_gt_i16_sdwa s40, v11, v84 src0_sel:BYTE_0 src1_sel:DWORD
	s_mov_b32 s12, 0
	s_and_saveexec_b32 s41, s40
	s_xor_b32 s40, exec_lo, s41
	s_cbranch_execz .LBB4_4040
; %bb.3003:                             ;   in Loop: Header=BB4_2938 Depth=2
	v_cmp_eq_u16_sdwa s42, v11, v85 src0_sel:BYTE_0 src1_sel:DWORD
	s_mov_b32 s12, -1
	s_and_saveexec_b32 s41, s42
; %bb.3004:                             ;   in Loop: Header=BB4_2938 Depth=2
	s_xor_b32 s12, exec_lo, -1
; %bb.3005:                             ;   in Loop: Header=BB4_2938 Depth=2
	s_or_b32 exec_lo, exec_lo, s41
	s_and_b32 s12, s12, exec_lo
	s_or_saveexec_b32 s40, s40
	v_mov_b32_e32 v10, 0x7f800001
	s_xor_b32 exec_lo, exec_lo, s40
	s_cbranch_execnz .LBB4_4041
.LBB4_3006:                             ;   in Loop: Header=BB4_2938 Depth=2
	s_or_b32 exec_lo, exec_lo, s40
	s_and_saveexec_b32 s40, s12
	s_cbranch_execz .LBB4_3008
.LBB4_3007:                             ;   in Loop: Header=BB4_2938 Depth=2
	v_and_b32_e32 v10, 7, v11
	v_bfe_u32 v16, v11, 3, 4
	v_lshlrev_b32_e32 v17, 24, v11
	v_ffbh_u32_e32 v14, v10
	v_cmp_eq_u32_e32 vcc_lo, 0, v16
	v_min_u32_e32 v14, 32, v14
	v_subrev_nc_u32_e32 v15, 28, v14
	v_sub_nc_u32_e32 v14, 29, v14
	v_lshlrev_b32_e32 v15, v15, v11
	v_cndmask_b32_e32 v14, v16, v14, vcc_lo
	v_and_b32_e32 v15, 7, v15
	v_lshl_add_u32 v14, v14, 23, 0x3b800000
	v_cndmask_b32_e32 v10, v10, v15, vcc_lo
	v_and_b32_e32 v15, 0x80000000, v17
	v_lshlrev_b32_e32 v10, 20, v10
	v_or3_b32 v10, v15, v14, v10
.LBB4_3008:                             ;   in Loop: Header=BB4_2938 Depth=2
	s_or_b32 exec_lo, exec_lo, s40
	v_mul_f32_e32 v10, s29, v10
	v_mov_b32_e32 v43, 0x80
	s_mov_b32 s40, exec_lo
	v_and_b32_e32 v14, 0x7f800000, v10
	v_cmpx_ne_u32_e32 0x7f800000, v14
	s_cbranch_execz .LBB4_3016
; %bb.3009:                             ;   in Loop: Header=BB4_2938 Depth=2
	v_mov_b32_e32 v43, 0
	s_mov_b32 s41, exec_lo
	v_cmpx_ne_u32_e32 0, v10
	s_cbranch_execz .LBB4_3015
; %bb.3010:                             ;   in Loop: Header=BB4_2938 Depth=2
	v_bfe_u32 v14, v10, 23, 8
	v_and_b32_e32 v15, 0x7fffff, v10
	v_sub_nc_u32_e32 v16, 0x78, v14
	v_cmp_gt_u32_e32 vcc_lo, 0x79, v14
	v_or_b32_e32 v17, 0x800000, v15
	v_cndmask_b32_e32 v16, 0, v16, vcc_lo
	v_cmp_eq_u32_e32 vcc_lo, 0, v14
	v_add_nc_u32_e32 v14, 0xffffff89, v14
	v_cndmask_b32_e64 v16, v16, 0x77, vcc_lo
	v_cndmask_b32_e32 v15, v17, v15, vcc_lo
	v_cndmask_b32_e64 v14, v14, 0xffffff8a, vcc_lo
	v_lshl_add_u32 v17, 0x100000, v16, -1
	v_lshrrev_b32_e32 v100, v16, v15
	v_lshlrev_b32_e64 v102, v16, 0x80000
	v_add_nc_u32_e32 v16, v16, v14
	v_and_b32_e32 v15, v17, v15
	v_bfe_u32 v101, v100, 20, 1
	v_cmp_eq_u32_e64 s12, v15, v102
	v_add_nc_u32_e32 v17, -1, v101
	v_cndmask_b32_e64 v15, 0, v17, s12
	v_lshrrev_b32_e32 v17, 23, v100
	s_mov_b32 s12, exec_lo
	v_add_nc_u32_e32 v15, v15, v100
	v_xor_b32_e32 v17, 1, v17
	v_and_b32_e32 v14, 0xfffff, v15
	v_add_nc_u32_e32 v15, v14, v100
                                        ; implicit-def: $vgpr14
	v_cmpx_ne_u32_e64 v16, v17
	s_xor_b32 s12, exec_lo, s12
; %bb.3011:                             ;   in Loop: Header=BB4_2938 Depth=2
	v_cmp_lt_u32_e32 vcc_lo, 0xffffff, v15
	v_sub_nc_u32_e32 v14, v16, v17
	v_cndmask_b32_e64 v16, 0, 1, vcc_lo
	v_add_co_ci_u32_e64 v14, null, 0, v14, vcc_lo
	v_lshrrev_b32_e32 v15, v16, v15
; %bb.3012:                             ;   in Loop: Header=BB4_2938 Depth=2
	s_andn2_saveexec_b32 s12, s12
; %bb.3013:                             ;   in Loop: Header=BB4_2938 Depth=2
	v_bfe_u32 v14, v15, 23, 1
; %bb.3014:                             ;   in Loop: Header=BB4_2938 Depth=2
	s_or_b32 exec_lo, exec_lo, s12
	v_lshrrev_b32_e32 v15, 20, v15
	v_min_i32_e32 v16, 15, v14
	v_cmp_gt_i32_e32 vcc_lo, 16, v14
	v_and_b32_sdwa v10, v10, v85 dst_sel:DWORD dst_unused:UNUSED_PAD src0_sel:BYTE_3 src1_sel:DWORD
	v_lshlrev_b32_e32 v16, 3, v16
	v_cndmask_b32_e32 v15, 7, v15, vcc_lo
	v_and_b32_e32 v16, 0xf8, v16
	v_and_b32_e32 v17, 7, v15
	v_or_b32_e32 v14, v14, v15
	v_or3_b32 v10, v16, v10, v17
	v_cmp_ne_u32_e32 vcc_lo, 0, v14
	v_cndmask_b32_e32 v43, 0, v10, vcc_lo
.LBB4_3015:                             ;   in Loop: Header=BB4_2938 Depth=2
	s_or_b32 exec_lo, exec_lo, s41
.LBB4_3016:                             ;   in Loop: Header=BB4_2938 Depth=2
	s_or_b32 exec_lo, exec_lo, s40
	v_cmp_gt_i16_sdwa s40, v11, v84 src0_sel:BYTE_1 src1_sel:DWORD
	s_mov_b32 s12, 0
	s_and_saveexec_b32 s41, s40
	s_xor_b32 s40, exec_lo, s41
	s_cbranch_execz .LBB4_4042
; %bb.3017:                             ;   in Loop: Header=BB4_2938 Depth=2
	v_cmp_eq_u16_sdwa s42, v11, v85 src0_sel:BYTE_1 src1_sel:DWORD
	s_mov_b32 s12, -1
	s_and_saveexec_b32 s41, s42
; %bb.3018:                             ;   in Loop: Header=BB4_2938 Depth=2
	s_xor_b32 s12, exec_lo, -1
; %bb.3019:                             ;   in Loop: Header=BB4_2938 Depth=2
	s_or_b32 exec_lo, exec_lo, s41
	s_and_b32 s12, s12, exec_lo
	s_or_saveexec_b32 s40, s40
	v_mov_b32_e32 v10, 0x7f800001
	s_xor_b32 exec_lo, exec_lo, s40
	s_cbranch_execnz .LBB4_4043
.LBB4_3020:                             ;   in Loop: Header=BB4_2938 Depth=2
	s_or_b32 exec_lo, exec_lo, s40
	s_and_saveexec_b32 s40, s12
	s_cbranch_execz .LBB4_3022
.LBB4_3021:                             ;   in Loop: Header=BB4_2938 Depth=2
	v_and_b32_sdwa v10, v86, v11 dst_sel:DWORD dst_unused:UNUSED_PAD src0_sel:DWORD src1_sel:BYTE_1
	v_and_b32_e32 v14, 7, v10
	v_bfe_u32 v17, v10, 3, 4
	v_ffbh_u32_e32 v15, v14
	v_cmp_eq_u32_e32 vcc_lo, 0, v17
	v_min_u32_e32 v15, 32, v15
	v_subrev_nc_u32_e32 v16, 28, v15
	v_sub_nc_u32_e32 v15, 29, v15
	v_lshlrev_b32_e32 v10, v16, v10
	v_lshlrev_b32_sdwa v16, v87, v11 dst_sel:DWORD dst_unused:UNUSED_PAD src0_sel:DWORD src1_sel:BYTE_1
	v_cndmask_b32_e32 v15, v17, v15, vcc_lo
	v_and_b32_e32 v10, 7, v10
	v_lshl_add_u32 v15, v15, 23, 0x3b800000
	v_cndmask_b32_e32 v10, v14, v10, vcc_lo
	v_and_b32_e32 v14, 0x80000000, v16
	v_lshlrev_b32_e32 v10, 20, v10
	v_or3_b32 v10, v14, v15, v10
.LBB4_3022:                             ;   in Loop: Header=BB4_2938 Depth=2
	s_or_b32 exec_lo, exec_lo, s40
	v_mul_f32_e32 v10, s29, v10
	v_mov_b32_e32 v47, 0x8000
	s_mov_b32 s40, exec_lo
	v_and_b32_e32 v14, 0x7f800000, v10
	v_cmpx_ne_u32_e32 0x7f800000, v14
	s_cbranch_execz .LBB4_3030
; %bb.3023:                             ;   in Loop: Header=BB4_2938 Depth=2
	v_mov_b32_e32 v47, 0
	s_mov_b32 s41, exec_lo
	v_cmpx_ne_u32_e32 0, v10
	s_cbranch_execz .LBB4_3029
; %bb.3024:                             ;   in Loop: Header=BB4_2938 Depth=2
	v_bfe_u32 v14, v10, 23, 8
	v_and_b32_e32 v15, 0x7fffff, v10
	v_sub_nc_u32_e32 v16, 0x78, v14
	v_cmp_gt_u32_e32 vcc_lo, 0x79, v14
	v_or_b32_e32 v17, 0x800000, v15
	v_cndmask_b32_e32 v16, 0, v16, vcc_lo
	v_cmp_eq_u32_e32 vcc_lo, 0, v14
	v_add_nc_u32_e32 v14, 0xffffff89, v14
	v_cndmask_b32_e64 v16, v16, 0x77, vcc_lo
	v_cndmask_b32_e32 v15, v17, v15, vcc_lo
	v_cndmask_b32_e64 v14, v14, 0xffffff8a, vcc_lo
	v_lshl_add_u32 v17, 0x100000, v16, -1
	v_lshrrev_b32_e32 v100, v16, v15
	v_lshlrev_b32_e64 v102, v16, 0x80000
	v_add_nc_u32_e32 v16, v16, v14
	v_and_b32_e32 v15, v17, v15
	v_bfe_u32 v101, v100, 20, 1
	v_cmp_eq_u32_e64 s12, v15, v102
	v_add_nc_u32_e32 v17, -1, v101
	v_cndmask_b32_e64 v15, 0, v17, s12
	v_lshrrev_b32_e32 v17, 23, v100
	s_mov_b32 s12, exec_lo
	v_add_nc_u32_e32 v15, v15, v100
	v_xor_b32_e32 v17, 1, v17
	v_and_b32_e32 v14, 0xfffff, v15
	v_add_nc_u32_e32 v15, v14, v100
                                        ; implicit-def: $vgpr14
	v_cmpx_ne_u32_e64 v16, v17
	s_xor_b32 s12, exec_lo, s12
; %bb.3025:                             ;   in Loop: Header=BB4_2938 Depth=2
	v_cmp_lt_u32_e32 vcc_lo, 0xffffff, v15
	v_sub_nc_u32_e32 v14, v16, v17
	v_cndmask_b32_e64 v16, 0, 1, vcc_lo
	v_add_co_ci_u32_e64 v14, null, 0, v14, vcc_lo
	v_lshrrev_b32_e32 v15, v16, v15
; %bb.3026:                             ;   in Loop: Header=BB4_2938 Depth=2
	s_andn2_saveexec_b32 s12, s12
; %bb.3027:                             ;   in Loop: Header=BB4_2938 Depth=2
	v_bfe_u32 v14, v15, 23, 1
; %bb.3028:                             ;   in Loop: Header=BB4_2938 Depth=2
	s_or_b32 exec_lo, exec_lo, s12
	v_lshrrev_b32_e32 v15, 20, v15
	v_min_i32_e32 v16, 15, v14
	v_cmp_gt_i32_e32 vcc_lo, 16, v14
	v_and_b32_sdwa v10, v10, v85 dst_sel:DWORD dst_unused:UNUSED_PAD src0_sel:BYTE_3 src1_sel:DWORD
	v_lshlrev_b32_e32 v16, 3, v16
	v_cndmask_b32_e32 v15, 7, v15, vcc_lo
	v_and_b32_e32 v16, 0xf8, v16
	v_and_b32_e32 v17, 7, v15
	v_or_b32_e32 v14, v14, v15
	v_or3_b32 v10, v10, v16, v17
	v_cmp_ne_u32_e32 vcc_lo, 0, v14
	v_lshlrev_b32_e32 v10, 8, v10
	v_cndmask_b32_e32 v47, 0, v10, vcc_lo
.LBB4_3029:                             ;   in Loop: Header=BB4_2938 Depth=2
	s_or_b32 exec_lo, exec_lo, s41
.LBB4_3030:                             ;   in Loop: Header=BB4_2938 Depth=2
	s_or_b32 exec_lo, exec_lo, s40
	v_and_b32_sdwa v14, v11, v96 dst_sel:DWORD dst_unused:UNUSED_PAD src0_sel:WORD_1 src1_sel:DWORD
	s_mov_b32 s12, 0
	s_mov_b32 s40, exec_lo
	v_cmpx_lt_i16_e32 0x7f, v14
	s_xor_b32 s40, exec_lo, s40
	s_cbranch_execz .LBB4_4044
; %bb.3031:                             ;   in Loop: Header=BB4_2938 Depth=2
	s_mov_b32 s12, -1
	s_mov_b32 s41, exec_lo
	v_cmpx_eq_u16_e32 0x80, v14
; %bb.3032:                             ;   in Loop: Header=BB4_2938 Depth=2
	s_xor_b32 s12, exec_lo, -1
; %bb.3033:                             ;   in Loop: Header=BB4_2938 Depth=2
	s_or_b32 exec_lo, exec_lo, s41
	s_and_b32 s12, s12, exec_lo
                                        ; implicit-def: $vgpr14
	s_or_saveexec_b32 s40, s40
	v_mov_b32_e32 v10, 0x7f800001
	s_xor_b32 exec_lo, exec_lo, s40
	s_cbranch_execnz .LBB4_4045
.LBB4_3034:                             ;   in Loop: Header=BB4_2938 Depth=2
	s_or_b32 exec_lo, exec_lo, s40
	s_and_saveexec_b32 s40, s12
	s_cbranch_execz .LBB4_3036
.LBB4_3035:                             ;   in Loop: Header=BB4_2938 Depth=2
	v_bfe_u32 v10, v11, 16, 3
	v_bfe_u32 v16, v11, 19, 4
	v_lshlrev_b32_e32 v17, 8, v11
	v_ffbh_u32_e32 v14, v10
	v_cmp_eq_u32_e32 vcc_lo, 0, v16
	v_min_u32_e32 v14, 32, v14
	v_subrev_nc_u32_e32 v15, 28, v14
	v_sub_nc_u32_e32 v14, 29, v14
	v_lshlrev_b32_sdwa v15, v15, v11 dst_sel:DWORD dst_unused:UNUSED_PAD src0_sel:DWORD src1_sel:WORD_1
	v_cndmask_b32_e32 v14, v16, v14, vcc_lo
	v_and_b32_e32 v15, 7, v15
	v_lshl_add_u32 v14, v14, 23, 0x3b800000
	v_cndmask_b32_e32 v10, v10, v15, vcc_lo
	v_and_b32_e32 v15, 0x80000000, v17
	v_lshlrev_b32_e32 v10, 20, v10
	v_or3_b32 v10, v15, v14, v10
.LBB4_3036:                             ;   in Loop: Header=BB4_2938 Depth=2
	s_or_b32 exec_lo, exec_lo, s40
	v_mul_f32_e32 v10, s29, v10
	v_mov_b32_e32 v59, 0x80
	s_mov_b32 s40, exec_lo
	v_and_b32_e32 v14, 0x7f800000, v10
	v_cmpx_ne_u32_e32 0x7f800000, v14
	s_cbranch_execz .LBB4_3044
; %bb.3037:                             ;   in Loop: Header=BB4_2938 Depth=2
	v_mov_b32_e32 v59, 0
	s_mov_b32 s41, exec_lo
	v_cmpx_ne_u32_e32 0, v10
	s_cbranch_execz .LBB4_3043
; %bb.3038:                             ;   in Loop: Header=BB4_2938 Depth=2
	v_bfe_u32 v14, v10, 23, 8
	v_and_b32_e32 v15, 0x7fffff, v10
	v_sub_nc_u32_e32 v16, 0x78, v14
	v_cmp_gt_u32_e32 vcc_lo, 0x79, v14
	v_or_b32_e32 v17, 0x800000, v15
	v_cndmask_b32_e32 v16, 0, v16, vcc_lo
	v_cmp_eq_u32_e32 vcc_lo, 0, v14
	v_add_nc_u32_e32 v14, 0xffffff89, v14
	v_cndmask_b32_e64 v16, v16, 0x77, vcc_lo
	v_cndmask_b32_e32 v15, v17, v15, vcc_lo
	v_cndmask_b32_e64 v14, v14, 0xffffff8a, vcc_lo
	v_lshl_add_u32 v17, 0x100000, v16, -1
	v_lshrrev_b32_e32 v100, v16, v15
	v_lshlrev_b32_e64 v102, v16, 0x80000
	v_add_nc_u32_e32 v16, v16, v14
	v_and_b32_e32 v15, v17, v15
	v_bfe_u32 v101, v100, 20, 1
	v_cmp_eq_u32_e64 s12, v15, v102
	v_add_nc_u32_e32 v17, -1, v101
	v_cndmask_b32_e64 v15, 0, v17, s12
	v_lshrrev_b32_e32 v17, 23, v100
	s_mov_b32 s12, exec_lo
	v_add_nc_u32_e32 v15, v15, v100
	v_xor_b32_e32 v17, 1, v17
	v_and_b32_e32 v14, 0xfffff, v15
	v_add_nc_u32_e32 v15, v14, v100
                                        ; implicit-def: $vgpr14
	v_cmpx_ne_u32_e64 v16, v17
	s_xor_b32 s12, exec_lo, s12
; %bb.3039:                             ;   in Loop: Header=BB4_2938 Depth=2
	v_cmp_lt_u32_e32 vcc_lo, 0xffffff, v15
	v_sub_nc_u32_e32 v14, v16, v17
	v_cndmask_b32_e64 v16, 0, 1, vcc_lo
	v_add_co_ci_u32_e64 v14, null, 0, v14, vcc_lo
	v_lshrrev_b32_e32 v15, v16, v15
; %bb.3040:                             ;   in Loop: Header=BB4_2938 Depth=2
	s_andn2_saveexec_b32 s12, s12
; %bb.3041:                             ;   in Loop: Header=BB4_2938 Depth=2
	v_bfe_u32 v14, v15, 23, 1
; %bb.3042:                             ;   in Loop: Header=BB4_2938 Depth=2
	s_or_b32 exec_lo, exec_lo, s12
	v_lshrrev_b32_e32 v15, 20, v15
	v_min_i32_e32 v16, 15, v14
	v_cmp_gt_i32_e32 vcc_lo, 16, v14
	v_and_b32_sdwa v10, v10, v85 dst_sel:DWORD dst_unused:UNUSED_PAD src0_sel:BYTE_3 src1_sel:DWORD
	v_lshlrev_b32_e32 v16, 3, v16
	v_cndmask_b32_e32 v15, 7, v15, vcc_lo
	v_and_b32_e32 v16, 0xf8, v16
	v_and_b32_e32 v17, 7, v15
	v_or_b32_e32 v14, v14, v15
	v_or3_b32 v10, v16, v10, v17
	v_cmp_ne_u32_e32 vcc_lo, 0, v14
	v_cndmask_b32_e32 v59, 0, v10, vcc_lo
.LBB4_3043:                             ;   in Loop: Header=BB4_2938 Depth=2
	s_or_b32 exec_lo, exec_lo, s41
.LBB4_3044:                             ;   in Loop: Header=BB4_2938 Depth=2
	s_or_b32 exec_lo, exec_lo, s40
	v_cmp_gt_i16_sdwa s40, v11, v84 src0_sel:BYTE_3 src1_sel:DWORD
	s_mov_b32 s12, 0
	s_and_saveexec_b32 s41, s40
	s_xor_b32 s40, exec_lo, s41
	s_cbranch_execz .LBB4_4046
; %bb.3045:                             ;   in Loop: Header=BB4_2938 Depth=2
	v_cmp_eq_u16_sdwa s42, v11, v85 src0_sel:BYTE_3 src1_sel:DWORD
	s_mov_b32 s12, -1
	s_and_saveexec_b32 s41, s42
; %bb.3046:                             ;   in Loop: Header=BB4_2938 Depth=2
	s_xor_b32 s12, exec_lo, -1
; %bb.3047:                             ;   in Loop: Header=BB4_2938 Depth=2
	s_or_b32 exec_lo, exec_lo, s41
	s_and_b32 s12, s12, exec_lo
	s_or_saveexec_b32 s40, s40
	v_mov_b32_e32 v10, 0x7f800001
	s_xor_b32 exec_lo, exec_lo, s40
	s_cbranch_execnz .LBB4_4047
.LBB4_3048:                             ;   in Loop: Header=BB4_2938 Depth=2
	s_or_b32 exec_lo, exec_lo, s40
	s_and_saveexec_b32 s40, s12
	s_cbranch_execz .LBB4_3050
.LBB4_3049:                             ;   in Loop: Header=BB4_2938 Depth=2
	v_bfe_u32 v10, v11, 24, 3
	v_bfe_u32 v16, v11, 27, 4
	v_ffbh_u32_e32 v14, v10
	v_cmp_eq_u32_e32 vcc_lo, 0, v16
	v_min_u32_e32 v14, 32, v14
	v_subrev_nc_u32_e32 v15, 28, v14
	v_sub_nc_u32_e32 v14, 29, v14
	v_lshlrev_b32_sdwa v15, v15, v11 dst_sel:DWORD dst_unused:UNUSED_PAD src0_sel:DWORD src1_sel:BYTE_3
	v_cndmask_b32_e32 v14, v16, v14, vcc_lo
	v_and_b32_e32 v11, 0x80000000, v11
	v_and_b32_e32 v15, 7, v15
	v_lshl_add_u32 v14, v14, 23, 0x3b800000
	v_cndmask_b32_e32 v10, v10, v15, vcc_lo
	v_lshlrev_b32_e32 v10, 20, v10
	v_or3_b32 v10, v11, v14, v10
.LBB4_3050:                             ;   in Loop: Header=BB4_2938 Depth=2
	s_or_b32 exec_lo, exec_lo, s40
	v_mul_f32_e32 v10, s29, v10
	v_mov_b32_e32 v73, 0x8000
	s_mov_b32 s40, exec_lo
	v_and_b32_e32 v11, 0x7f800000, v10
	v_cmpx_ne_u32_e32 0x7f800000, v11
	s_cbranch_execz .LBB4_3058
; %bb.3051:                             ;   in Loop: Header=BB4_2938 Depth=2
	v_mov_b32_e32 v73, 0
	s_mov_b32 s41, exec_lo
	v_cmpx_ne_u32_e32 0, v10
	s_cbranch_execz .LBB4_3057
; %bb.3052:                             ;   in Loop: Header=BB4_2938 Depth=2
	v_bfe_u32 v11, v10, 23, 8
	v_and_b32_e32 v14, 0x7fffff, v10
	v_sub_nc_u32_e32 v15, 0x78, v11
	v_cmp_gt_u32_e32 vcc_lo, 0x79, v11
	v_or_b32_e32 v16, 0x800000, v14
	v_cndmask_b32_e32 v15, 0, v15, vcc_lo
	v_cmp_eq_u32_e32 vcc_lo, 0, v11
	v_add_nc_u32_e32 v11, 0xffffff89, v11
	v_cndmask_b32_e64 v15, v15, 0x77, vcc_lo
	v_cndmask_b32_e32 v14, v16, v14, vcc_lo
	v_cndmask_b32_e64 v11, v11, 0xffffff8a, vcc_lo
	v_lshl_add_u32 v16, 0x100000, v15, -1
	v_lshrrev_b32_e32 v17, v15, v14
	v_lshlrev_b32_e64 v101, v15, 0x80000
	v_add_nc_u32_e32 v15, v15, v11
	v_and_b32_e32 v14, v16, v14
	v_bfe_u32 v100, v17, 20, 1
	v_cmp_eq_u32_e64 s12, v14, v101
	v_add_nc_u32_e32 v16, -1, v100
	v_cndmask_b32_e64 v14, 0, v16, s12
	v_lshrrev_b32_e32 v16, 23, v17
	s_mov_b32 s12, exec_lo
	v_add_nc_u32_e32 v14, v14, v17
	v_xor_b32_e32 v16, 1, v16
	v_and_b32_e32 v11, 0xfffff, v14
	v_add_nc_u32_e32 v14, v11, v17
                                        ; implicit-def: $vgpr11
	v_cmpx_ne_u32_e64 v15, v16
	s_xor_b32 s12, exec_lo, s12
; %bb.3053:                             ;   in Loop: Header=BB4_2938 Depth=2
	v_cmp_lt_u32_e32 vcc_lo, 0xffffff, v14
	v_sub_nc_u32_e32 v11, v15, v16
	v_cndmask_b32_e64 v15, 0, 1, vcc_lo
	v_add_co_ci_u32_e64 v11, null, 0, v11, vcc_lo
	v_lshrrev_b32_e32 v14, v15, v14
; %bb.3054:                             ;   in Loop: Header=BB4_2938 Depth=2
	s_andn2_saveexec_b32 s12, s12
; %bb.3055:                             ;   in Loop: Header=BB4_2938 Depth=2
	v_bfe_u32 v11, v14, 23, 1
; %bb.3056:                             ;   in Loop: Header=BB4_2938 Depth=2
	s_or_b32 exec_lo, exec_lo, s12
	v_lshrrev_b32_e32 v14, 20, v14
	v_min_i32_e32 v15, 15, v11
	v_cmp_gt_i32_e32 vcc_lo, 16, v11
	v_and_b32_sdwa v10, v10, v85 dst_sel:DWORD dst_unused:UNUSED_PAD src0_sel:BYTE_3 src1_sel:DWORD
	v_lshlrev_b32_e32 v15, 3, v15
	v_cndmask_b32_e32 v14, 7, v14, vcc_lo
	v_and_b32_e32 v15, 0xf8, v15
	v_and_b32_e32 v16, 7, v14
	v_or_b32_e32 v11, v11, v14
	v_or3_b32 v10, v10, v15, v16
	v_cmp_ne_u32_e32 vcc_lo, 0, v11
	v_lshlrev_b32_e32 v10, 8, v10
	v_cndmask_b32_e32 v73, 0, v10, vcc_lo
.LBB4_3057:                             ;   in Loop: Header=BB4_2938 Depth=2
	s_or_b32 exec_lo, exec_lo, s41
.LBB4_3058:                             ;   in Loop: Header=BB4_2938 Depth=2
	s_or_b32 exec_lo, exec_lo, s40
	v_cmp_gt_i16_sdwa s40, v12, v84 src0_sel:BYTE_0 src1_sel:DWORD
	s_mov_b32 s12, 0
	s_and_saveexec_b32 s41, s40
	s_xor_b32 s40, exec_lo, s41
	s_cbranch_execz .LBB4_4048
; %bb.3059:                             ;   in Loop: Header=BB4_2938 Depth=2
	v_cmp_eq_u16_sdwa s42, v12, v85 src0_sel:BYTE_0 src1_sel:DWORD
	s_mov_b32 s12, -1
	s_and_saveexec_b32 s41, s42
; %bb.3060:                             ;   in Loop: Header=BB4_2938 Depth=2
	s_xor_b32 s12, exec_lo, -1
; %bb.3061:                             ;   in Loop: Header=BB4_2938 Depth=2
	s_or_b32 exec_lo, exec_lo, s41
	s_and_b32 s12, s12, exec_lo
	s_or_saveexec_b32 s40, s40
	v_mov_b32_e32 v10, 0x7f800001
	s_xor_b32 exec_lo, exec_lo, s40
	s_cbranch_execnz .LBB4_4049
.LBB4_3062:                             ;   in Loop: Header=BB4_2938 Depth=2
	s_or_b32 exec_lo, exec_lo, s40
	s_and_saveexec_b32 s40, s12
	s_cbranch_execz .LBB4_3064
.LBB4_3063:                             ;   in Loop: Header=BB4_2938 Depth=2
	v_and_b32_e32 v10, 7, v12
	v_bfe_u32 v15, v12, 3, 4
	v_lshlrev_b32_e32 v16, 24, v12
	v_ffbh_u32_e32 v11, v10
	v_cmp_eq_u32_e32 vcc_lo, 0, v15
	v_min_u32_e32 v11, 32, v11
	v_subrev_nc_u32_e32 v14, 28, v11
	v_sub_nc_u32_e32 v11, 29, v11
	v_lshlrev_b32_e32 v14, v14, v12
	v_cndmask_b32_e32 v11, v15, v11, vcc_lo
	v_and_b32_e32 v14, 7, v14
	v_lshl_add_u32 v11, v11, 23, 0x3b800000
	v_cndmask_b32_e32 v10, v10, v14, vcc_lo
	v_and_b32_e32 v14, 0x80000000, v16
	v_lshlrev_b32_e32 v10, 20, v10
	v_or3_b32 v10, v14, v11, v10
.LBB4_3064:                             ;   in Loop: Header=BB4_2938 Depth=2
	s_or_b32 exec_lo, exec_lo, s40
	v_mul_f32_e32 v10, s29, v10
	v_mov_b32_e32 v62, 0x80
	s_mov_b32 s40, exec_lo
	v_and_b32_e32 v11, 0x7f800000, v10
	v_cmpx_ne_u32_e32 0x7f800000, v11
	s_cbranch_execz .LBB4_3072
; %bb.3065:                             ;   in Loop: Header=BB4_2938 Depth=2
	v_mov_b32_e32 v62, 0
	s_mov_b32 s41, exec_lo
	v_cmpx_ne_u32_e32 0, v10
	s_cbranch_execz .LBB4_3071
; %bb.3066:                             ;   in Loop: Header=BB4_2938 Depth=2
	v_bfe_u32 v11, v10, 23, 8
	v_and_b32_e32 v14, 0x7fffff, v10
	v_sub_nc_u32_e32 v15, 0x78, v11
	v_cmp_gt_u32_e32 vcc_lo, 0x79, v11
	v_or_b32_e32 v16, 0x800000, v14
	v_cndmask_b32_e32 v15, 0, v15, vcc_lo
	v_cmp_eq_u32_e32 vcc_lo, 0, v11
	v_add_nc_u32_e32 v11, 0xffffff89, v11
	v_cndmask_b32_e64 v15, v15, 0x77, vcc_lo
	v_cndmask_b32_e32 v14, v16, v14, vcc_lo
	v_cndmask_b32_e64 v11, v11, 0xffffff8a, vcc_lo
	v_lshl_add_u32 v16, 0x100000, v15, -1
	v_lshrrev_b32_e32 v17, v15, v14
	v_lshlrev_b32_e64 v101, v15, 0x80000
	v_add_nc_u32_e32 v15, v15, v11
	v_and_b32_e32 v14, v16, v14
	v_bfe_u32 v100, v17, 20, 1
	v_cmp_eq_u32_e64 s12, v14, v101
	v_add_nc_u32_e32 v16, -1, v100
	v_cndmask_b32_e64 v14, 0, v16, s12
	v_lshrrev_b32_e32 v16, 23, v17
	s_mov_b32 s12, exec_lo
	v_add_nc_u32_e32 v14, v14, v17
	v_xor_b32_e32 v16, 1, v16
	v_and_b32_e32 v11, 0xfffff, v14
	v_add_nc_u32_e32 v14, v11, v17
                                        ; implicit-def: $vgpr11
	v_cmpx_ne_u32_e64 v15, v16
	s_xor_b32 s12, exec_lo, s12
; %bb.3067:                             ;   in Loop: Header=BB4_2938 Depth=2
	v_cmp_lt_u32_e32 vcc_lo, 0xffffff, v14
	v_sub_nc_u32_e32 v11, v15, v16
	v_cndmask_b32_e64 v15, 0, 1, vcc_lo
	v_add_co_ci_u32_e64 v11, null, 0, v11, vcc_lo
	v_lshrrev_b32_e32 v14, v15, v14
; %bb.3068:                             ;   in Loop: Header=BB4_2938 Depth=2
	s_andn2_saveexec_b32 s12, s12
; %bb.3069:                             ;   in Loop: Header=BB4_2938 Depth=2
	v_bfe_u32 v11, v14, 23, 1
; %bb.3070:                             ;   in Loop: Header=BB4_2938 Depth=2
	s_or_b32 exec_lo, exec_lo, s12
	v_lshrrev_b32_e32 v14, 20, v14
	v_min_i32_e32 v15, 15, v11
	v_cmp_gt_i32_e32 vcc_lo, 16, v11
	v_and_b32_sdwa v10, v10, v85 dst_sel:DWORD dst_unused:UNUSED_PAD src0_sel:BYTE_3 src1_sel:DWORD
	v_lshlrev_b32_e32 v15, 3, v15
	v_cndmask_b32_e32 v14, 7, v14, vcc_lo
	v_and_b32_e32 v15, 0xf8, v15
	v_and_b32_e32 v16, 7, v14
	v_or_b32_e32 v11, v11, v14
	v_or3_b32 v10, v15, v10, v16
	v_cmp_ne_u32_e32 vcc_lo, 0, v11
	v_cndmask_b32_e32 v62, 0, v10, vcc_lo
.LBB4_3071:                             ;   in Loop: Header=BB4_2938 Depth=2
	s_or_b32 exec_lo, exec_lo, s41
.LBB4_3072:                             ;   in Loop: Header=BB4_2938 Depth=2
	s_or_b32 exec_lo, exec_lo, s40
	v_cmp_gt_i16_sdwa s40, v12, v84 src0_sel:BYTE_1 src1_sel:DWORD
	s_mov_b32 s12, 0
	s_and_saveexec_b32 s41, s40
	s_xor_b32 s40, exec_lo, s41
	s_cbranch_execz .LBB4_4050
; %bb.3073:                             ;   in Loop: Header=BB4_2938 Depth=2
	v_cmp_eq_u16_sdwa s42, v12, v85 src0_sel:BYTE_1 src1_sel:DWORD
	s_mov_b32 s12, -1
	s_and_saveexec_b32 s41, s42
; %bb.3074:                             ;   in Loop: Header=BB4_2938 Depth=2
	s_xor_b32 s12, exec_lo, -1
; %bb.3075:                             ;   in Loop: Header=BB4_2938 Depth=2
	s_or_b32 exec_lo, exec_lo, s41
	s_and_b32 s12, s12, exec_lo
	s_or_saveexec_b32 s40, s40
	v_mov_b32_e32 v10, 0x7f800001
	s_xor_b32 exec_lo, exec_lo, s40
	s_cbranch_execnz .LBB4_4051
.LBB4_3076:                             ;   in Loop: Header=BB4_2938 Depth=2
	s_or_b32 exec_lo, exec_lo, s40
	s_and_saveexec_b32 s40, s12
	s_cbranch_execz .LBB4_3078
.LBB4_3077:                             ;   in Loop: Header=BB4_2938 Depth=2
	v_and_b32_sdwa v10, v86, v12 dst_sel:DWORD dst_unused:UNUSED_PAD src0_sel:DWORD src1_sel:BYTE_1
	v_and_b32_e32 v11, 7, v10
	v_bfe_u32 v16, v10, 3, 4
	v_ffbh_u32_e32 v14, v11
	v_cmp_eq_u32_e32 vcc_lo, 0, v16
	v_min_u32_e32 v14, 32, v14
	v_subrev_nc_u32_e32 v15, 28, v14
	v_sub_nc_u32_e32 v14, 29, v14
	v_lshlrev_b32_e32 v10, v15, v10
	v_lshlrev_b32_sdwa v15, v87, v12 dst_sel:DWORD dst_unused:UNUSED_PAD src0_sel:DWORD src1_sel:BYTE_1
	v_cndmask_b32_e32 v14, v16, v14, vcc_lo
	v_and_b32_e32 v10, 7, v10
	v_lshl_add_u32 v14, v14, 23, 0x3b800000
	v_cndmask_b32_e32 v10, v11, v10, vcc_lo
	v_and_b32_e32 v11, 0x80000000, v15
	v_lshlrev_b32_e32 v10, 20, v10
	v_or3_b32 v10, v11, v14, v10
.LBB4_3078:                             ;   in Loop: Header=BB4_2938 Depth=2
	s_or_b32 exec_lo, exec_lo, s40
	v_mul_f32_e32 v10, s29, v10
	v_mov_b32_e32 v72, 0x8000
	s_mov_b32 s40, exec_lo
	v_and_b32_e32 v11, 0x7f800000, v10
	v_cmpx_ne_u32_e32 0x7f800000, v11
	s_cbranch_execz .LBB4_3086
; %bb.3079:                             ;   in Loop: Header=BB4_2938 Depth=2
	v_mov_b32_e32 v72, 0
	s_mov_b32 s41, exec_lo
	v_cmpx_ne_u32_e32 0, v10
	s_cbranch_execz .LBB4_3085
; %bb.3080:                             ;   in Loop: Header=BB4_2938 Depth=2
	v_bfe_u32 v11, v10, 23, 8
	v_and_b32_e32 v14, 0x7fffff, v10
	v_sub_nc_u32_e32 v15, 0x78, v11
	v_cmp_gt_u32_e32 vcc_lo, 0x79, v11
	v_or_b32_e32 v16, 0x800000, v14
	v_cndmask_b32_e32 v15, 0, v15, vcc_lo
	v_cmp_eq_u32_e32 vcc_lo, 0, v11
	v_add_nc_u32_e32 v11, 0xffffff89, v11
	v_cndmask_b32_e64 v15, v15, 0x77, vcc_lo
	v_cndmask_b32_e32 v14, v16, v14, vcc_lo
	v_cndmask_b32_e64 v11, v11, 0xffffff8a, vcc_lo
	v_lshl_add_u32 v16, 0x100000, v15, -1
	v_lshrrev_b32_e32 v17, v15, v14
	v_lshlrev_b32_e64 v101, v15, 0x80000
	v_add_nc_u32_e32 v15, v15, v11
	v_and_b32_e32 v14, v16, v14
	v_bfe_u32 v100, v17, 20, 1
	v_cmp_eq_u32_e64 s12, v14, v101
	v_add_nc_u32_e32 v16, -1, v100
	v_cndmask_b32_e64 v14, 0, v16, s12
	v_lshrrev_b32_e32 v16, 23, v17
	s_mov_b32 s12, exec_lo
	v_add_nc_u32_e32 v14, v14, v17
	v_xor_b32_e32 v16, 1, v16
	v_and_b32_e32 v11, 0xfffff, v14
	v_add_nc_u32_e32 v14, v11, v17
                                        ; implicit-def: $vgpr11
	v_cmpx_ne_u32_e64 v15, v16
	s_xor_b32 s12, exec_lo, s12
; %bb.3081:                             ;   in Loop: Header=BB4_2938 Depth=2
	v_cmp_lt_u32_e32 vcc_lo, 0xffffff, v14
	v_sub_nc_u32_e32 v11, v15, v16
	v_cndmask_b32_e64 v15, 0, 1, vcc_lo
	v_add_co_ci_u32_e64 v11, null, 0, v11, vcc_lo
	v_lshrrev_b32_e32 v14, v15, v14
; %bb.3082:                             ;   in Loop: Header=BB4_2938 Depth=2
	s_andn2_saveexec_b32 s12, s12
; %bb.3083:                             ;   in Loop: Header=BB4_2938 Depth=2
	v_bfe_u32 v11, v14, 23, 1
; %bb.3084:                             ;   in Loop: Header=BB4_2938 Depth=2
	s_or_b32 exec_lo, exec_lo, s12
	v_lshrrev_b32_e32 v14, 20, v14
	v_min_i32_e32 v15, 15, v11
	v_cmp_gt_i32_e32 vcc_lo, 16, v11
	v_and_b32_sdwa v10, v10, v85 dst_sel:DWORD dst_unused:UNUSED_PAD src0_sel:BYTE_3 src1_sel:DWORD
	v_lshlrev_b32_e32 v15, 3, v15
	v_cndmask_b32_e32 v14, 7, v14, vcc_lo
	v_and_b32_e32 v15, 0xf8, v15
	v_and_b32_e32 v16, 7, v14
	v_or_b32_e32 v11, v11, v14
	v_or3_b32 v10, v10, v15, v16
	v_cmp_ne_u32_e32 vcc_lo, 0, v11
	v_lshlrev_b32_e32 v10, 8, v10
	v_cndmask_b32_e32 v72, 0, v10, vcc_lo
.LBB4_3085:                             ;   in Loop: Header=BB4_2938 Depth=2
	s_or_b32 exec_lo, exec_lo, s41
.LBB4_3086:                             ;   in Loop: Header=BB4_2938 Depth=2
	s_or_b32 exec_lo, exec_lo, s40
	v_and_b32_sdwa v11, v12, v96 dst_sel:DWORD dst_unused:UNUSED_PAD src0_sel:WORD_1 src1_sel:DWORD
	s_mov_b32 s12, 0
	s_mov_b32 s40, exec_lo
	v_cmpx_lt_i16_e32 0x7f, v11
	s_xor_b32 s40, exec_lo, s40
	s_cbranch_execz .LBB4_4052
; %bb.3087:                             ;   in Loop: Header=BB4_2938 Depth=2
	s_mov_b32 s12, -1
	s_mov_b32 s41, exec_lo
	v_cmpx_eq_u16_e32 0x80, v11
; %bb.3088:                             ;   in Loop: Header=BB4_2938 Depth=2
	s_xor_b32 s12, exec_lo, -1
; %bb.3089:                             ;   in Loop: Header=BB4_2938 Depth=2
	s_or_b32 exec_lo, exec_lo, s41
	s_and_b32 s12, s12, exec_lo
                                        ; implicit-def: $vgpr11
	s_or_saveexec_b32 s40, s40
	v_mov_b32_e32 v10, 0x7f800001
	s_xor_b32 exec_lo, exec_lo, s40
	s_cbranch_execnz .LBB4_4053
.LBB4_3090:                             ;   in Loop: Header=BB4_2938 Depth=2
	s_or_b32 exec_lo, exec_lo, s40
	s_and_saveexec_b32 s40, s12
	s_cbranch_execz .LBB4_3092
.LBB4_3091:                             ;   in Loop: Header=BB4_2938 Depth=2
	v_bfe_u32 v10, v12, 16, 3
	v_bfe_u32 v15, v12, 19, 4
	v_lshlrev_b32_e32 v16, 8, v12
	v_ffbh_u32_e32 v11, v10
	v_cmp_eq_u32_e32 vcc_lo, 0, v15
	v_min_u32_e32 v11, 32, v11
	v_subrev_nc_u32_e32 v14, 28, v11
	v_sub_nc_u32_e32 v11, 29, v11
	v_lshlrev_b32_sdwa v14, v14, v12 dst_sel:DWORD dst_unused:UNUSED_PAD src0_sel:DWORD src1_sel:WORD_1
	v_cndmask_b32_e32 v11, v15, v11, vcc_lo
	v_and_b32_e32 v14, 7, v14
	v_lshl_add_u32 v11, v11, 23, 0x3b800000
	v_cndmask_b32_e32 v10, v10, v14, vcc_lo
	v_and_b32_e32 v14, 0x80000000, v16
	v_lshlrev_b32_e32 v10, 20, v10
	v_or3_b32 v10, v14, v11, v10
.LBB4_3092:                             ;   in Loop: Header=BB4_2938 Depth=2
	s_or_b32 exec_lo, exec_lo, s40
	v_mul_f32_e32 v10, s29, v10
	v_mov_b32_e32 v60, 0x80
	s_mov_b32 s40, exec_lo
	v_and_b32_e32 v11, 0x7f800000, v10
	v_cmpx_ne_u32_e32 0x7f800000, v11
	s_cbranch_execz .LBB4_3100
; %bb.3093:                             ;   in Loop: Header=BB4_2938 Depth=2
	v_mov_b32_e32 v60, 0
	s_mov_b32 s41, exec_lo
	v_cmpx_ne_u32_e32 0, v10
	s_cbranch_execz .LBB4_3099
; %bb.3094:                             ;   in Loop: Header=BB4_2938 Depth=2
	v_bfe_u32 v11, v10, 23, 8
	v_and_b32_e32 v14, 0x7fffff, v10
	v_sub_nc_u32_e32 v15, 0x78, v11
	v_cmp_gt_u32_e32 vcc_lo, 0x79, v11
	v_or_b32_e32 v16, 0x800000, v14
	v_cndmask_b32_e32 v15, 0, v15, vcc_lo
	v_cmp_eq_u32_e32 vcc_lo, 0, v11
	v_add_nc_u32_e32 v11, 0xffffff89, v11
	v_cndmask_b32_e64 v15, v15, 0x77, vcc_lo
	v_cndmask_b32_e32 v14, v16, v14, vcc_lo
	v_cndmask_b32_e64 v11, v11, 0xffffff8a, vcc_lo
	v_lshl_add_u32 v16, 0x100000, v15, -1
	v_lshrrev_b32_e32 v17, v15, v14
	v_lshlrev_b32_e64 v101, v15, 0x80000
	v_add_nc_u32_e32 v15, v15, v11
	v_and_b32_e32 v14, v16, v14
	v_bfe_u32 v100, v17, 20, 1
	v_cmp_eq_u32_e64 s12, v14, v101
	v_add_nc_u32_e32 v16, -1, v100
	v_cndmask_b32_e64 v14, 0, v16, s12
	v_lshrrev_b32_e32 v16, 23, v17
	s_mov_b32 s12, exec_lo
	v_add_nc_u32_e32 v14, v14, v17
	v_xor_b32_e32 v16, 1, v16
	v_and_b32_e32 v11, 0xfffff, v14
	v_add_nc_u32_e32 v14, v11, v17
                                        ; implicit-def: $vgpr11
	v_cmpx_ne_u32_e64 v15, v16
	s_xor_b32 s12, exec_lo, s12
; %bb.3095:                             ;   in Loop: Header=BB4_2938 Depth=2
	v_cmp_lt_u32_e32 vcc_lo, 0xffffff, v14
	v_sub_nc_u32_e32 v11, v15, v16
	v_cndmask_b32_e64 v15, 0, 1, vcc_lo
	v_add_co_ci_u32_e64 v11, null, 0, v11, vcc_lo
	v_lshrrev_b32_e32 v14, v15, v14
; %bb.3096:                             ;   in Loop: Header=BB4_2938 Depth=2
	s_andn2_saveexec_b32 s12, s12
; %bb.3097:                             ;   in Loop: Header=BB4_2938 Depth=2
	v_bfe_u32 v11, v14, 23, 1
; %bb.3098:                             ;   in Loop: Header=BB4_2938 Depth=2
	s_or_b32 exec_lo, exec_lo, s12
	v_lshrrev_b32_e32 v14, 20, v14
	v_min_i32_e32 v15, 15, v11
	v_cmp_gt_i32_e32 vcc_lo, 16, v11
	v_and_b32_sdwa v10, v10, v85 dst_sel:DWORD dst_unused:UNUSED_PAD src0_sel:BYTE_3 src1_sel:DWORD
	v_lshlrev_b32_e32 v15, 3, v15
	v_cndmask_b32_e32 v14, 7, v14, vcc_lo
	v_and_b32_e32 v15, 0xf8, v15
	v_and_b32_e32 v16, 7, v14
	v_or_b32_e32 v11, v11, v14
	v_or3_b32 v10, v15, v10, v16
	v_cmp_ne_u32_e32 vcc_lo, 0, v11
	v_cndmask_b32_e32 v60, 0, v10, vcc_lo
.LBB4_3099:                             ;   in Loop: Header=BB4_2938 Depth=2
	s_or_b32 exec_lo, exec_lo, s41
.LBB4_3100:                             ;   in Loop: Header=BB4_2938 Depth=2
	s_or_b32 exec_lo, exec_lo, s40
	v_cmp_gt_i16_sdwa s40, v12, v84 src0_sel:BYTE_3 src1_sel:DWORD
	s_mov_b32 s12, 0
	s_and_saveexec_b32 s41, s40
	s_xor_b32 s40, exec_lo, s41
	s_cbranch_execz .LBB4_4054
; %bb.3101:                             ;   in Loop: Header=BB4_2938 Depth=2
	v_cmp_eq_u16_sdwa s42, v12, v85 src0_sel:BYTE_3 src1_sel:DWORD
	s_mov_b32 s12, -1
	s_and_saveexec_b32 s41, s42
; %bb.3102:                             ;   in Loop: Header=BB4_2938 Depth=2
	s_xor_b32 s12, exec_lo, -1
; %bb.3103:                             ;   in Loop: Header=BB4_2938 Depth=2
	s_or_b32 exec_lo, exec_lo, s41
	s_and_b32 s12, s12, exec_lo
	s_or_saveexec_b32 s40, s40
	v_mov_b32_e32 v10, 0x7f800001
	s_xor_b32 exec_lo, exec_lo, s40
	s_cbranch_execnz .LBB4_4055
.LBB4_3104:                             ;   in Loop: Header=BB4_2938 Depth=2
	s_or_b32 exec_lo, exec_lo, s40
	s_and_saveexec_b32 s40, s12
	s_cbranch_execz .LBB4_3106
.LBB4_3105:                             ;   in Loop: Header=BB4_2938 Depth=2
	v_bfe_u32 v10, v12, 24, 3
	v_bfe_u32 v15, v12, 27, 4
	v_ffbh_u32_e32 v11, v10
	v_cmp_eq_u32_e32 vcc_lo, 0, v15
	v_min_u32_e32 v11, 32, v11
	v_subrev_nc_u32_e32 v14, 28, v11
	v_sub_nc_u32_e32 v11, 29, v11
	v_lshlrev_b32_sdwa v14, v14, v12 dst_sel:DWORD dst_unused:UNUSED_PAD src0_sel:DWORD src1_sel:BYTE_3
	v_cndmask_b32_e32 v11, v15, v11, vcc_lo
	v_and_b32_e32 v12, 0x80000000, v12
	v_and_b32_e32 v14, 7, v14
	v_lshl_add_u32 v11, v11, 23, 0x3b800000
	v_cndmask_b32_e32 v10, v10, v14, vcc_lo
	v_lshlrev_b32_e32 v10, 20, v10
	v_or3_b32 v10, v12, v11, v10
.LBB4_3106:                             ;   in Loop: Header=BB4_2938 Depth=2
	s_or_b32 exec_lo, exec_lo, s40
	v_mul_f32_e32 v10, s29, v10
	v_mov_b32_e32 v63, 0x8000
	s_mov_b32 s40, exec_lo
	v_and_b32_e32 v11, 0x7f800000, v10
	v_cmpx_ne_u32_e32 0x7f800000, v11
	s_cbranch_execz .LBB4_3114
; %bb.3107:                             ;   in Loop: Header=BB4_2938 Depth=2
	v_mov_b32_e32 v63, 0
	s_mov_b32 s41, exec_lo
	v_cmpx_ne_u32_e32 0, v10
	s_cbranch_execz .LBB4_3113
; %bb.3108:                             ;   in Loop: Header=BB4_2938 Depth=2
	v_bfe_u32 v11, v10, 23, 8
	v_and_b32_e32 v12, 0x7fffff, v10
	v_sub_nc_u32_e32 v14, 0x78, v11
	v_cmp_gt_u32_e32 vcc_lo, 0x79, v11
	v_or_b32_e32 v15, 0x800000, v12
	v_cndmask_b32_e32 v14, 0, v14, vcc_lo
	v_cmp_eq_u32_e32 vcc_lo, 0, v11
	v_add_nc_u32_e32 v11, 0xffffff89, v11
	v_cndmask_b32_e64 v14, v14, 0x77, vcc_lo
	v_cndmask_b32_e32 v12, v15, v12, vcc_lo
	v_cndmask_b32_e64 v11, v11, 0xffffff8a, vcc_lo
	v_lshl_add_u32 v15, 0x100000, v14, -1
	v_lshrrev_b32_e32 v16, v14, v12
	v_lshlrev_b32_e64 v100, v14, 0x80000
	v_add_nc_u32_e32 v14, v14, v11
	v_and_b32_e32 v12, v15, v12
	v_bfe_u32 v17, v16, 20, 1
	v_cmp_eq_u32_e64 s12, v12, v100
	v_add_nc_u32_e32 v15, -1, v17
	v_cndmask_b32_e64 v12, 0, v15, s12
	v_lshrrev_b32_e32 v15, 23, v16
	s_mov_b32 s12, exec_lo
	v_add_nc_u32_e32 v12, v12, v16
	v_xor_b32_e32 v15, 1, v15
	v_and_b32_e32 v11, 0xfffff, v12
	v_add_nc_u32_e32 v12, v11, v16
                                        ; implicit-def: $vgpr11
	v_cmpx_ne_u32_e64 v14, v15
	s_xor_b32 s12, exec_lo, s12
; %bb.3109:                             ;   in Loop: Header=BB4_2938 Depth=2
	v_cmp_lt_u32_e32 vcc_lo, 0xffffff, v12
	v_sub_nc_u32_e32 v11, v14, v15
	v_cndmask_b32_e64 v14, 0, 1, vcc_lo
	v_add_co_ci_u32_e64 v11, null, 0, v11, vcc_lo
	v_lshrrev_b32_e32 v12, v14, v12
; %bb.3110:                             ;   in Loop: Header=BB4_2938 Depth=2
	s_andn2_saveexec_b32 s12, s12
; %bb.3111:                             ;   in Loop: Header=BB4_2938 Depth=2
	v_bfe_u32 v11, v12, 23, 1
; %bb.3112:                             ;   in Loop: Header=BB4_2938 Depth=2
	s_or_b32 exec_lo, exec_lo, s12
	v_lshrrev_b32_e32 v12, 20, v12
	v_min_i32_e32 v14, 15, v11
	v_cmp_gt_i32_e32 vcc_lo, 16, v11
	v_and_b32_sdwa v10, v10, v85 dst_sel:DWORD dst_unused:UNUSED_PAD src0_sel:BYTE_3 src1_sel:DWORD
	v_lshlrev_b32_e32 v14, 3, v14
	v_cndmask_b32_e32 v12, 7, v12, vcc_lo
	v_and_b32_e32 v14, 0xf8, v14
	v_and_b32_e32 v15, 7, v12
	v_or_b32_e32 v11, v11, v12
	v_or3_b32 v10, v10, v14, v15
	v_cmp_ne_u32_e32 vcc_lo, 0, v11
	v_lshlrev_b32_e32 v10, 8, v10
	v_cndmask_b32_e32 v63, 0, v10, vcc_lo
.LBB4_3113:                             ;   in Loop: Header=BB4_2938 Depth=2
	s_or_b32 exec_lo, exec_lo, s41
.LBB4_3114:                             ;   in Loop: Header=BB4_2938 Depth=2
	s_or_b32 exec_lo, exec_lo, s40
	v_cmp_gt_i16_sdwa s40, v13, v84 src0_sel:BYTE_0 src1_sel:DWORD
	s_mov_b32 s12, 0
	s_and_saveexec_b32 s41, s40
	s_xor_b32 s40, exec_lo, s41
	s_cbranch_execz .LBB4_4056
; %bb.3115:                             ;   in Loop: Header=BB4_2938 Depth=2
	v_cmp_eq_u16_sdwa s42, v13, v85 src0_sel:BYTE_0 src1_sel:DWORD
	s_mov_b32 s12, -1
	s_and_saveexec_b32 s41, s42
; %bb.3116:                             ;   in Loop: Header=BB4_2938 Depth=2
	s_xor_b32 s12, exec_lo, -1
; %bb.3117:                             ;   in Loop: Header=BB4_2938 Depth=2
	s_or_b32 exec_lo, exec_lo, s41
	s_and_b32 s12, s12, exec_lo
	s_or_saveexec_b32 s40, s40
	v_mov_b32_e32 v10, 0x7f800001
	s_xor_b32 exec_lo, exec_lo, s40
	s_cbranch_execnz .LBB4_4057
.LBB4_3118:                             ;   in Loop: Header=BB4_2938 Depth=2
	s_or_b32 exec_lo, exec_lo, s40
	s_and_saveexec_b32 s40, s12
	s_cbranch_execz .LBB4_3120
.LBB4_3119:                             ;   in Loop: Header=BB4_2938 Depth=2
	v_and_b32_e32 v10, 7, v13
	v_bfe_u32 v14, v13, 3, 4
	v_lshlrev_b32_e32 v15, 24, v13
	v_ffbh_u32_e32 v11, v10
	v_cmp_eq_u32_e32 vcc_lo, 0, v14
	v_min_u32_e32 v11, 32, v11
	v_subrev_nc_u32_e32 v12, 28, v11
	v_sub_nc_u32_e32 v11, 29, v11
	v_lshlrev_b32_e32 v12, v12, v13
	v_cndmask_b32_e32 v11, v14, v11, vcc_lo
	v_and_b32_e32 v12, 7, v12
	v_lshl_add_u32 v11, v11, 23, 0x3b800000
	v_cndmask_b32_e32 v10, v10, v12, vcc_lo
	v_and_b32_e32 v12, 0x80000000, v15
	v_lshlrev_b32_e32 v10, 20, v10
	v_or3_b32 v10, v12, v11, v10
.LBB4_3120:                             ;   in Loop: Header=BB4_2938 Depth=2
	s_or_b32 exec_lo, exec_lo, s40
	v_mul_f32_e32 v10, s29, v10
	v_mov_b32_e32 v57, 0x80
	s_mov_b32 s40, exec_lo
	v_and_b32_e32 v11, 0x7f800000, v10
	v_cmpx_ne_u32_e32 0x7f800000, v11
	s_cbranch_execz .LBB4_3128
; %bb.3121:                             ;   in Loop: Header=BB4_2938 Depth=2
	v_mov_b32_e32 v57, 0
	s_mov_b32 s41, exec_lo
	v_cmpx_ne_u32_e32 0, v10
	s_cbranch_execz .LBB4_3127
; %bb.3122:                             ;   in Loop: Header=BB4_2938 Depth=2
	v_bfe_u32 v11, v10, 23, 8
	v_and_b32_e32 v12, 0x7fffff, v10
	v_sub_nc_u32_e32 v14, 0x78, v11
	v_cmp_gt_u32_e32 vcc_lo, 0x79, v11
	v_or_b32_e32 v15, 0x800000, v12
	v_cndmask_b32_e32 v14, 0, v14, vcc_lo
	v_cmp_eq_u32_e32 vcc_lo, 0, v11
	v_add_nc_u32_e32 v11, 0xffffff89, v11
	v_cndmask_b32_e64 v14, v14, 0x77, vcc_lo
	v_cndmask_b32_e32 v12, v15, v12, vcc_lo
	v_cndmask_b32_e64 v11, v11, 0xffffff8a, vcc_lo
	v_lshl_add_u32 v15, 0x100000, v14, -1
	v_lshrrev_b32_e32 v16, v14, v12
	v_lshlrev_b32_e64 v100, v14, 0x80000
	v_add_nc_u32_e32 v14, v14, v11
	v_and_b32_e32 v12, v15, v12
	v_bfe_u32 v17, v16, 20, 1
	v_cmp_eq_u32_e64 s12, v12, v100
	v_add_nc_u32_e32 v15, -1, v17
	v_cndmask_b32_e64 v12, 0, v15, s12
	v_lshrrev_b32_e32 v15, 23, v16
	s_mov_b32 s12, exec_lo
	v_add_nc_u32_e32 v12, v12, v16
	v_xor_b32_e32 v15, 1, v15
	v_and_b32_e32 v11, 0xfffff, v12
	v_add_nc_u32_e32 v12, v11, v16
                                        ; implicit-def: $vgpr11
	v_cmpx_ne_u32_e64 v14, v15
	s_xor_b32 s12, exec_lo, s12
; %bb.3123:                             ;   in Loop: Header=BB4_2938 Depth=2
	v_cmp_lt_u32_e32 vcc_lo, 0xffffff, v12
	v_sub_nc_u32_e32 v11, v14, v15
	v_cndmask_b32_e64 v14, 0, 1, vcc_lo
	v_add_co_ci_u32_e64 v11, null, 0, v11, vcc_lo
	v_lshrrev_b32_e32 v12, v14, v12
; %bb.3124:                             ;   in Loop: Header=BB4_2938 Depth=2
	s_andn2_saveexec_b32 s12, s12
; %bb.3125:                             ;   in Loop: Header=BB4_2938 Depth=2
	v_bfe_u32 v11, v12, 23, 1
; %bb.3126:                             ;   in Loop: Header=BB4_2938 Depth=2
	s_or_b32 exec_lo, exec_lo, s12
	v_lshrrev_b32_e32 v12, 20, v12
	v_min_i32_e32 v14, 15, v11
	v_cmp_gt_i32_e32 vcc_lo, 16, v11
	v_and_b32_sdwa v10, v10, v85 dst_sel:DWORD dst_unused:UNUSED_PAD src0_sel:BYTE_3 src1_sel:DWORD
	v_lshlrev_b32_e32 v14, 3, v14
	v_cndmask_b32_e32 v12, 7, v12, vcc_lo
	v_and_b32_e32 v14, 0xf8, v14
	v_and_b32_e32 v15, 7, v12
	v_or_b32_e32 v11, v11, v12
	v_or3_b32 v10, v14, v10, v15
	v_cmp_ne_u32_e32 vcc_lo, 0, v11
	v_cndmask_b32_e32 v57, 0, v10, vcc_lo
.LBB4_3127:                             ;   in Loop: Header=BB4_2938 Depth=2
	s_or_b32 exec_lo, exec_lo, s41
.LBB4_3128:                             ;   in Loop: Header=BB4_2938 Depth=2
	s_or_b32 exec_lo, exec_lo, s40
	v_cmp_gt_i16_sdwa s40, v13, v84 src0_sel:BYTE_1 src1_sel:DWORD
	s_mov_b32 s12, 0
	s_and_saveexec_b32 s41, s40
	s_xor_b32 s40, exec_lo, s41
	s_cbranch_execz .LBB4_4058
; %bb.3129:                             ;   in Loop: Header=BB4_2938 Depth=2
	v_cmp_eq_u16_sdwa s42, v13, v85 src0_sel:BYTE_1 src1_sel:DWORD
	s_mov_b32 s12, -1
	s_and_saveexec_b32 s41, s42
; %bb.3130:                             ;   in Loop: Header=BB4_2938 Depth=2
	s_xor_b32 s12, exec_lo, -1
; %bb.3131:                             ;   in Loop: Header=BB4_2938 Depth=2
	s_or_b32 exec_lo, exec_lo, s41
	s_and_b32 s12, s12, exec_lo
	s_or_saveexec_b32 s40, s40
	v_mov_b32_e32 v10, 0x7f800001
	s_xor_b32 exec_lo, exec_lo, s40
	s_cbranch_execnz .LBB4_4059
.LBB4_3132:                             ;   in Loop: Header=BB4_2938 Depth=2
	s_or_b32 exec_lo, exec_lo, s40
	s_and_saveexec_b32 s40, s12
	s_cbranch_execz .LBB4_3134
.LBB4_3133:                             ;   in Loop: Header=BB4_2938 Depth=2
	v_and_b32_sdwa v10, v86, v13 dst_sel:DWORD dst_unused:UNUSED_PAD src0_sel:DWORD src1_sel:BYTE_1
	v_and_b32_e32 v11, 7, v10
	v_bfe_u32 v15, v10, 3, 4
	v_ffbh_u32_e32 v12, v11
	v_cmp_eq_u32_e32 vcc_lo, 0, v15
	v_min_u32_e32 v12, 32, v12
	v_subrev_nc_u32_e32 v14, 28, v12
	v_sub_nc_u32_e32 v12, 29, v12
	v_lshlrev_b32_e32 v10, v14, v10
	v_lshlrev_b32_sdwa v14, v87, v13 dst_sel:DWORD dst_unused:UNUSED_PAD src0_sel:DWORD src1_sel:BYTE_1
	v_cndmask_b32_e32 v12, v15, v12, vcc_lo
	v_and_b32_e32 v10, 7, v10
	v_lshl_add_u32 v12, v12, 23, 0x3b800000
	v_cndmask_b32_e32 v10, v11, v10, vcc_lo
	v_and_b32_e32 v11, 0x80000000, v14
	v_lshlrev_b32_e32 v10, 20, v10
	v_or3_b32 v10, v11, v12, v10
.LBB4_3134:                             ;   in Loop: Header=BB4_2938 Depth=2
	s_or_b32 exec_lo, exec_lo, s40
	v_mul_f32_e32 v10, s29, v10
	v_mov_b32_e32 v61, 0x8000
	s_mov_b32 s40, exec_lo
	v_and_b32_e32 v11, 0x7f800000, v10
	v_cmpx_ne_u32_e32 0x7f800000, v11
	s_cbranch_execz .LBB4_3142
; %bb.3135:                             ;   in Loop: Header=BB4_2938 Depth=2
	v_mov_b32_e32 v61, 0
	s_mov_b32 s41, exec_lo
	v_cmpx_ne_u32_e32 0, v10
	s_cbranch_execz .LBB4_3141
; %bb.3136:                             ;   in Loop: Header=BB4_2938 Depth=2
	v_bfe_u32 v11, v10, 23, 8
	v_and_b32_e32 v12, 0x7fffff, v10
	v_sub_nc_u32_e32 v14, 0x78, v11
	v_cmp_gt_u32_e32 vcc_lo, 0x79, v11
	v_or_b32_e32 v15, 0x800000, v12
	v_cndmask_b32_e32 v14, 0, v14, vcc_lo
	v_cmp_eq_u32_e32 vcc_lo, 0, v11
	v_add_nc_u32_e32 v11, 0xffffff89, v11
	v_cndmask_b32_e64 v14, v14, 0x77, vcc_lo
	v_cndmask_b32_e32 v12, v15, v12, vcc_lo
	v_cndmask_b32_e64 v11, v11, 0xffffff8a, vcc_lo
	v_lshl_add_u32 v15, 0x100000, v14, -1
	v_lshrrev_b32_e32 v16, v14, v12
	v_lshlrev_b32_e64 v100, v14, 0x80000
	v_add_nc_u32_e32 v14, v14, v11
	v_and_b32_e32 v12, v15, v12
	v_bfe_u32 v17, v16, 20, 1
	v_cmp_eq_u32_e64 s12, v12, v100
	v_add_nc_u32_e32 v15, -1, v17
	v_cndmask_b32_e64 v12, 0, v15, s12
	v_lshrrev_b32_e32 v15, 23, v16
	s_mov_b32 s12, exec_lo
	v_add_nc_u32_e32 v12, v12, v16
	v_xor_b32_e32 v15, 1, v15
	v_and_b32_e32 v11, 0xfffff, v12
	v_add_nc_u32_e32 v12, v11, v16
                                        ; implicit-def: $vgpr11
	v_cmpx_ne_u32_e64 v14, v15
	s_xor_b32 s12, exec_lo, s12
; %bb.3137:                             ;   in Loop: Header=BB4_2938 Depth=2
	v_cmp_lt_u32_e32 vcc_lo, 0xffffff, v12
	v_sub_nc_u32_e32 v11, v14, v15
	v_cndmask_b32_e64 v14, 0, 1, vcc_lo
	v_add_co_ci_u32_e64 v11, null, 0, v11, vcc_lo
	v_lshrrev_b32_e32 v12, v14, v12
; %bb.3138:                             ;   in Loop: Header=BB4_2938 Depth=2
	s_andn2_saveexec_b32 s12, s12
; %bb.3139:                             ;   in Loop: Header=BB4_2938 Depth=2
	v_bfe_u32 v11, v12, 23, 1
; %bb.3140:                             ;   in Loop: Header=BB4_2938 Depth=2
	s_or_b32 exec_lo, exec_lo, s12
	v_lshrrev_b32_e32 v12, 20, v12
	v_min_i32_e32 v14, 15, v11
	v_cmp_gt_i32_e32 vcc_lo, 16, v11
	v_and_b32_sdwa v10, v10, v85 dst_sel:DWORD dst_unused:UNUSED_PAD src0_sel:BYTE_3 src1_sel:DWORD
	v_lshlrev_b32_e32 v14, 3, v14
	v_cndmask_b32_e32 v12, 7, v12, vcc_lo
	v_and_b32_e32 v14, 0xf8, v14
	v_and_b32_e32 v15, 7, v12
	v_or_b32_e32 v11, v11, v12
	v_or3_b32 v10, v10, v14, v15
	v_cmp_ne_u32_e32 vcc_lo, 0, v11
	v_lshlrev_b32_e32 v10, 8, v10
	v_cndmask_b32_e32 v61, 0, v10, vcc_lo
.LBB4_3141:                             ;   in Loop: Header=BB4_2938 Depth=2
	s_or_b32 exec_lo, exec_lo, s41
.LBB4_3142:                             ;   in Loop: Header=BB4_2938 Depth=2
	s_or_b32 exec_lo, exec_lo, s40
	v_and_b32_sdwa v11, v13, v96 dst_sel:DWORD dst_unused:UNUSED_PAD src0_sel:WORD_1 src1_sel:DWORD
	s_mov_b32 s12, 0
	s_mov_b32 s40, exec_lo
	v_cmpx_lt_i16_e32 0x7f, v11
	s_xor_b32 s40, exec_lo, s40
	s_cbranch_execz .LBB4_4060
; %bb.3143:                             ;   in Loop: Header=BB4_2938 Depth=2
	s_mov_b32 s12, -1
	s_mov_b32 s41, exec_lo
	v_cmpx_eq_u16_e32 0x80, v11
; %bb.3144:                             ;   in Loop: Header=BB4_2938 Depth=2
	s_xor_b32 s12, exec_lo, -1
; %bb.3145:                             ;   in Loop: Header=BB4_2938 Depth=2
	s_or_b32 exec_lo, exec_lo, s41
	s_and_b32 s12, s12, exec_lo
                                        ; implicit-def: $vgpr11
	s_or_saveexec_b32 s40, s40
	v_mov_b32_e32 v10, 0x7f800001
	s_xor_b32 exec_lo, exec_lo, s40
	s_cbranch_execnz .LBB4_4061
.LBB4_3146:                             ;   in Loop: Header=BB4_2938 Depth=2
	s_or_b32 exec_lo, exec_lo, s40
	s_and_saveexec_b32 s40, s12
	s_cbranch_execz .LBB4_3148
.LBB4_3147:                             ;   in Loop: Header=BB4_2938 Depth=2
	v_bfe_u32 v10, v13, 16, 3
	v_bfe_u32 v14, v13, 19, 4
	v_lshlrev_b32_e32 v15, 8, v13
	v_ffbh_u32_e32 v11, v10
	v_cmp_eq_u32_e32 vcc_lo, 0, v14
	v_min_u32_e32 v11, 32, v11
	v_subrev_nc_u32_e32 v12, 28, v11
	v_sub_nc_u32_e32 v11, 29, v11
	v_lshlrev_b32_sdwa v12, v12, v13 dst_sel:DWORD dst_unused:UNUSED_PAD src0_sel:DWORD src1_sel:WORD_1
	v_cndmask_b32_e32 v11, v14, v11, vcc_lo
	v_and_b32_e32 v12, 7, v12
	v_lshl_add_u32 v11, v11, 23, 0x3b800000
	v_cndmask_b32_e32 v10, v10, v12, vcc_lo
	v_and_b32_e32 v12, 0x80000000, v15
	v_lshlrev_b32_e32 v10, 20, v10
	v_or3_b32 v10, v12, v11, v10
.LBB4_3148:                             ;   in Loop: Header=BB4_2938 Depth=2
	s_or_b32 exec_lo, exec_lo, s40
	v_mul_f32_e32 v10, s29, v10
	v_mov_b32_e32 v46, 0x80
	s_mov_b32 s40, exec_lo
	v_and_b32_e32 v11, 0x7f800000, v10
	v_cmpx_ne_u32_e32 0x7f800000, v11
	s_cbranch_execz .LBB4_3156
; %bb.3149:                             ;   in Loop: Header=BB4_2938 Depth=2
	v_mov_b32_e32 v46, 0
	s_mov_b32 s41, exec_lo
	v_cmpx_ne_u32_e32 0, v10
	s_cbranch_execz .LBB4_3155
; %bb.3150:                             ;   in Loop: Header=BB4_2938 Depth=2
	v_bfe_u32 v11, v10, 23, 8
	v_and_b32_e32 v12, 0x7fffff, v10
	v_sub_nc_u32_e32 v14, 0x78, v11
	v_cmp_gt_u32_e32 vcc_lo, 0x79, v11
	v_or_b32_e32 v15, 0x800000, v12
	v_cndmask_b32_e32 v14, 0, v14, vcc_lo
	v_cmp_eq_u32_e32 vcc_lo, 0, v11
	v_add_nc_u32_e32 v11, 0xffffff89, v11
	v_cndmask_b32_e64 v14, v14, 0x77, vcc_lo
	v_cndmask_b32_e32 v12, v15, v12, vcc_lo
	v_cndmask_b32_e64 v11, v11, 0xffffff8a, vcc_lo
	v_lshl_add_u32 v15, 0x100000, v14, -1
	v_lshrrev_b32_e32 v16, v14, v12
	v_lshlrev_b32_e64 v100, v14, 0x80000
	v_add_nc_u32_e32 v14, v14, v11
	v_and_b32_e32 v12, v15, v12
	v_bfe_u32 v17, v16, 20, 1
	v_cmp_eq_u32_e64 s12, v12, v100
	v_add_nc_u32_e32 v15, -1, v17
	v_cndmask_b32_e64 v12, 0, v15, s12
	v_lshrrev_b32_e32 v15, 23, v16
	s_mov_b32 s12, exec_lo
	v_add_nc_u32_e32 v12, v12, v16
	v_xor_b32_e32 v15, 1, v15
	v_and_b32_e32 v11, 0xfffff, v12
	v_add_nc_u32_e32 v12, v11, v16
                                        ; implicit-def: $vgpr11
	v_cmpx_ne_u32_e64 v14, v15
	s_xor_b32 s12, exec_lo, s12
; %bb.3151:                             ;   in Loop: Header=BB4_2938 Depth=2
	v_cmp_lt_u32_e32 vcc_lo, 0xffffff, v12
	v_sub_nc_u32_e32 v11, v14, v15
	v_cndmask_b32_e64 v14, 0, 1, vcc_lo
	v_add_co_ci_u32_e64 v11, null, 0, v11, vcc_lo
	v_lshrrev_b32_e32 v12, v14, v12
; %bb.3152:                             ;   in Loop: Header=BB4_2938 Depth=2
	s_andn2_saveexec_b32 s12, s12
; %bb.3153:                             ;   in Loop: Header=BB4_2938 Depth=2
	v_bfe_u32 v11, v12, 23, 1
; %bb.3154:                             ;   in Loop: Header=BB4_2938 Depth=2
	s_or_b32 exec_lo, exec_lo, s12
	v_lshrrev_b32_e32 v12, 20, v12
	v_min_i32_e32 v14, 15, v11
	v_cmp_gt_i32_e32 vcc_lo, 16, v11
	v_and_b32_sdwa v10, v10, v85 dst_sel:DWORD dst_unused:UNUSED_PAD src0_sel:BYTE_3 src1_sel:DWORD
	v_lshlrev_b32_e32 v14, 3, v14
	v_cndmask_b32_e32 v12, 7, v12, vcc_lo
	v_and_b32_e32 v14, 0xf8, v14
	v_and_b32_e32 v15, 7, v12
	v_or_b32_e32 v11, v11, v12
	v_or3_b32 v10, v14, v10, v15
	v_cmp_ne_u32_e32 vcc_lo, 0, v11
	v_cndmask_b32_e32 v46, 0, v10, vcc_lo
.LBB4_3155:                             ;   in Loop: Header=BB4_2938 Depth=2
	s_or_b32 exec_lo, exec_lo, s41
.LBB4_3156:                             ;   in Loop: Header=BB4_2938 Depth=2
	s_or_b32 exec_lo, exec_lo, s40
	v_cmp_gt_i16_sdwa s40, v13, v84 src0_sel:BYTE_3 src1_sel:DWORD
	s_mov_b32 s12, 0
	s_and_saveexec_b32 s41, s40
	s_xor_b32 s40, exec_lo, s41
	s_cbranch_execz .LBB4_4062
; %bb.3157:                             ;   in Loop: Header=BB4_2938 Depth=2
	v_cmp_eq_u16_sdwa s42, v13, v85 src0_sel:BYTE_3 src1_sel:DWORD
	s_mov_b32 s12, -1
	s_and_saveexec_b32 s41, s42
; %bb.3158:                             ;   in Loop: Header=BB4_2938 Depth=2
	s_xor_b32 s12, exec_lo, -1
; %bb.3159:                             ;   in Loop: Header=BB4_2938 Depth=2
	s_or_b32 exec_lo, exec_lo, s41
	s_and_b32 s12, s12, exec_lo
	s_or_saveexec_b32 s40, s40
	v_mov_b32_e32 v10, 0x7f800001
	s_xor_b32 exec_lo, exec_lo, s40
	s_cbranch_execnz .LBB4_4063
.LBB4_3160:                             ;   in Loop: Header=BB4_2938 Depth=2
	s_or_b32 exec_lo, exec_lo, s40
	s_and_saveexec_b32 s40, s12
	s_cbranch_execz .LBB4_3162
.LBB4_3161:                             ;   in Loop: Header=BB4_2938 Depth=2
	v_bfe_u32 v10, v13, 24, 3
	v_bfe_u32 v14, v13, 27, 4
	v_ffbh_u32_e32 v11, v10
	v_cmp_eq_u32_e32 vcc_lo, 0, v14
	v_min_u32_e32 v11, 32, v11
	v_subrev_nc_u32_e32 v12, 28, v11
	v_sub_nc_u32_e32 v11, 29, v11
	v_lshlrev_b32_sdwa v12, v12, v13 dst_sel:DWORD dst_unused:UNUSED_PAD src0_sel:DWORD src1_sel:BYTE_3
	v_cndmask_b32_e32 v11, v14, v11, vcc_lo
	v_and_b32_e32 v12, 7, v12
	v_lshl_add_u32 v11, v11, 23, 0x3b800000
	v_cndmask_b32_e32 v10, v10, v12, vcc_lo
	v_and_b32_e32 v12, 0x80000000, v13
	v_lshlrev_b32_e32 v10, 20, v10
	v_or3_b32 v10, v12, v11, v10
.LBB4_3162:                             ;   in Loop: Header=BB4_2938 Depth=2
	s_or_b32 exec_lo, exec_lo, s40
	v_mul_f32_e32 v10, s29, v10
	v_mov_b32_e32 v58, 0x8000
	s_mov_b32 s40, exec_lo
	v_and_b32_e32 v11, 0x7f800000, v10
	v_cmpx_ne_u32_e32 0x7f800000, v11
	s_cbranch_execz .LBB4_3170
; %bb.3163:                             ;   in Loop: Header=BB4_2938 Depth=2
	v_mov_b32_e32 v58, 0
	s_mov_b32 s41, exec_lo
	v_cmpx_ne_u32_e32 0, v10
	s_cbranch_execz .LBB4_3169
; %bb.3164:                             ;   in Loop: Header=BB4_2938 Depth=2
	v_bfe_u32 v11, v10, 23, 8
	v_and_b32_e32 v12, 0x7fffff, v10
	v_sub_nc_u32_e32 v13, 0x78, v11
	v_cmp_gt_u32_e32 vcc_lo, 0x79, v11
	v_or_b32_e32 v14, 0x800000, v12
	v_cndmask_b32_e32 v13, 0, v13, vcc_lo
	v_cmp_eq_u32_e32 vcc_lo, 0, v11
	v_add_nc_u32_e32 v11, 0xffffff89, v11
	v_cndmask_b32_e64 v13, v13, 0x77, vcc_lo
	v_cndmask_b32_e32 v12, v14, v12, vcc_lo
	v_cndmask_b32_e64 v11, v11, 0xffffff8a, vcc_lo
	v_lshl_add_u32 v14, 0x100000, v13, -1
	v_lshrrev_b32_e32 v15, v13, v12
	v_lshlrev_b32_e64 v17, v13, 0x80000
	v_add_nc_u32_e32 v13, v13, v11
	v_and_b32_e32 v12, v14, v12
	v_bfe_u32 v16, v15, 20, 1
	v_cmp_eq_u32_e64 s12, v12, v17
	v_add_nc_u32_e32 v14, -1, v16
	v_cndmask_b32_e64 v12, 0, v14, s12
	v_lshrrev_b32_e32 v14, 23, v15
	s_mov_b32 s12, exec_lo
	v_add_nc_u32_e32 v12, v12, v15
	v_xor_b32_e32 v14, 1, v14
	v_and_b32_e32 v11, 0xfffff, v12
	v_add_nc_u32_e32 v12, v11, v15
                                        ; implicit-def: $vgpr11
	v_cmpx_ne_u32_e64 v13, v14
	s_xor_b32 s12, exec_lo, s12
; %bb.3165:                             ;   in Loop: Header=BB4_2938 Depth=2
	v_cmp_lt_u32_e32 vcc_lo, 0xffffff, v12
	v_sub_nc_u32_e32 v11, v13, v14
	v_cndmask_b32_e64 v13, 0, 1, vcc_lo
	v_add_co_ci_u32_e64 v11, null, 0, v11, vcc_lo
	v_lshrrev_b32_e32 v12, v13, v12
; %bb.3166:                             ;   in Loop: Header=BB4_2938 Depth=2
	s_andn2_saveexec_b32 s12, s12
; %bb.3167:                             ;   in Loop: Header=BB4_2938 Depth=2
	v_bfe_u32 v11, v12, 23, 1
; %bb.3168:                             ;   in Loop: Header=BB4_2938 Depth=2
	s_or_b32 exec_lo, exec_lo, s12
	v_lshrrev_b32_e32 v12, 20, v12
	v_min_i32_e32 v13, 15, v11
	v_cmp_gt_i32_e32 vcc_lo, 16, v11
	v_and_b32_sdwa v10, v10, v85 dst_sel:DWORD dst_unused:UNUSED_PAD src0_sel:BYTE_3 src1_sel:DWORD
	v_lshlrev_b32_e32 v13, 3, v13
	v_cndmask_b32_e32 v12, 7, v12, vcc_lo
	v_and_b32_e32 v13, 0xf8, v13
	v_and_b32_e32 v14, 7, v12
	v_or_b32_e32 v11, v11, v12
	v_or3_b32 v10, v10, v13, v14
	v_cmp_ne_u32_e32 vcc_lo, 0, v11
	v_lshlrev_b32_e32 v10, 8, v10
	v_cndmask_b32_e32 v58, 0, v10, vcc_lo
.LBB4_3169:                             ;   in Loop: Header=BB4_2938 Depth=2
	s_or_b32 exec_lo, exec_lo, s41
.LBB4_3170:                             ;   in Loop: Header=BB4_2938 Depth=2
	s_or_b32 exec_lo, exec_lo, s40
	global_load_dwordx4 v[10:13], v[52:53], off offset:512 slc
	s_mov_b32 s12, 0
	s_waitcnt vmcnt(0)
	v_cmp_gt_i16_sdwa s40, v10, v84 src0_sel:BYTE_0 src1_sel:DWORD
	s_and_saveexec_b32 s41, s40
	s_xor_b32 s40, exec_lo, s41
	s_cbranch_execz .LBB4_4064
; %bb.3171:                             ;   in Loop: Header=BB4_2938 Depth=2
	v_cmp_eq_u16_sdwa s42, v10, v85 src0_sel:BYTE_0 src1_sel:DWORD
	s_mov_b32 s12, -1
	s_and_saveexec_b32 s41, s42
; %bb.3172:                             ;   in Loop: Header=BB4_2938 Depth=2
	s_xor_b32 s12, exec_lo, -1
; %bb.3173:                             ;   in Loop: Header=BB4_2938 Depth=2
	s_or_b32 exec_lo, exec_lo, s41
	s_and_b32 s12, s12, exec_lo
	s_or_saveexec_b32 s40, s40
	v_mov_b32_e32 v14, 0x7f800001
	s_xor_b32 exec_lo, exec_lo, s40
	s_cbranch_execnz .LBB4_4065
.LBB4_3174:                             ;   in Loop: Header=BB4_2938 Depth=2
	s_or_b32 exec_lo, exec_lo, s40
	s_and_saveexec_b32 s40, s12
	s_cbranch_execz .LBB4_3176
.LBB4_3175:                             ;   in Loop: Header=BB4_2938 Depth=2
	v_and_b32_e32 v14, 7, v10
	v_bfe_u32 v17, v10, 3, 4
	v_lshlrev_b32_e32 v100, 24, v10
	v_ffbh_u32_e32 v15, v14
	v_cmp_eq_u32_e32 vcc_lo, 0, v17
	v_min_u32_e32 v15, 32, v15
	v_subrev_nc_u32_e32 v16, 28, v15
	v_sub_nc_u32_e32 v15, 29, v15
	v_lshlrev_b32_e32 v16, v16, v10
	v_cndmask_b32_e32 v15, v17, v15, vcc_lo
	v_and_b32_e32 v16, 7, v16
	v_lshl_add_u32 v15, v15, 23, 0x3b800000
	v_cndmask_b32_e32 v14, v14, v16, vcc_lo
	v_and_b32_e32 v16, 0x80000000, v100
	v_lshlrev_b32_e32 v14, 20, v14
	v_or3_b32 v14, v16, v15, v14
.LBB4_3176:                             ;   in Loop: Header=BB4_2938 Depth=2
	s_or_b32 exec_lo, exec_lo, s40
	v_mul_f32_e32 v14, s29, v14
	v_mov_b32_e32 v44, 0x80
	s_mov_b32 s40, exec_lo
	v_and_b32_e32 v15, 0x7f800000, v14
	v_cmpx_ne_u32_e32 0x7f800000, v15
	s_cbranch_execz .LBB4_3184
; %bb.3177:                             ;   in Loop: Header=BB4_2938 Depth=2
	v_mov_b32_e32 v44, 0
	s_mov_b32 s41, exec_lo
	v_cmpx_ne_u32_e32 0, v14
	s_cbranch_execz .LBB4_3183
; %bb.3178:                             ;   in Loop: Header=BB4_2938 Depth=2
	v_bfe_u32 v15, v14, 23, 8
	v_and_b32_e32 v16, 0x7fffff, v14
	v_sub_nc_u32_e32 v17, 0x78, v15
	v_cmp_gt_u32_e32 vcc_lo, 0x79, v15
	v_or_b32_e32 v100, 0x800000, v16
	v_cndmask_b32_e32 v17, 0, v17, vcc_lo
	v_cmp_eq_u32_e32 vcc_lo, 0, v15
	v_add_nc_u32_e32 v15, 0xffffff89, v15
	v_cndmask_b32_e64 v17, v17, 0x77, vcc_lo
	v_cndmask_b32_e32 v16, v100, v16, vcc_lo
	v_cndmask_b32_e64 v15, v15, 0xffffff8a, vcc_lo
	v_lshl_add_u32 v100, 0x100000, v17, -1
	v_lshrrev_b32_e32 v101, v17, v16
	v_lshlrev_b32_e64 v112, v17, 0x80000
	v_add_nc_u32_e32 v17, v17, v15
	v_and_b32_e32 v16, v100, v16
	v_bfe_u32 v102, v101, 20, 1
	v_cmp_eq_u32_e64 s12, v16, v112
	v_add_nc_u32_e32 v100, -1, v102
	v_cndmask_b32_e64 v16, 0, v100, s12
	v_lshrrev_b32_e32 v100, 23, v101
	s_mov_b32 s12, exec_lo
	v_add_nc_u32_e32 v16, v16, v101
	v_xor_b32_e32 v100, 1, v100
	v_and_b32_e32 v15, 0xfffff, v16
	v_add_nc_u32_e32 v16, v15, v101
                                        ; implicit-def: $vgpr15
	v_cmpx_ne_u32_e64 v17, v100
	s_xor_b32 s12, exec_lo, s12
; %bb.3179:                             ;   in Loop: Header=BB4_2938 Depth=2
	v_cmp_lt_u32_e32 vcc_lo, 0xffffff, v16
	v_sub_nc_u32_e32 v15, v17, v100
	v_cndmask_b32_e64 v17, 0, 1, vcc_lo
	v_add_co_ci_u32_e64 v15, null, 0, v15, vcc_lo
	v_lshrrev_b32_e32 v16, v17, v16
; %bb.3180:                             ;   in Loop: Header=BB4_2938 Depth=2
	s_andn2_saveexec_b32 s12, s12
; %bb.3181:                             ;   in Loop: Header=BB4_2938 Depth=2
	v_bfe_u32 v15, v16, 23, 1
; %bb.3182:                             ;   in Loop: Header=BB4_2938 Depth=2
	s_or_b32 exec_lo, exec_lo, s12
	v_lshrrev_b32_e32 v16, 20, v16
	v_min_i32_e32 v17, 15, v15
	v_cmp_gt_i32_e32 vcc_lo, 16, v15
	v_and_b32_sdwa v14, v14, v85 dst_sel:DWORD dst_unused:UNUSED_PAD src0_sel:BYTE_3 src1_sel:DWORD
	v_lshlrev_b32_e32 v17, 3, v17
	v_cndmask_b32_e32 v16, 7, v16, vcc_lo
	v_and_b32_e32 v17, 0xf8, v17
	v_and_b32_e32 v100, 7, v16
	v_or_b32_e32 v15, v15, v16
	v_or3_b32 v14, v17, v14, v100
	v_cmp_ne_u32_e32 vcc_lo, 0, v15
	v_cndmask_b32_e32 v44, 0, v14, vcc_lo
.LBB4_3183:                             ;   in Loop: Header=BB4_2938 Depth=2
	s_or_b32 exec_lo, exec_lo, s41
.LBB4_3184:                             ;   in Loop: Header=BB4_2938 Depth=2
	s_or_b32 exec_lo, exec_lo, s40
	v_cmp_gt_i16_sdwa s40, v10, v84 src0_sel:BYTE_1 src1_sel:DWORD
	s_mov_b32 s12, 0
	s_and_saveexec_b32 s41, s40
	s_xor_b32 s40, exec_lo, s41
	s_cbranch_execz .LBB4_4066
; %bb.3185:                             ;   in Loop: Header=BB4_2938 Depth=2
	v_cmp_eq_u16_sdwa s42, v10, v85 src0_sel:BYTE_1 src1_sel:DWORD
	s_mov_b32 s12, -1
	s_and_saveexec_b32 s41, s42
; %bb.3186:                             ;   in Loop: Header=BB4_2938 Depth=2
	s_xor_b32 s12, exec_lo, -1
; %bb.3187:                             ;   in Loop: Header=BB4_2938 Depth=2
	s_or_b32 exec_lo, exec_lo, s41
	s_and_b32 s12, s12, exec_lo
	s_or_saveexec_b32 s40, s40
	v_mov_b32_e32 v14, 0x7f800001
	s_xor_b32 exec_lo, exec_lo, s40
	s_cbranch_execnz .LBB4_4067
.LBB4_3188:                             ;   in Loop: Header=BB4_2938 Depth=2
	s_or_b32 exec_lo, exec_lo, s40
	s_and_saveexec_b32 s40, s12
	s_cbranch_execz .LBB4_3190
.LBB4_3189:                             ;   in Loop: Header=BB4_2938 Depth=2
	v_and_b32_sdwa v14, v86, v10 dst_sel:DWORD dst_unused:UNUSED_PAD src0_sel:DWORD src1_sel:BYTE_1
	v_and_b32_e32 v15, 7, v14
	v_bfe_u32 v100, v14, 3, 4
	v_ffbh_u32_e32 v16, v15
	v_cmp_eq_u32_e32 vcc_lo, 0, v100
	v_min_u32_e32 v16, 32, v16
	v_subrev_nc_u32_e32 v17, 28, v16
	v_sub_nc_u32_e32 v16, 29, v16
	v_lshlrev_b32_e32 v14, v17, v14
	v_lshlrev_b32_sdwa v17, v87, v10 dst_sel:DWORD dst_unused:UNUSED_PAD src0_sel:DWORD src1_sel:BYTE_1
	v_cndmask_b32_e32 v16, v100, v16, vcc_lo
	v_and_b32_e32 v14, 7, v14
	v_lshl_add_u32 v16, v16, 23, 0x3b800000
	v_cndmask_b32_e32 v14, v15, v14, vcc_lo
	v_and_b32_e32 v15, 0x80000000, v17
	v_lshlrev_b32_e32 v14, 20, v14
	v_or3_b32 v14, v15, v16, v14
.LBB4_3190:                             ;   in Loop: Header=BB4_2938 Depth=2
	s_or_b32 exec_lo, exec_lo, s40
	v_mul_f32_e32 v14, s29, v14
	v_mov_b32_e32 v56, 0x8000
	s_mov_b32 s40, exec_lo
	v_and_b32_e32 v15, 0x7f800000, v14
	v_cmpx_ne_u32_e32 0x7f800000, v15
	s_cbranch_execz .LBB4_3198
; %bb.3191:                             ;   in Loop: Header=BB4_2938 Depth=2
	v_mov_b32_e32 v56, 0
	s_mov_b32 s41, exec_lo
	v_cmpx_ne_u32_e32 0, v14
	s_cbranch_execz .LBB4_3197
; %bb.3192:                             ;   in Loop: Header=BB4_2938 Depth=2
	v_bfe_u32 v15, v14, 23, 8
	v_and_b32_e32 v16, 0x7fffff, v14
	v_sub_nc_u32_e32 v17, 0x78, v15
	v_cmp_gt_u32_e32 vcc_lo, 0x79, v15
	v_or_b32_e32 v100, 0x800000, v16
	v_cndmask_b32_e32 v17, 0, v17, vcc_lo
	v_cmp_eq_u32_e32 vcc_lo, 0, v15
	v_add_nc_u32_e32 v15, 0xffffff89, v15
	v_cndmask_b32_e64 v17, v17, 0x77, vcc_lo
	v_cndmask_b32_e32 v16, v100, v16, vcc_lo
	v_cndmask_b32_e64 v15, v15, 0xffffff8a, vcc_lo
	v_lshl_add_u32 v100, 0x100000, v17, -1
	v_lshrrev_b32_e32 v101, v17, v16
	v_lshlrev_b32_e64 v112, v17, 0x80000
	v_add_nc_u32_e32 v17, v17, v15
	v_and_b32_e32 v16, v100, v16
	v_bfe_u32 v102, v101, 20, 1
	v_cmp_eq_u32_e64 s12, v16, v112
	v_add_nc_u32_e32 v100, -1, v102
	v_cndmask_b32_e64 v16, 0, v100, s12
	v_lshrrev_b32_e32 v100, 23, v101
	s_mov_b32 s12, exec_lo
	v_add_nc_u32_e32 v16, v16, v101
	v_xor_b32_e32 v100, 1, v100
	v_and_b32_e32 v15, 0xfffff, v16
	v_add_nc_u32_e32 v16, v15, v101
                                        ; implicit-def: $vgpr15
	v_cmpx_ne_u32_e64 v17, v100
	s_xor_b32 s12, exec_lo, s12
; %bb.3193:                             ;   in Loop: Header=BB4_2938 Depth=2
	v_cmp_lt_u32_e32 vcc_lo, 0xffffff, v16
	v_sub_nc_u32_e32 v15, v17, v100
	v_cndmask_b32_e64 v17, 0, 1, vcc_lo
	v_add_co_ci_u32_e64 v15, null, 0, v15, vcc_lo
	v_lshrrev_b32_e32 v16, v17, v16
; %bb.3194:                             ;   in Loop: Header=BB4_2938 Depth=2
	s_andn2_saveexec_b32 s12, s12
; %bb.3195:                             ;   in Loop: Header=BB4_2938 Depth=2
	v_bfe_u32 v15, v16, 23, 1
; %bb.3196:                             ;   in Loop: Header=BB4_2938 Depth=2
	s_or_b32 exec_lo, exec_lo, s12
	v_lshrrev_b32_e32 v16, 20, v16
	v_min_i32_e32 v17, 15, v15
	v_cmp_gt_i32_e32 vcc_lo, 16, v15
	v_and_b32_sdwa v14, v14, v85 dst_sel:DWORD dst_unused:UNUSED_PAD src0_sel:BYTE_3 src1_sel:DWORD
	v_lshlrev_b32_e32 v17, 3, v17
	v_cndmask_b32_e32 v16, 7, v16, vcc_lo
	v_and_b32_e32 v17, 0xf8, v17
	v_and_b32_e32 v100, 7, v16
	v_or_b32_e32 v15, v15, v16
	v_or3_b32 v14, v14, v17, v100
	v_cmp_ne_u32_e32 vcc_lo, 0, v15
	v_lshlrev_b32_e32 v14, 8, v14
	v_cndmask_b32_e32 v56, 0, v14, vcc_lo
.LBB4_3197:                             ;   in Loop: Header=BB4_2938 Depth=2
	s_or_b32 exec_lo, exec_lo, s41
.LBB4_3198:                             ;   in Loop: Header=BB4_2938 Depth=2
	s_or_b32 exec_lo, exec_lo, s40
	v_and_b32_sdwa v15, v10, v96 dst_sel:DWORD dst_unused:UNUSED_PAD src0_sel:WORD_1 src1_sel:DWORD
	s_mov_b32 s12, 0
	s_mov_b32 s40, exec_lo
	v_cmpx_lt_i16_e32 0x7f, v15
	s_xor_b32 s40, exec_lo, s40
	s_cbranch_execz .LBB4_4068
; %bb.3199:                             ;   in Loop: Header=BB4_2938 Depth=2
	s_mov_b32 s12, -1
	s_mov_b32 s41, exec_lo
	v_cmpx_eq_u16_e32 0x80, v15
; %bb.3200:                             ;   in Loop: Header=BB4_2938 Depth=2
	s_xor_b32 s12, exec_lo, -1
; %bb.3201:                             ;   in Loop: Header=BB4_2938 Depth=2
	s_or_b32 exec_lo, exec_lo, s41
	s_and_b32 s12, s12, exec_lo
                                        ; implicit-def: $vgpr15
	s_or_saveexec_b32 s40, s40
	v_mov_b32_e32 v14, 0x7f800001
	s_xor_b32 exec_lo, exec_lo, s40
	s_cbranch_execnz .LBB4_4069
.LBB4_3202:                             ;   in Loop: Header=BB4_2938 Depth=2
	s_or_b32 exec_lo, exec_lo, s40
	s_and_saveexec_b32 s40, s12
	s_cbranch_execz .LBB4_3204
.LBB4_3203:                             ;   in Loop: Header=BB4_2938 Depth=2
	v_bfe_u32 v14, v10, 16, 3
	v_bfe_u32 v17, v10, 19, 4
	v_lshlrev_b32_e32 v100, 8, v10
	v_ffbh_u32_e32 v15, v14
	v_cmp_eq_u32_e32 vcc_lo, 0, v17
	v_min_u32_e32 v15, 32, v15
	v_subrev_nc_u32_e32 v16, 28, v15
	v_sub_nc_u32_e32 v15, 29, v15
	v_lshlrev_b32_sdwa v16, v16, v10 dst_sel:DWORD dst_unused:UNUSED_PAD src0_sel:DWORD src1_sel:WORD_1
	v_cndmask_b32_e32 v15, v17, v15, vcc_lo
	v_and_b32_e32 v16, 7, v16
	v_lshl_add_u32 v15, v15, 23, 0x3b800000
	v_cndmask_b32_e32 v14, v14, v16, vcc_lo
	v_and_b32_e32 v16, 0x80000000, v100
	v_lshlrev_b32_e32 v14, 20, v14
	v_or3_b32 v14, v16, v15, v14
.LBB4_3204:                             ;   in Loop: Header=BB4_2938 Depth=2
	s_or_b32 exec_lo, exec_lo, s40
	v_mul_f32_e32 v14, s29, v14
	v_mov_b32_e32 v41, 0x80
	s_mov_b32 s40, exec_lo
	v_and_b32_e32 v15, 0x7f800000, v14
	v_cmpx_ne_u32_e32 0x7f800000, v15
	s_cbranch_execz .LBB4_3212
; %bb.3205:                             ;   in Loop: Header=BB4_2938 Depth=2
	v_mov_b32_e32 v41, 0
	s_mov_b32 s41, exec_lo
	v_cmpx_ne_u32_e32 0, v14
	s_cbranch_execz .LBB4_3211
; %bb.3206:                             ;   in Loop: Header=BB4_2938 Depth=2
	v_bfe_u32 v15, v14, 23, 8
	v_and_b32_e32 v16, 0x7fffff, v14
	v_sub_nc_u32_e32 v17, 0x78, v15
	v_cmp_gt_u32_e32 vcc_lo, 0x79, v15
	v_or_b32_e32 v100, 0x800000, v16
	v_cndmask_b32_e32 v17, 0, v17, vcc_lo
	v_cmp_eq_u32_e32 vcc_lo, 0, v15
	v_add_nc_u32_e32 v15, 0xffffff89, v15
	v_cndmask_b32_e64 v17, v17, 0x77, vcc_lo
	v_cndmask_b32_e32 v16, v100, v16, vcc_lo
	v_cndmask_b32_e64 v15, v15, 0xffffff8a, vcc_lo
	v_lshl_add_u32 v100, 0x100000, v17, -1
	v_lshrrev_b32_e32 v101, v17, v16
	v_lshlrev_b32_e64 v112, v17, 0x80000
	v_add_nc_u32_e32 v17, v17, v15
	v_and_b32_e32 v16, v100, v16
	v_bfe_u32 v102, v101, 20, 1
	v_cmp_eq_u32_e64 s12, v16, v112
	v_add_nc_u32_e32 v100, -1, v102
	v_cndmask_b32_e64 v16, 0, v100, s12
	v_lshrrev_b32_e32 v100, 23, v101
	s_mov_b32 s12, exec_lo
	v_add_nc_u32_e32 v16, v16, v101
	v_xor_b32_e32 v100, 1, v100
	v_and_b32_e32 v15, 0xfffff, v16
	v_add_nc_u32_e32 v16, v15, v101
                                        ; implicit-def: $vgpr15
	v_cmpx_ne_u32_e64 v17, v100
	s_xor_b32 s12, exec_lo, s12
; %bb.3207:                             ;   in Loop: Header=BB4_2938 Depth=2
	v_cmp_lt_u32_e32 vcc_lo, 0xffffff, v16
	v_sub_nc_u32_e32 v15, v17, v100
	v_cndmask_b32_e64 v17, 0, 1, vcc_lo
	v_add_co_ci_u32_e64 v15, null, 0, v15, vcc_lo
	v_lshrrev_b32_e32 v16, v17, v16
; %bb.3208:                             ;   in Loop: Header=BB4_2938 Depth=2
	s_andn2_saveexec_b32 s12, s12
; %bb.3209:                             ;   in Loop: Header=BB4_2938 Depth=2
	v_bfe_u32 v15, v16, 23, 1
; %bb.3210:                             ;   in Loop: Header=BB4_2938 Depth=2
	s_or_b32 exec_lo, exec_lo, s12
	v_lshrrev_b32_e32 v16, 20, v16
	v_min_i32_e32 v17, 15, v15
	v_cmp_gt_i32_e32 vcc_lo, 16, v15
	v_and_b32_sdwa v14, v14, v85 dst_sel:DWORD dst_unused:UNUSED_PAD src0_sel:BYTE_3 src1_sel:DWORD
	v_lshlrev_b32_e32 v17, 3, v17
	v_cndmask_b32_e32 v16, 7, v16, vcc_lo
	v_and_b32_e32 v17, 0xf8, v17
	v_and_b32_e32 v100, 7, v16
	v_or_b32_e32 v15, v15, v16
	v_or3_b32 v14, v17, v14, v100
	v_cmp_ne_u32_e32 vcc_lo, 0, v15
	v_cndmask_b32_e32 v41, 0, v14, vcc_lo
.LBB4_3211:                             ;   in Loop: Header=BB4_2938 Depth=2
	s_or_b32 exec_lo, exec_lo, s41
.LBB4_3212:                             ;   in Loop: Header=BB4_2938 Depth=2
	s_or_b32 exec_lo, exec_lo, s40
	v_cmp_gt_i16_sdwa s40, v10, v84 src0_sel:BYTE_3 src1_sel:DWORD
	s_mov_b32 s12, 0
	s_and_saveexec_b32 s41, s40
	s_xor_b32 s40, exec_lo, s41
	s_cbranch_execz .LBB4_4070
; %bb.3213:                             ;   in Loop: Header=BB4_2938 Depth=2
	v_cmp_eq_u16_sdwa s42, v10, v85 src0_sel:BYTE_3 src1_sel:DWORD
	s_mov_b32 s12, -1
	s_and_saveexec_b32 s41, s42
; %bb.3214:                             ;   in Loop: Header=BB4_2938 Depth=2
	s_xor_b32 s12, exec_lo, -1
; %bb.3215:                             ;   in Loop: Header=BB4_2938 Depth=2
	s_or_b32 exec_lo, exec_lo, s41
	s_and_b32 s12, s12, exec_lo
	s_or_saveexec_b32 s40, s40
	v_mov_b32_e32 v14, 0x7f800001
	s_xor_b32 exec_lo, exec_lo, s40
	s_cbranch_execnz .LBB4_4071
.LBB4_3216:                             ;   in Loop: Header=BB4_2938 Depth=2
	s_or_b32 exec_lo, exec_lo, s40
	s_and_saveexec_b32 s40, s12
	s_cbranch_execz .LBB4_3218
.LBB4_3217:                             ;   in Loop: Header=BB4_2938 Depth=2
	v_bfe_u32 v14, v10, 24, 3
	v_bfe_u32 v17, v10, 27, 4
	v_ffbh_u32_e32 v15, v14
	v_cmp_eq_u32_e32 vcc_lo, 0, v17
	v_min_u32_e32 v15, 32, v15
	v_subrev_nc_u32_e32 v16, 28, v15
	v_sub_nc_u32_e32 v15, 29, v15
	v_lshlrev_b32_sdwa v16, v16, v10 dst_sel:DWORD dst_unused:UNUSED_PAD src0_sel:DWORD src1_sel:BYTE_3
	v_cndmask_b32_e32 v15, v17, v15, vcc_lo
	v_and_b32_e32 v10, 0x80000000, v10
	v_and_b32_e32 v16, 7, v16
	v_lshl_add_u32 v15, v15, 23, 0x3b800000
	v_cndmask_b32_e32 v14, v14, v16, vcc_lo
	v_lshlrev_b32_e32 v14, 20, v14
	v_or3_b32 v14, v10, v15, v14
.LBB4_3218:                             ;   in Loop: Header=BB4_2938 Depth=2
	s_or_b32 exec_lo, exec_lo, s40
	v_mul_f32_e32 v10, s29, v14
	v_mov_b32_e32 v45, 0x8000
	s_mov_b32 s40, exec_lo
	v_and_b32_e32 v14, 0x7f800000, v10
	v_cmpx_ne_u32_e32 0x7f800000, v14
	s_cbranch_execz .LBB4_3226
; %bb.3219:                             ;   in Loop: Header=BB4_2938 Depth=2
	v_mov_b32_e32 v45, 0
	s_mov_b32 s41, exec_lo
	v_cmpx_ne_u32_e32 0, v10
	s_cbranch_execz .LBB4_3225
; %bb.3220:                             ;   in Loop: Header=BB4_2938 Depth=2
	v_bfe_u32 v14, v10, 23, 8
	v_and_b32_e32 v15, 0x7fffff, v10
	v_sub_nc_u32_e32 v16, 0x78, v14
	v_cmp_gt_u32_e32 vcc_lo, 0x79, v14
	v_or_b32_e32 v17, 0x800000, v15
	v_cndmask_b32_e32 v16, 0, v16, vcc_lo
	v_cmp_eq_u32_e32 vcc_lo, 0, v14
	v_add_nc_u32_e32 v14, 0xffffff89, v14
	v_cndmask_b32_e64 v16, v16, 0x77, vcc_lo
	v_cndmask_b32_e32 v15, v17, v15, vcc_lo
	v_cndmask_b32_e64 v14, v14, 0xffffff8a, vcc_lo
	v_lshl_add_u32 v17, 0x100000, v16, -1
	v_lshrrev_b32_e32 v100, v16, v15
	v_lshlrev_b32_e64 v102, v16, 0x80000
	v_add_nc_u32_e32 v16, v16, v14
	v_and_b32_e32 v15, v17, v15
	v_bfe_u32 v101, v100, 20, 1
	v_cmp_eq_u32_e64 s12, v15, v102
	v_add_nc_u32_e32 v17, -1, v101
	v_cndmask_b32_e64 v15, 0, v17, s12
	v_lshrrev_b32_e32 v17, 23, v100
	s_mov_b32 s12, exec_lo
	v_add_nc_u32_e32 v15, v15, v100
	v_xor_b32_e32 v17, 1, v17
	v_and_b32_e32 v14, 0xfffff, v15
	v_add_nc_u32_e32 v15, v14, v100
                                        ; implicit-def: $vgpr14
	v_cmpx_ne_u32_e64 v16, v17
	s_xor_b32 s12, exec_lo, s12
; %bb.3221:                             ;   in Loop: Header=BB4_2938 Depth=2
	v_cmp_lt_u32_e32 vcc_lo, 0xffffff, v15
	v_sub_nc_u32_e32 v14, v16, v17
	v_cndmask_b32_e64 v16, 0, 1, vcc_lo
	v_add_co_ci_u32_e64 v14, null, 0, v14, vcc_lo
	v_lshrrev_b32_e32 v15, v16, v15
; %bb.3222:                             ;   in Loop: Header=BB4_2938 Depth=2
	s_andn2_saveexec_b32 s12, s12
; %bb.3223:                             ;   in Loop: Header=BB4_2938 Depth=2
	v_bfe_u32 v14, v15, 23, 1
; %bb.3224:                             ;   in Loop: Header=BB4_2938 Depth=2
	s_or_b32 exec_lo, exec_lo, s12
	v_lshrrev_b32_e32 v15, 20, v15
	v_min_i32_e32 v16, 15, v14
	v_cmp_gt_i32_e32 vcc_lo, 16, v14
	v_and_b32_sdwa v10, v10, v85 dst_sel:DWORD dst_unused:UNUSED_PAD src0_sel:BYTE_3 src1_sel:DWORD
	v_lshlrev_b32_e32 v16, 3, v16
	v_cndmask_b32_e32 v15, 7, v15, vcc_lo
	v_and_b32_e32 v16, 0xf8, v16
	v_and_b32_e32 v17, 7, v15
	v_or_b32_e32 v14, v14, v15
	v_or3_b32 v10, v10, v16, v17
	v_cmp_ne_u32_e32 vcc_lo, 0, v14
	v_lshlrev_b32_e32 v10, 8, v10
	v_cndmask_b32_e32 v45, 0, v10, vcc_lo
.LBB4_3225:                             ;   in Loop: Header=BB4_2938 Depth=2
	s_or_b32 exec_lo, exec_lo, s41
.LBB4_3226:                             ;   in Loop: Header=BB4_2938 Depth=2
	s_or_b32 exec_lo, exec_lo, s40
	v_cmp_gt_i16_sdwa s40, v11, v84 src0_sel:BYTE_0 src1_sel:DWORD
	s_mov_b32 s12, 0
	s_and_saveexec_b32 s41, s40
	s_xor_b32 s40, exec_lo, s41
	s_cbranch_execz .LBB4_4072
; %bb.3227:                             ;   in Loop: Header=BB4_2938 Depth=2
	v_cmp_eq_u16_sdwa s42, v11, v85 src0_sel:BYTE_0 src1_sel:DWORD
	s_mov_b32 s12, -1
	s_and_saveexec_b32 s41, s42
; %bb.3228:                             ;   in Loop: Header=BB4_2938 Depth=2
	s_xor_b32 s12, exec_lo, -1
; %bb.3229:                             ;   in Loop: Header=BB4_2938 Depth=2
	s_or_b32 exec_lo, exec_lo, s41
	s_and_b32 s12, s12, exec_lo
	s_or_saveexec_b32 s40, s40
	v_mov_b32_e32 v10, 0x7f800001
	s_xor_b32 exec_lo, exec_lo, s40
	s_cbranch_execnz .LBB4_4073
.LBB4_3230:                             ;   in Loop: Header=BB4_2938 Depth=2
	s_or_b32 exec_lo, exec_lo, s40
	s_and_saveexec_b32 s40, s12
	s_cbranch_execz .LBB4_3232
.LBB4_3231:                             ;   in Loop: Header=BB4_2938 Depth=2
	v_and_b32_e32 v10, 7, v11
	v_bfe_u32 v16, v11, 3, 4
	v_lshlrev_b32_e32 v17, 24, v11
	v_ffbh_u32_e32 v14, v10
	v_cmp_eq_u32_e32 vcc_lo, 0, v16
	v_min_u32_e32 v14, 32, v14
	v_subrev_nc_u32_e32 v15, 28, v14
	v_sub_nc_u32_e32 v14, 29, v14
	v_lshlrev_b32_e32 v15, v15, v11
	v_cndmask_b32_e32 v14, v16, v14, vcc_lo
	v_and_b32_e32 v15, 7, v15
	v_lshl_add_u32 v14, v14, 23, 0x3b800000
	v_cndmask_b32_e32 v10, v10, v15, vcc_lo
	v_and_b32_e32 v15, 0x80000000, v17
	v_lshlrev_b32_e32 v10, 20, v10
	v_or3_b32 v10, v15, v14, v10
.LBB4_3232:                             ;   in Loop: Header=BB4_2938 Depth=2
	s_or_b32 exec_lo, exec_lo, s40
	v_mul_f32_e32 v10, s29, v10
	v_mov_b32_e32 v119, 0x80
	s_mov_b32 s40, exec_lo
	v_and_b32_e32 v14, 0x7f800000, v10
	v_cmpx_ne_u32_e32 0x7f800000, v14
	s_cbranch_execz .LBB4_3240
; %bb.3233:                             ;   in Loop: Header=BB4_2938 Depth=2
	v_mov_b32_e32 v119, 0
	s_mov_b32 s41, exec_lo
	v_cmpx_ne_u32_e32 0, v10
	s_cbranch_execz .LBB4_3239
; %bb.3234:                             ;   in Loop: Header=BB4_2938 Depth=2
	v_bfe_u32 v14, v10, 23, 8
	v_and_b32_e32 v15, 0x7fffff, v10
	v_sub_nc_u32_e32 v16, 0x78, v14
	v_cmp_gt_u32_e32 vcc_lo, 0x79, v14
	v_or_b32_e32 v17, 0x800000, v15
	v_cndmask_b32_e32 v16, 0, v16, vcc_lo
	v_cmp_eq_u32_e32 vcc_lo, 0, v14
	v_add_nc_u32_e32 v14, 0xffffff89, v14
	v_cndmask_b32_e64 v16, v16, 0x77, vcc_lo
	v_cndmask_b32_e32 v15, v17, v15, vcc_lo
	v_cndmask_b32_e64 v14, v14, 0xffffff8a, vcc_lo
	v_lshl_add_u32 v17, 0x100000, v16, -1
	v_lshrrev_b32_e32 v100, v16, v15
	v_lshlrev_b32_e64 v102, v16, 0x80000
	v_add_nc_u32_e32 v16, v16, v14
	v_and_b32_e32 v15, v17, v15
	v_bfe_u32 v101, v100, 20, 1
	v_cmp_eq_u32_e64 s12, v15, v102
	v_add_nc_u32_e32 v17, -1, v101
	v_cndmask_b32_e64 v15, 0, v17, s12
	v_lshrrev_b32_e32 v17, 23, v100
	s_mov_b32 s12, exec_lo
	v_add_nc_u32_e32 v15, v15, v100
	v_xor_b32_e32 v17, 1, v17
	v_and_b32_e32 v14, 0xfffff, v15
	v_add_nc_u32_e32 v15, v14, v100
                                        ; implicit-def: $vgpr14
	v_cmpx_ne_u32_e64 v16, v17
	s_xor_b32 s12, exec_lo, s12
; %bb.3235:                             ;   in Loop: Header=BB4_2938 Depth=2
	v_cmp_lt_u32_e32 vcc_lo, 0xffffff, v15
	v_sub_nc_u32_e32 v14, v16, v17
	v_cndmask_b32_e64 v16, 0, 1, vcc_lo
	v_add_co_ci_u32_e64 v14, null, 0, v14, vcc_lo
	v_lshrrev_b32_e32 v15, v16, v15
; %bb.3236:                             ;   in Loop: Header=BB4_2938 Depth=2
	s_andn2_saveexec_b32 s12, s12
; %bb.3237:                             ;   in Loop: Header=BB4_2938 Depth=2
	v_bfe_u32 v14, v15, 23, 1
; %bb.3238:                             ;   in Loop: Header=BB4_2938 Depth=2
	s_or_b32 exec_lo, exec_lo, s12
	v_lshrrev_b32_e32 v15, 20, v15
	v_min_i32_e32 v16, 15, v14
	v_cmp_gt_i32_e32 vcc_lo, 16, v14
	v_and_b32_sdwa v10, v10, v85 dst_sel:DWORD dst_unused:UNUSED_PAD src0_sel:BYTE_3 src1_sel:DWORD
	v_lshlrev_b32_e32 v16, 3, v16
	v_cndmask_b32_e32 v15, 7, v15, vcc_lo
	v_and_b32_e32 v16, 0xf8, v16
	v_and_b32_e32 v17, 7, v15
	v_or_b32_e32 v14, v14, v15
	v_or3_b32 v10, v16, v10, v17
	v_cmp_ne_u32_e32 vcc_lo, 0, v14
	v_cndmask_b32_e32 v119, 0, v10, vcc_lo
.LBB4_3239:                             ;   in Loop: Header=BB4_2938 Depth=2
	s_or_b32 exec_lo, exec_lo, s41
.LBB4_3240:                             ;   in Loop: Header=BB4_2938 Depth=2
	s_or_b32 exec_lo, exec_lo, s40
	v_cmp_gt_i16_sdwa s40, v11, v84 src0_sel:BYTE_1 src1_sel:DWORD
	s_mov_b32 s12, 0
	s_and_saveexec_b32 s41, s40
	s_xor_b32 s40, exec_lo, s41
	s_cbranch_execz .LBB4_4074
; %bb.3241:                             ;   in Loop: Header=BB4_2938 Depth=2
	v_cmp_eq_u16_sdwa s42, v11, v85 src0_sel:BYTE_1 src1_sel:DWORD
	s_mov_b32 s12, -1
	s_and_saveexec_b32 s41, s42
; %bb.3242:                             ;   in Loop: Header=BB4_2938 Depth=2
	s_xor_b32 s12, exec_lo, -1
; %bb.3243:                             ;   in Loop: Header=BB4_2938 Depth=2
	s_or_b32 exec_lo, exec_lo, s41
	s_and_b32 s12, s12, exec_lo
	s_or_saveexec_b32 s40, s40
	v_mov_b32_e32 v10, 0x7f800001
	s_xor_b32 exec_lo, exec_lo, s40
	s_cbranch_execnz .LBB4_4075
.LBB4_3244:                             ;   in Loop: Header=BB4_2938 Depth=2
	s_or_b32 exec_lo, exec_lo, s40
	s_and_saveexec_b32 s40, s12
	s_cbranch_execz .LBB4_3246
.LBB4_3245:                             ;   in Loop: Header=BB4_2938 Depth=2
	v_and_b32_sdwa v10, v86, v11 dst_sel:DWORD dst_unused:UNUSED_PAD src0_sel:DWORD src1_sel:BYTE_1
	v_and_b32_e32 v14, 7, v10
	v_bfe_u32 v17, v10, 3, 4
	v_ffbh_u32_e32 v15, v14
	v_cmp_eq_u32_e32 vcc_lo, 0, v17
	v_min_u32_e32 v15, 32, v15
	v_subrev_nc_u32_e32 v16, 28, v15
	v_sub_nc_u32_e32 v15, 29, v15
	v_lshlrev_b32_e32 v10, v16, v10
	v_lshlrev_b32_sdwa v16, v87, v11 dst_sel:DWORD dst_unused:UNUSED_PAD src0_sel:DWORD src1_sel:BYTE_1
	v_cndmask_b32_e32 v15, v17, v15, vcc_lo
	v_and_b32_e32 v10, 7, v10
	v_lshl_add_u32 v15, v15, 23, 0x3b800000
	v_cndmask_b32_e32 v10, v14, v10, vcc_lo
	v_and_b32_e32 v14, 0x80000000, v16
	v_lshlrev_b32_e32 v10, 20, v10
	v_or3_b32 v10, v14, v15, v10
.LBB4_3246:                             ;   in Loop: Header=BB4_2938 Depth=2
	s_or_b32 exec_lo, exec_lo, s40
	v_mul_f32_e32 v10, s29, v10
	v_mov_b32_e32 v42, 0x8000
	s_mov_b32 s40, exec_lo
	v_and_b32_e32 v14, 0x7f800000, v10
	v_cmpx_ne_u32_e32 0x7f800000, v14
	s_cbranch_execz .LBB4_3254
; %bb.3247:                             ;   in Loop: Header=BB4_2938 Depth=2
	v_mov_b32_e32 v42, 0
	s_mov_b32 s41, exec_lo
	v_cmpx_ne_u32_e32 0, v10
	s_cbranch_execz .LBB4_3253
; %bb.3248:                             ;   in Loop: Header=BB4_2938 Depth=2
	v_bfe_u32 v14, v10, 23, 8
	v_and_b32_e32 v15, 0x7fffff, v10
	v_sub_nc_u32_e32 v16, 0x78, v14
	v_cmp_gt_u32_e32 vcc_lo, 0x79, v14
	v_or_b32_e32 v17, 0x800000, v15
	v_cndmask_b32_e32 v16, 0, v16, vcc_lo
	v_cmp_eq_u32_e32 vcc_lo, 0, v14
	v_add_nc_u32_e32 v14, 0xffffff89, v14
	v_cndmask_b32_e64 v16, v16, 0x77, vcc_lo
	v_cndmask_b32_e32 v15, v17, v15, vcc_lo
	v_cndmask_b32_e64 v14, v14, 0xffffff8a, vcc_lo
	v_lshl_add_u32 v17, 0x100000, v16, -1
	v_lshrrev_b32_e32 v100, v16, v15
	v_lshlrev_b32_e64 v102, v16, 0x80000
	v_add_nc_u32_e32 v16, v16, v14
	v_and_b32_e32 v15, v17, v15
	v_bfe_u32 v101, v100, 20, 1
	v_cmp_eq_u32_e64 s12, v15, v102
	v_add_nc_u32_e32 v17, -1, v101
	v_cndmask_b32_e64 v15, 0, v17, s12
	v_lshrrev_b32_e32 v17, 23, v100
	s_mov_b32 s12, exec_lo
	v_add_nc_u32_e32 v15, v15, v100
	v_xor_b32_e32 v17, 1, v17
	v_and_b32_e32 v14, 0xfffff, v15
	v_add_nc_u32_e32 v15, v14, v100
                                        ; implicit-def: $vgpr14
	v_cmpx_ne_u32_e64 v16, v17
	s_xor_b32 s12, exec_lo, s12
; %bb.3249:                             ;   in Loop: Header=BB4_2938 Depth=2
	v_cmp_lt_u32_e32 vcc_lo, 0xffffff, v15
	v_sub_nc_u32_e32 v14, v16, v17
	v_cndmask_b32_e64 v16, 0, 1, vcc_lo
	v_add_co_ci_u32_e64 v14, null, 0, v14, vcc_lo
	v_lshrrev_b32_e32 v15, v16, v15
; %bb.3250:                             ;   in Loop: Header=BB4_2938 Depth=2
	s_andn2_saveexec_b32 s12, s12
; %bb.3251:                             ;   in Loop: Header=BB4_2938 Depth=2
	v_bfe_u32 v14, v15, 23, 1
; %bb.3252:                             ;   in Loop: Header=BB4_2938 Depth=2
	s_or_b32 exec_lo, exec_lo, s12
	v_lshrrev_b32_e32 v15, 20, v15
	v_min_i32_e32 v16, 15, v14
	v_cmp_gt_i32_e32 vcc_lo, 16, v14
	v_and_b32_sdwa v10, v10, v85 dst_sel:DWORD dst_unused:UNUSED_PAD src0_sel:BYTE_3 src1_sel:DWORD
	v_lshlrev_b32_e32 v16, 3, v16
	v_cndmask_b32_e32 v15, 7, v15, vcc_lo
	v_and_b32_e32 v16, 0xf8, v16
	v_and_b32_e32 v17, 7, v15
	v_or_b32_e32 v14, v14, v15
	v_or3_b32 v10, v10, v16, v17
	v_cmp_ne_u32_e32 vcc_lo, 0, v14
	v_lshlrev_b32_e32 v10, 8, v10
	v_cndmask_b32_e32 v42, 0, v10, vcc_lo
.LBB4_3253:                             ;   in Loop: Header=BB4_2938 Depth=2
	s_or_b32 exec_lo, exec_lo, s41
.LBB4_3254:                             ;   in Loop: Header=BB4_2938 Depth=2
	s_or_b32 exec_lo, exec_lo, s40
	v_and_b32_sdwa v14, v11, v96 dst_sel:DWORD dst_unused:UNUSED_PAD src0_sel:WORD_1 src1_sel:DWORD
	s_mov_b32 s12, 0
	s_mov_b32 s40, exec_lo
	v_cmpx_lt_i16_e32 0x7f, v14
	s_xor_b32 s40, exec_lo, s40
	s_cbranch_execz .LBB4_4076
; %bb.3255:                             ;   in Loop: Header=BB4_2938 Depth=2
	s_mov_b32 s12, -1
	s_mov_b32 s41, exec_lo
	v_cmpx_eq_u16_e32 0x80, v14
; %bb.3256:                             ;   in Loop: Header=BB4_2938 Depth=2
	s_xor_b32 s12, exec_lo, -1
; %bb.3257:                             ;   in Loop: Header=BB4_2938 Depth=2
	s_or_b32 exec_lo, exec_lo, s41
	s_and_b32 s12, s12, exec_lo
                                        ; implicit-def: $vgpr14
	s_or_saveexec_b32 s40, s40
	v_mov_b32_e32 v10, 0x7f800001
	s_xor_b32 exec_lo, exec_lo, s40
	s_cbranch_execnz .LBB4_4077
.LBB4_3258:                             ;   in Loop: Header=BB4_2938 Depth=2
	s_or_b32 exec_lo, exec_lo, s40
	s_and_saveexec_b32 s40, s12
	s_cbranch_execz .LBB4_3260
.LBB4_3259:                             ;   in Loop: Header=BB4_2938 Depth=2
	v_bfe_u32 v10, v11, 16, 3
	v_bfe_u32 v16, v11, 19, 4
	v_lshlrev_b32_e32 v17, 8, v11
	v_ffbh_u32_e32 v14, v10
	v_cmp_eq_u32_e32 vcc_lo, 0, v16
	v_min_u32_e32 v14, 32, v14
	v_subrev_nc_u32_e32 v15, 28, v14
	v_sub_nc_u32_e32 v14, 29, v14
	v_lshlrev_b32_sdwa v15, v15, v11 dst_sel:DWORD dst_unused:UNUSED_PAD src0_sel:DWORD src1_sel:WORD_1
	v_cndmask_b32_e32 v14, v16, v14, vcc_lo
	v_and_b32_e32 v15, 7, v15
	v_lshl_add_u32 v14, v14, 23, 0x3b800000
	v_cndmask_b32_e32 v10, v10, v15, vcc_lo
	v_and_b32_e32 v15, 0x80000000, v17
	v_lshlrev_b32_e32 v10, 20, v10
	v_or3_b32 v10, v15, v14, v10
.LBB4_3260:                             ;   in Loop: Header=BB4_2938 Depth=2
	s_or_b32 exec_lo, exec_lo, s40
	v_mul_f32_e32 v10, s29, v10
	v_mov_b32_e32 v117, 0x80
	s_mov_b32 s40, exec_lo
	v_and_b32_e32 v14, 0x7f800000, v10
	v_cmpx_ne_u32_e32 0x7f800000, v14
	s_cbranch_execz .LBB4_3268
; %bb.3261:                             ;   in Loop: Header=BB4_2938 Depth=2
	v_mov_b32_e32 v117, 0
	s_mov_b32 s41, exec_lo
	v_cmpx_ne_u32_e32 0, v10
	s_cbranch_execz .LBB4_3267
; %bb.3262:                             ;   in Loop: Header=BB4_2938 Depth=2
	v_bfe_u32 v14, v10, 23, 8
	v_and_b32_e32 v15, 0x7fffff, v10
	v_sub_nc_u32_e32 v16, 0x78, v14
	v_cmp_gt_u32_e32 vcc_lo, 0x79, v14
	v_or_b32_e32 v17, 0x800000, v15
	v_cndmask_b32_e32 v16, 0, v16, vcc_lo
	v_cmp_eq_u32_e32 vcc_lo, 0, v14
	v_add_nc_u32_e32 v14, 0xffffff89, v14
	v_cndmask_b32_e64 v16, v16, 0x77, vcc_lo
	v_cndmask_b32_e32 v15, v17, v15, vcc_lo
	v_cndmask_b32_e64 v14, v14, 0xffffff8a, vcc_lo
	v_lshl_add_u32 v17, 0x100000, v16, -1
	v_lshrrev_b32_e32 v100, v16, v15
	v_lshlrev_b32_e64 v102, v16, 0x80000
	v_add_nc_u32_e32 v16, v16, v14
	v_and_b32_e32 v15, v17, v15
	v_bfe_u32 v101, v100, 20, 1
	v_cmp_eq_u32_e64 s12, v15, v102
	v_add_nc_u32_e32 v17, -1, v101
	v_cndmask_b32_e64 v15, 0, v17, s12
	v_lshrrev_b32_e32 v17, 23, v100
	s_mov_b32 s12, exec_lo
	v_add_nc_u32_e32 v15, v15, v100
	v_xor_b32_e32 v17, 1, v17
	v_and_b32_e32 v14, 0xfffff, v15
	v_add_nc_u32_e32 v15, v14, v100
                                        ; implicit-def: $vgpr14
	v_cmpx_ne_u32_e64 v16, v17
	s_xor_b32 s12, exec_lo, s12
; %bb.3263:                             ;   in Loop: Header=BB4_2938 Depth=2
	v_cmp_lt_u32_e32 vcc_lo, 0xffffff, v15
	v_sub_nc_u32_e32 v14, v16, v17
	v_cndmask_b32_e64 v16, 0, 1, vcc_lo
	v_add_co_ci_u32_e64 v14, null, 0, v14, vcc_lo
	v_lshrrev_b32_e32 v15, v16, v15
; %bb.3264:                             ;   in Loop: Header=BB4_2938 Depth=2
	s_andn2_saveexec_b32 s12, s12
; %bb.3265:                             ;   in Loop: Header=BB4_2938 Depth=2
	v_bfe_u32 v14, v15, 23, 1
; %bb.3266:                             ;   in Loop: Header=BB4_2938 Depth=2
	s_or_b32 exec_lo, exec_lo, s12
	v_lshrrev_b32_e32 v15, 20, v15
	v_min_i32_e32 v16, 15, v14
	v_cmp_gt_i32_e32 vcc_lo, 16, v14
	v_and_b32_sdwa v10, v10, v85 dst_sel:DWORD dst_unused:UNUSED_PAD src0_sel:BYTE_3 src1_sel:DWORD
	v_lshlrev_b32_e32 v16, 3, v16
	v_cndmask_b32_e32 v15, 7, v15, vcc_lo
	v_and_b32_e32 v16, 0xf8, v16
	v_and_b32_e32 v17, 7, v15
	v_or_b32_e32 v14, v14, v15
	v_or3_b32 v10, v16, v10, v17
	v_cmp_ne_u32_e32 vcc_lo, 0, v14
	v_cndmask_b32_e32 v117, 0, v10, vcc_lo
.LBB4_3267:                             ;   in Loop: Header=BB4_2938 Depth=2
	s_or_b32 exec_lo, exec_lo, s41
.LBB4_3268:                             ;   in Loop: Header=BB4_2938 Depth=2
	s_or_b32 exec_lo, exec_lo, s40
	v_cmp_gt_i16_sdwa s40, v11, v84 src0_sel:BYTE_3 src1_sel:DWORD
	s_mov_b32 s12, 0
	s_and_saveexec_b32 s41, s40
	s_xor_b32 s40, exec_lo, s41
	s_cbranch_execz .LBB4_4078
; %bb.3269:                             ;   in Loop: Header=BB4_2938 Depth=2
	v_cmp_eq_u16_sdwa s42, v11, v85 src0_sel:BYTE_3 src1_sel:DWORD
	s_mov_b32 s12, -1
	s_and_saveexec_b32 s41, s42
; %bb.3270:                             ;   in Loop: Header=BB4_2938 Depth=2
	s_xor_b32 s12, exec_lo, -1
; %bb.3271:                             ;   in Loop: Header=BB4_2938 Depth=2
	s_or_b32 exec_lo, exec_lo, s41
	s_and_b32 s12, s12, exec_lo
	s_or_saveexec_b32 s40, s40
	v_mov_b32_e32 v10, 0x7f800001
	s_xor_b32 exec_lo, exec_lo, s40
	s_cbranch_execnz .LBB4_4079
.LBB4_3272:                             ;   in Loop: Header=BB4_2938 Depth=2
	s_or_b32 exec_lo, exec_lo, s40
	s_and_saveexec_b32 s40, s12
	s_cbranch_execz .LBB4_3274
.LBB4_3273:                             ;   in Loop: Header=BB4_2938 Depth=2
	v_bfe_u32 v10, v11, 24, 3
	v_bfe_u32 v16, v11, 27, 4
	v_ffbh_u32_e32 v14, v10
	v_cmp_eq_u32_e32 vcc_lo, 0, v16
	v_min_u32_e32 v14, 32, v14
	v_subrev_nc_u32_e32 v15, 28, v14
	v_sub_nc_u32_e32 v14, 29, v14
	v_lshlrev_b32_sdwa v15, v15, v11 dst_sel:DWORD dst_unused:UNUSED_PAD src0_sel:DWORD src1_sel:BYTE_3
	v_cndmask_b32_e32 v14, v16, v14, vcc_lo
	v_and_b32_e32 v11, 0x80000000, v11
	v_and_b32_e32 v15, 7, v15
	v_lshl_add_u32 v14, v14, 23, 0x3b800000
	v_cndmask_b32_e32 v10, v10, v15, vcc_lo
	v_lshlrev_b32_e32 v10, 20, v10
	v_or3_b32 v10, v11, v14, v10
.LBB4_3274:                             ;   in Loop: Header=BB4_2938 Depth=2
	s_or_b32 exec_lo, exec_lo, s40
	v_mul_f32_e32 v10, s29, v10
	v_mov_b32_e32 v40, 0x8000
	s_mov_b32 s40, exec_lo
	v_and_b32_e32 v11, 0x7f800000, v10
	v_cmpx_ne_u32_e32 0x7f800000, v11
	s_cbranch_execz .LBB4_3282
; %bb.3275:                             ;   in Loop: Header=BB4_2938 Depth=2
	v_mov_b32_e32 v40, 0
	s_mov_b32 s41, exec_lo
	v_cmpx_ne_u32_e32 0, v10
	s_cbranch_execz .LBB4_3281
; %bb.3276:                             ;   in Loop: Header=BB4_2938 Depth=2
	v_bfe_u32 v11, v10, 23, 8
	v_and_b32_e32 v14, 0x7fffff, v10
	v_sub_nc_u32_e32 v15, 0x78, v11
	v_cmp_gt_u32_e32 vcc_lo, 0x79, v11
	v_or_b32_e32 v16, 0x800000, v14
	v_cndmask_b32_e32 v15, 0, v15, vcc_lo
	v_cmp_eq_u32_e32 vcc_lo, 0, v11
	v_add_nc_u32_e32 v11, 0xffffff89, v11
	v_cndmask_b32_e64 v15, v15, 0x77, vcc_lo
	v_cndmask_b32_e32 v14, v16, v14, vcc_lo
	v_cndmask_b32_e64 v11, v11, 0xffffff8a, vcc_lo
	v_lshl_add_u32 v16, 0x100000, v15, -1
	v_lshrrev_b32_e32 v17, v15, v14
	v_lshlrev_b32_e64 v101, v15, 0x80000
	v_add_nc_u32_e32 v15, v15, v11
	v_and_b32_e32 v14, v16, v14
	v_bfe_u32 v100, v17, 20, 1
	v_cmp_eq_u32_e64 s12, v14, v101
	v_add_nc_u32_e32 v16, -1, v100
	v_cndmask_b32_e64 v14, 0, v16, s12
	v_lshrrev_b32_e32 v16, 23, v17
	s_mov_b32 s12, exec_lo
	v_add_nc_u32_e32 v14, v14, v17
	v_xor_b32_e32 v16, 1, v16
	v_and_b32_e32 v11, 0xfffff, v14
	v_add_nc_u32_e32 v14, v11, v17
                                        ; implicit-def: $vgpr11
	v_cmpx_ne_u32_e64 v15, v16
	s_xor_b32 s12, exec_lo, s12
; %bb.3277:                             ;   in Loop: Header=BB4_2938 Depth=2
	v_cmp_lt_u32_e32 vcc_lo, 0xffffff, v14
	v_sub_nc_u32_e32 v11, v15, v16
	v_cndmask_b32_e64 v15, 0, 1, vcc_lo
	v_add_co_ci_u32_e64 v11, null, 0, v11, vcc_lo
	v_lshrrev_b32_e32 v14, v15, v14
; %bb.3278:                             ;   in Loop: Header=BB4_2938 Depth=2
	s_andn2_saveexec_b32 s12, s12
; %bb.3279:                             ;   in Loop: Header=BB4_2938 Depth=2
	v_bfe_u32 v11, v14, 23, 1
; %bb.3280:                             ;   in Loop: Header=BB4_2938 Depth=2
	s_or_b32 exec_lo, exec_lo, s12
	v_lshrrev_b32_e32 v14, 20, v14
	v_min_i32_e32 v15, 15, v11
	v_cmp_gt_i32_e32 vcc_lo, 16, v11
	v_and_b32_sdwa v10, v10, v85 dst_sel:DWORD dst_unused:UNUSED_PAD src0_sel:BYTE_3 src1_sel:DWORD
	v_lshlrev_b32_e32 v15, 3, v15
	v_cndmask_b32_e32 v14, 7, v14, vcc_lo
	v_and_b32_e32 v15, 0xf8, v15
	v_and_b32_e32 v16, 7, v14
	v_or_b32_e32 v11, v11, v14
	v_or3_b32 v10, v10, v15, v16
	v_cmp_ne_u32_e32 vcc_lo, 0, v11
	v_lshlrev_b32_e32 v10, 8, v10
	v_cndmask_b32_e32 v40, 0, v10, vcc_lo
.LBB4_3281:                             ;   in Loop: Header=BB4_2938 Depth=2
	s_or_b32 exec_lo, exec_lo, s41
.LBB4_3282:                             ;   in Loop: Header=BB4_2938 Depth=2
	s_or_b32 exec_lo, exec_lo, s40
	v_cmp_gt_i16_sdwa s40, v12, v84 src0_sel:BYTE_0 src1_sel:DWORD
	s_mov_b32 s12, 0
	s_and_saveexec_b32 s41, s40
	s_xor_b32 s40, exec_lo, s41
	s_cbranch_execz .LBB4_4080
; %bb.3283:                             ;   in Loop: Header=BB4_2938 Depth=2
	v_cmp_eq_u16_sdwa s42, v12, v85 src0_sel:BYTE_0 src1_sel:DWORD
	s_mov_b32 s12, -1
	s_and_saveexec_b32 s41, s42
; %bb.3284:                             ;   in Loop: Header=BB4_2938 Depth=2
	s_xor_b32 s12, exec_lo, -1
; %bb.3285:                             ;   in Loop: Header=BB4_2938 Depth=2
	s_or_b32 exec_lo, exec_lo, s41
	s_and_b32 s12, s12, exec_lo
	s_or_saveexec_b32 s40, s40
	v_mov_b32_e32 v10, 0x7f800001
	s_xor_b32 exec_lo, exec_lo, s40
	s_cbranch_execnz .LBB4_4081
.LBB4_3286:                             ;   in Loop: Header=BB4_2938 Depth=2
	s_or_b32 exec_lo, exec_lo, s40
	s_and_saveexec_b32 s40, s12
	s_cbranch_execz .LBB4_3288
.LBB4_3287:                             ;   in Loop: Header=BB4_2938 Depth=2
	v_and_b32_e32 v10, 7, v12
	v_bfe_u32 v15, v12, 3, 4
	v_lshlrev_b32_e32 v16, 24, v12
	v_ffbh_u32_e32 v11, v10
	v_cmp_eq_u32_e32 vcc_lo, 0, v15
	v_min_u32_e32 v11, 32, v11
	v_subrev_nc_u32_e32 v14, 28, v11
	v_sub_nc_u32_e32 v11, 29, v11
	v_lshlrev_b32_e32 v14, v14, v12
	v_cndmask_b32_e32 v11, v15, v11, vcc_lo
	v_and_b32_e32 v14, 7, v14
	v_lshl_add_u32 v11, v11, 23, 0x3b800000
	v_cndmask_b32_e32 v10, v10, v14, vcc_lo
	v_and_b32_e32 v14, 0x80000000, v16
	v_lshlrev_b32_e32 v10, 20, v10
	v_or3_b32 v10, v14, v11, v10
.LBB4_3288:                             ;   in Loop: Header=BB4_2938 Depth=2
	s_or_b32 exec_lo, exec_lo, s40
	v_mul_f32_e32 v10, s29, v10
	v_mov_b32_e32 v114, 0x80
	s_mov_b32 s40, exec_lo
	v_and_b32_e32 v11, 0x7f800000, v10
	v_cmpx_ne_u32_e32 0x7f800000, v11
	s_cbranch_execz .LBB4_3296
; %bb.3289:                             ;   in Loop: Header=BB4_2938 Depth=2
	v_mov_b32_e32 v114, 0
	s_mov_b32 s41, exec_lo
	v_cmpx_ne_u32_e32 0, v10
	s_cbranch_execz .LBB4_3295
; %bb.3290:                             ;   in Loop: Header=BB4_2938 Depth=2
	v_bfe_u32 v11, v10, 23, 8
	v_and_b32_e32 v14, 0x7fffff, v10
	v_sub_nc_u32_e32 v15, 0x78, v11
	v_cmp_gt_u32_e32 vcc_lo, 0x79, v11
	v_or_b32_e32 v16, 0x800000, v14
	v_cndmask_b32_e32 v15, 0, v15, vcc_lo
	v_cmp_eq_u32_e32 vcc_lo, 0, v11
	v_add_nc_u32_e32 v11, 0xffffff89, v11
	v_cndmask_b32_e64 v15, v15, 0x77, vcc_lo
	v_cndmask_b32_e32 v14, v16, v14, vcc_lo
	v_cndmask_b32_e64 v11, v11, 0xffffff8a, vcc_lo
	v_lshl_add_u32 v16, 0x100000, v15, -1
	v_lshrrev_b32_e32 v17, v15, v14
	v_lshlrev_b32_e64 v101, v15, 0x80000
	v_add_nc_u32_e32 v15, v15, v11
	v_and_b32_e32 v14, v16, v14
	v_bfe_u32 v100, v17, 20, 1
	v_cmp_eq_u32_e64 s12, v14, v101
	v_add_nc_u32_e32 v16, -1, v100
	v_cndmask_b32_e64 v14, 0, v16, s12
	v_lshrrev_b32_e32 v16, 23, v17
	s_mov_b32 s12, exec_lo
	v_add_nc_u32_e32 v14, v14, v17
	v_xor_b32_e32 v16, 1, v16
	v_and_b32_e32 v11, 0xfffff, v14
	v_add_nc_u32_e32 v14, v11, v17
                                        ; implicit-def: $vgpr11
	v_cmpx_ne_u32_e64 v15, v16
	s_xor_b32 s12, exec_lo, s12
; %bb.3291:                             ;   in Loop: Header=BB4_2938 Depth=2
	v_cmp_lt_u32_e32 vcc_lo, 0xffffff, v14
	v_sub_nc_u32_e32 v11, v15, v16
	v_cndmask_b32_e64 v15, 0, 1, vcc_lo
	v_add_co_ci_u32_e64 v11, null, 0, v11, vcc_lo
	v_lshrrev_b32_e32 v14, v15, v14
; %bb.3292:                             ;   in Loop: Header=BB4_2938 Depth=2
	s_andn2_saveexec_b32 s12, s12
; %bb.3293:                             ;   in Loop: Header=BB4_2938 Depth=2
	v_bfe_u32 v11, v14, 23, 1
; %bb.3294:                             ;   in Loop: Header=BB4_2938 Depth=2
	s_or_b32 exec_lo, exec_lo, s12
	v_lshrrev_b32_e32 v14, 20, v14
	v_min_i32_e32 v15, 15, v11
	v_cmp_gt_i32_e32 vcc_lo, 16, v11
	v_and_b32_sdwa v10, v10, v85 dst_sel:DWORD dst_unused:UNUSED_PAD src0_sel:BYTE_3 src1_sel:DWORD
	v_lshlrev_b32_e32 v15, 3, v15
	v_cndmask_b32_e32 v14, 7, v14, vcc_lo
	v_and_b32_e32 v15, 0xf8, v15
	v_and_b32_e32 v16, 7, v14
	v_or_b32_e32 v11, v11, v14
	v_or3_b32 v10, v15, v10, v16
	v_cmp_ne_u32_e32 vcc_lo, 0, v11
	v_cndmask_b32_e32 v114, 0, v10, vcc_lo
.LBB4_3295:                             ;   in Loop: Header=BB4_2938 Depth=2
	s_or_b32 exec_lo, exec_lo, s41
.LBB4_3296:                             ;   in Loop: Header=BB4_2938 Depth=2
	s_or_b32 exec_lo, exec_lo, s40
	v_cmp_gt_i16_sdwa s40, v12, v84 src0_sel:BYTE_1 src1_sel:DWORD
	s_mov_b32 s12, 0
	s_and_saveexec_b32 s41, s40
	s_xor_b32 s40, exec_lo, s41
	s_cbranch_execz .LBB4_4082
; %bb.3297:                             ;   in Loop: Header=BB4_2938 Depth=2
	v_cmp_eq_u16_sdwa s42, v12, v85 src0_sel:BYTE_1 src1_sel:DWORD
	s_mov_b32 s12, -1
	s_and_saveexec_b32 s41, s42
; %bb.3298:                             ;   in Loop: Header=BB4_2938 Depth=2
	s_xor_b32 s12, exec_lo, -1
; %bb.3299:                             ;   in Loop: Header=BB4_2938 Depth=2
	s_or_b32 exec_lo, exec_lo, s41
	s_and_b32 s12, s12, exec_lo
	s_or_saveexec_b32 s40, s40
	v_mov_b32_e32 v10, 0x7f800001
	s_xor_b32 exec_lo, exec_lo, s40
	s_cbranch_execnz .LBB4_4083
.LBB4_3300:                             ;   in Loop: Header=BB4_2938 Depth=2
	s_or_b32 exec_lo, exec_lo, s40
	s_and_saveexec_b32 s40, s12
	s_cbranch_execz .LBB4_3302
.LBB4_3301:                             ;   in Loop: Header=BB4_2938 Depth=2
	v_and_b32_sdwa v10, v86, v12 dst_sel:DWORD dst_unused:UNUSED_PAD src0_sel:DWORD src1_sel:BYTE_1
	v_and_b32_e32 v11, 7, v10
	v_bfe_u32 v16, v10, 3, 4
	v_ffbh_u32_e32 v14, v11
	v_cmp_eq_u32_e32 vcc_lo, 0, v16
	v_min_u32_e32 v14, 32, v14
	v_subrev_nc_u32_e32 v15, 28, v14
	v_sub_nc_u32_e32 v14, 29, v14
	v_lshlrev_b32_e32 v10, v15, v10
	v_lshlrev_b32_sdwa v15, v87, v12 dst_sel:DWORD dst_unused:UNUSED_PAD src0_sel:DWORD src1_sel:BYTE_1
	v_cndmask_b32_e32 v14, v16, v14, vcc_lo
	v_and_b32_e32 v10, 7, v10
	v_lshl_add_u32 v14, v14, 23, 0x3b800000
	v_cndmask_b32_e32 v10, v11, v10, vcc_lo
	v_and_b32_e32 v11, 0x80000000, v15
	v_lshlrev_b32_e32 v10, 20, v10
	v_or3_b32 v10, v11, v14, v10
.LBB4_3302:                             ;   in Loop: Header=BB4_2938 Depth=2
	s_or_b32 exec_lo, exec_lo, s40
	v_mul_f32_e32 v10, s29, v10
	v_mov_b32_e32 v118, 0x8000
	s_mov_b32 s40, exec_lo
	v_and_b32_e32 v11, 0x7f800000, v10
	v_cmpx_ne_u32_e32 0x7f800000, v11
	s_cbranch_execz .LBB4_3310
; %bb.3303:                             ;   in Loop: Header=BB4_2938 Depth=2
	v_mov_b32_e32 v118, 0
	s_mov_b32 s41, exec_lo
	v_cmpx_ne_u32_e32 0, v10
	s_cbranch_execz .LBB4_3309
; %bb.3304:                             ;   in Loop: Header=BB4_2938 Depth=2
	v_bfe_u32 v11, v10, 23, 8
	v_and_b32_e32 v14, 0x7fffff, v10
	v_sub_nc_u32_e32 v15, 0x78, v11
	v_cmp_gt_u32_e32 vcc_lo, 0x79, v11
	v_or_b32_e32 v16, 0x800000, v14
	v_cndmask_b32_e32 v15, 0, v15, vcc_lo
	v_cmp_eq_u32_e32 vcc_lo, 0, v11
	v_add_nc_u32_e32 v11, 0xffffff89, v11
	v_cndmask_b32_e64 v15, v15, 0x77, vcc_lo
	v_cndmask_b32_e32 v14, v16, v14, vcc_lo
	v_cndmask_b32_e64 v11, v11, 0xffffff8a, vcc_lo
	v_lshl_add_u32 v16, 0x100000, v15, -1
	v_lshrrev_b32_e32 v17, v15, v14
	v_lshlrev_b32_e64 v101, v15, 0x80000
	v_add_nc_u32_e32 v15, v15, v11
	v_and_b32_e32 v14, v16, v14
	v_bfe_u32 v100, v17, 20, 1
	v_cmp_eq_u32_e64 s12, v14, v101
	v_add_nc_u32_e32 v16, -1, v100
	v_cndmask_b32_e64 v14, 0, v16, s12
	v_lshrrev_b32_e32 v16, 23, v17
	s_mov_b32 s12, exec_lo
	v_add_nc_u32_e32 v14, v14, v17
	v_xor_b32_e32 v16, 1, v16
	v_and_b32_e32 v11, 0xfffff, v14
	v_add_nc_u32_e32 v14, v11, v17
                                        ; implicit-def: $vgpr11
	v_cmpx_ne_u32_e64 v15, v16
	s_xor_b32 s12, exec_lo, s12
; %bb.3305:                             ;   in Loop: Header=BB4_2938 Depth=2
	v_cmp_lt_u32_e32 vcc_lo, 0xffffff, v14
	v_sub_nc_u32_e32 v11, v15, v16
	v_cndmask_b32_e64 v15, 0, 1, vcc_lo
	v_add_co_ci_u32_e64 v11, null, 0, v11, vcc_lo
	v_lshrrev_b32_e32 v14, v15, v14
; %bb.3306:                             ;   in Loop: Header=BB4_2938 Depth=2
	s_andn2_saveexec_b32 s12, s12
; %bb.3307:                             ;   in Loop: Header=BB4_2938 Depth=2
	v_bfe_u32 v11, v14, 23, 1
; %bb.3308:                             ;   in Loop: Header=BB4_2938 Depth=2
	s_or_b32 exec_lo, exec_lo, s12
	v_lshrrev_b32_e32 v14, 20, v14
	v_min_i32_e32 v15, 15, v11
	v_cmp_gt_i32_e32 vcc_lo, 16, v11
	v_and_b32_sdwa v10, v10, v85 dst_sel:DWORD dst_unused:UNUSED_PAD src0_sel:BYTE_3 src1_sel:DWORD
	v_lshlrev_b32_e32 v15, 3, v15
	v_cndmask_b32_e32 v14, 7, v14, vcc_lo
	v_and_b32_e32 v15, 0xf8, v15
	v_and_b32_e32 v16, 7, v14
	v_or_b32_e32 v11, v11, v14
	v_or3_b32 v10, v10, v15, v16
	v_cmp_ne_u32_e32 vcc_lo, 0, v11
	v_lshlrev_b32_e32 v10, 8, v10
	v_cndmask_b32_e32 v118, 0, v10, vcc_lo
.LBB4_3309:                             ;   in Loop: Header=BB4_2938 Depth=2
	s_or_b32 exec_lo, exec_lo, s41
.LBB4_3310:                             ;   in Loop: Header=BB4_2938 Depth=2
	s_or_b32 exec_lo, exec_lo, s40
	v_and_b32_sdwa v11, v12, v96 dst_sel:DWORD dst_unused:UNUSED_PAD src0_sel:WORD_1 src1_sel:DWORD
	s_mov_b32 s12, 0
	s_mov_b32 s40, exec_lo
	v_cmpx_lt_i16_e32 0x7f, v11
	s_xor_b32 s40, exec_lo, s40
	s_cbranch_execz .LBB4_4084
; %bb.3311:                             ;   in Loop: Header=BB4_2938 Depth=2
	s_mov_b32 s12, -1
	s_mov_b32 s41, exec_lo
	v_cmpx_eq_u16_e32 0x80, v11
; %bb.3312:                             ;   in Loop: Header=BB4_2938 Depth=2
	s_xor_b32 s12, exec_lo, -1
; %bb.3313:                             ;   in Loop: Header=BB4_2938 Depth=2
	s_or_b32 exec_lo, exec_lo, s41
	s_and_b32 s12, s12, exec_lo
                                        ; implicit-def: $vgpr11
	s_or_saveexec_b32 s40, s40
	v_mov_b32_e32 v10, 0x7f800001
	s_xor_b32 exec_lo, exec_lo, s40
	s_cbranch_execnz .LBB4_4085
.LBB4_3314:                             ;   in Loop: Header=BB4_2938 Depth=2
	s_or_b32 exec_lo, exec_lo, s40
	s_and_saveexec_b32 s40, s12
	s_cbranch_execz .LBB4_3316
.LBB4_3315:                             ;   in Loop: Header=BB4_2938 Depth=2
	v_bfe_u32 v10, v12, 16, 3
	v_bfe_u32 v15, v12, 19, 4
	v_lshlrev_b32_e32 v16, 8, v12
	v_ffbh_u32_e32 v11, v10
	v_cmp_eq_u32_e32 vcc_lo, 0, v15
	v_min_u32_e32 v11, 32, v11
	v_subrev_nc_u32_e32 v14, 28, v11
	v_sub_nc_u32_e32 v11, 29, v11
	v_lshlrev_b32_sdwa v14, v14, v12 dst_sel:DWORD dst_unused:UNUSED_PAD src0_sel:DWORD src1_sel:WORD_1
	v_cndmask_b32_e32 v11, v15, v11, vcc_lo
	v_and_b32_e32 v14, 7, v14
	v_lshl_add_u32 v11, v11, 23, 0x3b800000
	v_cndmask_b32_e32 v10, v10, v14, vcc_lo
	v_and_b32_e32 v14, 0x80000000, v16
	v_lshlrev_b32_e32 v10, 20, v10
	v_or3_b32 v10, v14, v11, v10
.LBB4_3316:                             ;   in Loop: Header=BB4_2938 Depth=2
	s_or_b32 exec_lo, exec_lo, s40
	v_mul_f32_e32 v10, s29, v10
	v_mov_b32_e32 v112, 0x80
	s_mov_b32 s40, exec_lo
	v_and_b32_e32 v11, 0x7f800000, v10
	v_cmpx_ne_u32_e32 0x7f800000, v11
	s_cbranch_execz .LBB4_3324
; %bb.3317:                             ;   in Loop: Header=BB4_2938 Depth=2
	v_mov_b32_e32 v112, 0
	s_mov_b32 s41, exec_lo
	v_cmpx_ne_u32_e32 0, v10
	s_cbranch_execz .LBB4_3323
; %bb.3318:                             ;   in Loop: Header=BB4_2938 Depth=2
	v_bfe_u32 v11, v10, 23, 8
	v_and_b32_e32 v14, 0x7fffff, v10
	v_sub_nc_u32_e32 v15, 0x78, v11
	v_cmp_gt_u32_e32 vcc_lo, 0x79, v11
	v_or_b32_e32 v16, 0x800000, v14
	v_cndmask_b32_e32 v15, 0, v15, vcc_lo
	v_cmp_eq_u32_e32 vcc_lo, 0, v11
	v_add_nc_u32_e32 v11, 0xffffff89, v11
	v_cndmask_b32_e64 v15, v15, 0x77, vcc_lo
	v_cndmask_b32_e32 v14, v16, v14, vcc_lo
	v_cndmask_b32_e64 v11, v11, 0xffffff8a, vcc_lo
	v_lshl_add_u32 v16, 0x100000, v15, -1
	v_lshrrev_b32_e32 v17, v15, v14
	v_lshlrev_b32_e64 v101, v15, 0x80000
	v_add_nc_u32_e32 v15, v15, v11
	v_and_b32_e32 v14, v16, v14
	v_bfe_u32 v100, v17, 20, 1
	v_cmp_eq_u32_e64 s12, v14, v101
	v_add_nc_u32_e32 v16, -1, v100
	v_cndmask_b32_e64 v14, 0, v16, s12
	v_lshrrev_b32_e32 v16, 23, v17
	s_mov_b32 s12, exec_lo
	v_add_nc_u32_e32 v14, v14, v17
	v_xor_b32_e32 v16, 1, v16
	v_and_b32_e32 v11, 0xfffff, v14
	v_add_nc_u32_e32 v14, v11, v17
                                        ; implicit-def: $vgpr11
	v_cmpx_ne_u32_e64 v15, v16
	s_xor_b32 s12, exec_lo, s12
; %bb.3319:                             ;   in Loop: Header=BB4_2938 Depth=2
	v_cmp_lt_u32_e32 vcc_lo, 0xffffff, v14
	v_sub_nc_u32_e32 v11, v15, v16
	v_cndmask_b32_e64 v15, 0, 1, vcc_lo
	v_add_co_ci_u32_e64 v11, null, 0, v11, vcc_lo
	v_lshrrev_b32_e32 v14, v15, v14
; %bb.3320:                             ;   in Loop: Header=BB4_2938 Depth=2
	s_andn2_saveexec_b32 s12, s12
; %bb.3321:                             ;   in Loop: Header=BB4_2938 Depth=2
	v_bfe_u32 v11, v14, 23, 1
; %bb.3322:                             ;   in Loop: Header=BB4_2938 Depth=2
	s_or_b32 exec_lo, exec_lo, s12
	v_lshrrev_b32_e32 v14, 20, v14
	v_min_i32_e32 v15, 15, v11
	v_cmp_gt_i32_e32 vcc_lo, 16, v11
	v_and_b32_sdwa v10, v10, v85 dst_sel:DWORD dst_unused:UNUSED_PAD src0_sel:BYTE_3 src1_sel:DWORD
	v_lshlrev_b32_e32 v15, 3, v15
	v_cndmask_b32_e32 v14, 7, v14, vcc_lo
	v_and_b32_e32 v15, 0xf8, v15
	v_and_b32_e32 v16, 7, v14
	v_or_b32_e32 v11, v11, v14
	v_or3_b32 v10, v15, v10, v16
	v_cmp_ne_u32_e32 vcc_lo, 0, v11
	v_cndmask_b32_e32 v112, 0, v10, vcc_lo
.LBB4_3323:                             ;   in Loop: Header=BB4_2938 Depth=2
	s_or_b32 exec_lo, exec_lo, s41
.LBB4_3324:                             ;   in Loop: Header=BB4_2938 Depth=2
	s_or_b32 exec_lo, exec_lo, s40
	v_cmp_gt_i16_sdwa s40, v12, v84 src0_sel:BYTE_3 src1_sel:DWORD
	s_mov_b32 s12, 0
	s_and_saveexec_b32 s41, s40
	s_xor_b32 s40, exec_lo, s41
	s_cbranch_execz .LBB4_4086
; %bb.3325:                             ;   in Loop: Header=BB4_2938 Depth=2
	v_cmp_eq_u16_sdwa s42, v12, v85 src0_sel:BYTE_3 src1_sel:DWORD
	s_mov_b32 s12, -1
	s_and_saveexec_b32 s41, s42
; %bb.3326:                             ;   in Loop: Header=BB4_2938 Depth=2
	s_xor_b32 s12, exec_lo, -1
; %bb.3327:                             ;   in Loop: Header=BB4_2938 Depth=2
	s_or_b32 exec_lo, exec_lo, s41
	s_and_b32 s12, s12, exec_lo
	s_or_saveexec_b32 s40, s40
	v_mov_b32_e32 v10, 0x7f800001
	s_xor_b32 exec_lo, exec_lo, s40
	s_cbranch_execnz .LBB4_4087
.LBB4_3328:                             ;   in Loop: Header=BB4_2938 Depth=2
	s_or_b32 exec_lo, exec_lo, s40
	s_and_saveexec_b32 s40, s12
	s_cbranch_execz .LBB4_3330
.LBB4_3329:                             ;   in Loop: Header=BB4_2938 Depth=2
	v_bfe_u32 v10, v12, 24, 3
	v_bfe_u32 v15, v12, 27, 4
	v_ffbh_u32_e32 v11, v10
	v_cmp_eq_u32_e32 vcc_lo, 0, v15
	v_min_u32_e32 v11, 32, v11
	v_subrev_nc_u32_e32 v14, 28, v11
	v_sub_nc_u32_e32 v11, 29, v11
	v_lshlrev_b32_sdwa v14, v14, v12 dst_sel:DWORD dst_unused:UNUSED_PAD src0_sel:DWORD src1_sel:BYTE_3
	v_cndmask_b32_e32 v11, v15, v11, vcc_lo
	v_and_b32_e32 v12, 0x80000000, v12
	v_and_b32_e32 v14, 7, v14
	v_lshl_add_u32 v11, v11, 23, 0x3b800000
	v_cndmask_b32_e32 v10, v10, v14, vcc_lo
	v_lshlrev_b32_e32 v10, 20, v10
	v_or3_b32 v10, v12, v11, v10
.LBB4_3330:                             ;   in Loop: Header=BB4_2938 Depth=2
	s_or_b32 exec_lo, exec_lo, s40
	v_mul_f32_e32 v10, s29, v10
	v_mov_b32_e32 v116, 0x8000
	s_mov_b32 s40, exec_lo
	v_and_b32_e32 v11, 0x7f800000, v10
	v_cmpx_ne_u32_e32 0x7f800000, v11
	s_cbranch_execz .LBB4_3338
; %bb.3331:                             ;   in Loop: Header=BB4_2938 Depth=2
	v_mov_b32_e32 v116, 0
	s_mov_b32 s41, exec_lo
	v_cmpx_ne_u32_e32 0, v10
	s_cbranch_execz .LBB4_3337
; %bb.3332:                             ;   in Loop: Header=BB4_2938 Depth=2
	v_bfe_u32 v11, v10, 23, 8
	v_and_b32_e32 v12, 0x7fffff, v10
	v_sub_nc_u32_e32 v14, 0x78, v11
	v_cmp_gt_u32_e32 vcc_lo, 0x79, v11
	v_or_b32_e32 v15, 0x800000, v12
	v_cndmask_b32_e32 v14, 0, v14, vcc_lo
	v_cmp_eq_u32_e32 vcc_lo, 0, v11
	v_add_nc_u32_e32 v11, 0xffffff89, v11
	v_cndmask_b32_e64 v14, v14, 0x77, vcc_lo
	v_cndmask_b32_e32 v12, v15, v12, vcc_lo
	v_cndmask_b32_e64 v11, v11, 0xffffff8a, vcc_lo
	v_lshl_add_u32 v15, 0x100000, v14, -1
	v_lshrrev_b32_e32 v16, v14, v12
	v_lshlrev_b32_e64 v100, v14, 0x80000
	v_add_nc_u32_e32 v14, v14, v11
	v_and_b32_e32 v12, v15, v12
	v_bfe_u32 v17, v16, 20, 1
	v_cmp_eq_u32_e64 s12, v12, v100
	v_add_nc_u32_e32 v15, -1, v17
	v_cndmask_b32_e64 v12, 0, v15, s12
	v_lshrrev_b32_e32 v15, 23, v16
	s_mov_b32 s12, exec_lo
	v_add_nc_u32_e32 v12, v12, v16
	v_xor_b32_e32 v15, 1, v15
	v_and_b32_e32 v11, 0xfffff, v12
	v_add_nc_u32_e32 v12, v11, v16
                                        ; implicit-def: $vgpr11
	v_cmpx_ne_u32_e64 v14, v15
	s_xor_b32 s12, exec_lo, s12
; %bb.3333:                             ;   in Loop: Header=BB4_2938 Depth=2
	v_cmp_lt_u32_e32 vcc_lo, 0xffffff, v12
	v_sub_nc_u32_e32 v11, v14, v15
	v_cndmask_b32_e64 v14, 0, 1, vcc_lo
	v_add_co_ci_u32_e64 v11, null, 0, v11, vcc_lo
	v_lshrrev_b32_e32 v12, v14, v12
; %bb.3334:                             ;   in Loop: Header=BB4_2938 Depth=2
	s_andn2_saveexec_b32 s12, s12
; %bb.3335:                             ;   in Loop: Header=BB4_2938 Depth=2
	v_bfe_u32 v11, v12, 23, 1
; %bb.3336:                             ;   in Loop: Header=BB4_2938 Depth=2
	s_or_b32 exec_lo, exec_lo, s12
	v_lshrrev_b32_e32 v12, 20, v12
	v_min_i32_e32 v14, 15, v11
	v_cmp_gt_i32_e32 vcc_lo, 16, v11
	v_and_b32_sdwa v10, v10, v85 dst_sel:DWORD dst_unused:UNUSED_PAD src0_sel:BYTE_3 src1_sel:DWORD
	v_lshlrev_b32_e32 v14, 3, v14
	v_cndmask_b32_e32 v12, 7, v12, vcc_lo
	v_and_b32_e32 v14, 0xf8, v14
	v_and_b32_e32 v15, 7, v12
	v_or_b32_e32 v11, v11, v12
	v_or3_b32 v10, v10, v14, v15
	v_cmp_ne_u32_e32 vcc_lo, 0, v11
	v_lshlrev_b32_e32 v10, 8, v10
	v_cndmask_b32_e32 v116, 0, v10, vcc_lo
.LBB4_3337:                             ;   in Loop: Header=BB4_2938 Depth=2
	s_or_b32 exec_lo, exec_lo, s41
.LBB4_3338:                             ;   in Loop: Header=BB4_2938 Depth=2
	s_or_b32 exec_lo, exec_lo, s40
	v_cmp_gt_i16_sdwa s40, v13, v84 src0_sel:BYTE_0 src1_sel:DWORD
	s_mov_b32 s12, 0
	s_and_saveexec_b32 s41, s40
	s_xor_b32 s40, exec_lo, s41
	s_cbranch_execz .LBB4_4088
; %bb.3339:                             ;   in Loop: Header=BB4_2938 Depth=2
	v_cmp_eq_u16_sdwa s42, v13, v85 src0_sel:BYTE_0 src1_sel:DWORD
	s_mov_b32 s12, -1
	s_and_saveexec_b32 s41, s42
; %bb.3340:                             ;   in Loop: Header=BB4_2938 Depth=2
	s_xor_b32 s12, exec_lo, -1
; %bb.3341:                             ;   in Loop: Header=BB4_2938 Depth=2
	s_or_b32 exec_lo, exec_lo, s41
	s_and_b32 s12, s12, exec_lo
	s_or_saveexec_b32 s40, s40
	v_mov_b32_e32 v10, 0x7f800001
	s_xor_b32 exec_lo, exec_lo, s40
	s_cbranch_execnz .LBB4_4089
.LBB4_3342:                             ;   in Loop: Header=BB4_2938 Depth=2
	s_or_b32 exec_lo, exec_lo, s40
	s_and_saveexec_b32 s40, s12
	s_cbranch_execz .LBB4_3344
.LBB4_3343:                             ;   in Loop: Header=BB4_2938 Depth=2
	v_and_b32_e32 v10, 7, v13
	v_bfe_u32 v14, v13, 3, 4
	v_lshlrev_b32_e32 v15, 24, v13
	v_ffbh_u32_e32 v11, v10
	v_cmp_eq_u32_e32 vcc_lo, 0, v14
	v_min_u32_e32 v11, 32, v11
	v_subrev_nc_u32_e32 v12, 28, v11
	v_sub_nc_u32_e32 v11, 29, v11
	v_lshlrev_b32_e32 v12, v12, v13
	v_cndmask_b32_e32 v11, v14, v11, vcc_lo
	v_and_b32_e32 v12, 7, v12
	v_lshl_add_u32 v11, v11, 23, 0x3b800000
	v_cndmask_b32_e32 v10, v10, v12, vcc_lo
	v_and_b32_e32 v12, 0x80000000, v15
	v_lshlrev_b32_e32 v10, 20, v10
	v_or3_b32 v10, v12, v11, v10
.LBB4_3344:                             ;   in Loop: Header=BB4_2938 Depth=2
	s_or_b32 exec_lo, exec_lo, s40
	v_mul_f32_e32 v10, s29, v10
	v_mov_b32_e32 v101, 0x80
	s_mov_b32 s40, exec_lo
	v_and_b32_e32 v11, 0x7f800000, v10
	v_cmpx_ne_u32_e32 0x7f800000, v11
	s_cbranch_execz .LBB4_3352
; %bb.3345:                             ;   in Loop: Header=BB4_2938 Depth=2
	v_mov_b32_e32 v101, 0
	s_mov_b32 s41, exec_lo
	v_cmpx_ne_u32_e32 0, v10
	s_cbranch_execz .LBB4_3351
; %bb.3346:                             ;   in Loop: Header=BB4_2938 Depth=2
	v_bfe_u32 v11, v10, 23, 8
	v_and_b32_e32 v12, 0x7fffff, v10
	v_sub_nc_u32_e32 v14, 0x78, v11
	v_cmp_gt_u32_e32 vcc_lo, 0x79, v11
	v_or_b32_e32 v15, 0x800000, v12
	v_cndmask_b32_e32 v14, 0, v14, vcc_lo
	v_cmp_eq_u32_e32 vcc_lo, 0, v11
	v_add_nc_u32_e32 v11, 0xffffff89, v11
	v_cndmask_b32_e64 v14, v14, 0x77, vcc_lo
	v_cndmask_b32_e32 v12, v15, v12, vcc_lo
	v_cndmask_b32_e64 v11, v11, 0xffffff8a, vcc_lo
	v_lshl_add_u32 v15, 0x100000, v14, -1
	v_lshrrev_b32_e32 v16, v14, v12
	v_lshlrev_b32_e64 v100, v14, 0x80000
	v_add_nc_u32_e32 v14, v14, v11
	v_and_b32_e32 v12, v15, v12
	v_bfe_u32 v17, v16, 20, 1
	v_cmp_eq_u32_e64 s12, v12, v100
	v_add_nc_u32_e32 v15, -1, v17
	v_cndmask_b32_e64 v12, 0, v15, s12
	v_lshrrev_b32_e32 v15, 23, v16
	s_mov_b32 s12, exec_lo
	v_add_nc_u32_e32 v12, v12, v16
	v_xor_b32_e32 v15, 1, v15
	v_and_b32_e32 v11, 0xfffff, v12
	v_add_nc_u32_e32 v12, v11, v16
                                        ; implicit-def: $vgpr11
	v_cmpx_ne_u32_e64 v14, v15
	s_xor_b32 s12, exec_lo, s12
; %bb.3347:                             ;   in Loop: Header=BB4_2938 Depth=2
	v_cmp_lt_u32_e32 vcc_lo, 0xffffff, v12
	v_sub_nc_u32_e32 v11, v14, v15
	v_cndmask_b32_e64 v14, 0, 1, vcc_lo
	v_add_co_ci_u32_e64 v11, null, 0, v11, vcc_lo
	v_lshrrev_b32_e32 v12, v14, v12
; %bb.3348:                             ;   in Loop: Header=BB4_2938 Depth=2
	s_andn2_saveexec_b32 s12, s12
; %bb.3349:                             ;   in Loop: Header=BB4_2938 Depth=2
	v_bfe_u32 v11, v12, 23, 1
; %bb.3350:                             ;   in Loop: Header=BB4_2938 Depth=2
	s_or_b32 exec_lo, exec_lo, s12
	v_lshrrev_b32_e32 v12, 20, v12
	v_min_i32_e32 v14, 15, v11
	v_cmp_gt_i32_e32 vcc_lo, 16, v11
	v_and_b32_sdwa v10, v10, v85 dst_sel:DWORD dst_unused:UNUSED_PAD src0_sel:BYTE_3 src1_sel:DWORD
	v_lshlrev_b32_e32 v14, 3, v14
	v_cndmask_b32_e32 v12, 7, v12, vcc_lo
	v_and_b32_e32 v14, 0xf8, v14
	v_and_b32_e32 v15, 7, v12
	v_or_b32_e32 v11, v11, v12
	v_or3_b32 v10, v14, v10, v15
	v_cmp_ne_u32_e32 vcc_lo, 0, v11
	v_cndmask_b32_e32 v101, 0, v10, vcc_lo
.LBB4_3351:                             ;   in Loop: Header=BB4_2938 Depth=2
	s_or_b32 exec_lo, exec_lo, s41
.LBB4_3352:                             ;   in Loop: Header=BB4_2938 Depth=2
	s_or_b32 exec_lo, exec_lo, s40
	v_cmp_gt_i16_sdwa s40, v13, v84 src0_sel:BYTE_1 src1_sel:DWORD
	s_mov_b32 s12, 0
	s_and_saveexec_b32 s41, s40
	s_xor_b32 s40, exec_lo, s41
	s_cbranch_execz .LBB4_4090
; %bb.3353:                             ;   in Loop: Header=BB4_2938 Depth=2
	v_cmp_eq_u16_sdwa s42, v13, v85 src0_sel:BYTE_1 src1_sel:DWORD
	s_mov_b32 s12, -1
	s_and_saveexec_b32 s41, s42
; %bb.3354:                             ;   in Loop: Header=BB4_2938 Depth=2
	s_xor_b32 s12, exec_lo, -1
; %bb.3355:                             ;   in Loop: Header=BB4_2938 Depth=2
	s_or_b32 exec_lo, exec_lo, s41
	s_and_b32 s12, s12, exec_lo
	s_or_saveexec_b32 s40, s40
	v_mov_b32_e32 v10, 0x7f800001
	s_xor_b32 exec_lo, exec_lo, s40
	s_cbranch_execnz .LBB4_4091
.LBB4_3356:                             ;   in Loop: Header=BB4_2938 Depth=2
	s_or_b32 exec_lo, exec_lo, s40
	s_and_saveexec_b32 s40, s12
	s_cbranch_execz .LBB4_3358
.LBB4_3357:                             ;   in Loop: Header=BB4_2938 Depth=2
	v_and_b32_sdwa v10, v86, v13 dst_sel:DWORD dst_unused:UNUSED_PAD src0_sel:DWORD src1_sel:BYTE_1
	v_and_b32_e32 v11, 7, v10
	v_bfe_u32 v15, v10, 3, 4
	v_ffbh_u32_e32 v12, v11
	v_cmp_eq_u32_e32 vcc_lo, 0, v15
	v_min_u32_e32 v12, 32, v12
	v_subrev_nc_u32_e32 v14, 28, v12
	v_sub_nc_u32_e32 v12, 29, v12
	v_lshlrev_b32_e32 v10, v14, v10
	v_lshlrev_b32_sdwa v14, v87, v13 dst_sel:DWORD dst_unused:UNUSED_PAD src0_sel:DWORD src1_sel:BYTE_1
	v_cndmask_b32_e32 v12, v15, v12, vcc_lo
	v_and_b32_e32 v10, 7, v10
	v_lshl_add_u32 v12, v12, 23, 0x3b800000
	v_cndmask_b32_e32 v10, v11, v10, vcc_lo
	v_and_b32_e32 v11, 0x80000000, v14
	v_lshlrev_b32_e32 v10, 20, v10
	v_or3_b32 v10, v11, v12, v10
.LBB4_3358:                             ;   in Loop: Header=BB4_2938 Depth=2
	s_or_b32 exec_lo, exec_lo, s40
	v_mul_f32_e32 v10, s29, v10
	v_mov_b32_e32 v113, 0x8000
	s_mov_b32 s40, exec_lo
	v_and_b32_e32 v11, 0x7f800000, v10
	v_cmpx_ne_u32_e32 0x7f800000, v11
	s_cbranch_execz .LBB4_3366
; %bb.3359:                             ;   in Loop: Header=BB4_2938 Depth=2
	v_mov_b32_e32 v113, 0
	s_mov_b32 s41, exec_lo
	v_cmpx_ne_u32_e32 0, v10
	s_cbranch_execz .LBB4_3365
; %bb.3360:                             ;   in Loop: Header=BB4_2938 Depth=2
	v_bfe_u32 v11, v10, 23, 8
	v_and_b32_e32 v12, 0x7fffff, v10
	v_sub_nc_u32_e32 v14, 0x78, v11
	v_cmp_gt_u32_e32 vcc_lo, 0x79, v11
	v_or_b32_e32 v15, 0x800000, v12
	v_cndmask_b32_e32 v14, 0, v14, vcc_lo
	v_cmp_eq_u32_e32 vcc_lo, 0, v11
	v_add_nc_u32_e32 v11, 0xffffff89, v11
	v_cndmask_b32_e64 v14, v14, 0x77, vcc_lo
	v_cndmask_b32_e32 v12, v15, v12, vcc_lo
	v_cndmask_b32_e64 v11, v11, 0xffffff8a, vcc_lo
	v_lshl_add_u32 v15, 0x100000, v14, -1
	v_lshrrev_b32_e32 v16, v14, v12
	v_lshlrev_b32_e64 v100, v14, 0x80000
	v_add_nc_u32_e32 v14, v14, v11
	v_and_b32_e32 v12, v15, v12
	v_bfe_u32 v17, v16, 20, 1
	v_cmp_eq_u32_e64 s12, v12, v100
	v_add_nc_u32_e32 v15, -1, v17
	v_cndmask_b32_e64 v12, 0, v15, s12
	v_lshrrev_b32_e32 v15, 23, v16
	s_mov_b32 s12, exec_lo
	v_add_nc_u32_e32 v12, v12, v16
	v_xor_b32_e32 v15, 1, v15
	v_and_b32_e32 v11, 0xfffff, v12
	v_add_nc_u32_e32 v12, v11, v16
                                        ; implicit-def: $vgpr11
	v_cmpx_ne_u32_e64 v14, v15
	s_xor_b32 s12, exec_lo, s12
; %bb.3361:                             ;   in Loop: Header=BB4_2938 Depth=2
	v_cmp_lt_u32_e32 vcc_lo, 0xffffff, v12
	v_sub_nc_u32_e32 v11, v14, v15
	v_cndmask_b32_e64 v14, 0, 1, vcc_lo
	v_add_co_ci_u32_e64 v11, null, 0, v11, vcc_lo
	v_lshrrev_b32_e32 v12, v14, v12
; %bb.3362:                             ;   in Loop: Header=BB4_2938 Depth=2
	s_andn2_saveexec_b32 s12, s12
; %bb.3363:                             ;   in Loop: Header=BB4_2938 Depth=2
	v_bfe_u32 v11, v12, 23, 1
; %bb.3364:                             ;   in Loop: Header=BB4_2938 Depth=2
	s_or_b32 exec_lo, exec_lo, s12
	v_lshrrev_b32_e32 v12, 20, v12
	v_min_i32_e32 v14, 15, v11
	v_cmp_gt_i32_e32 vcc_lo, 16, v11
	v_and_b32_sdwa v10, v10, v85 dst_sel:DWORD dst_unused:UNUSED_PAD src0_sel:BYTE_3 src1_sel:DWORD
	v_lshlrev_b32_e32 v14, 3, v14
	v_cndmask_b32_e32 v12, 7, v12, vcc_lo
	v_and_b32_e32 v14, 0xf8, v14
	v_and_b32_e32 v15, 7, v12
	v_or_b32_e32 v11, v11, v12
	v_or3_b32 v10, v10, v14, v15
	v_cmp_ne_u32_e32 vcc_lo, 0, v11
	v_lshlrev_b32_e32 v10, 8, v10
	v_cndmask_b32_e32 v113, 0, v10, vcc_lo
.LBB4_3365:                             ;   in Loop: Header=BB4_2938 Depth=2
	s_or_b32 exec_lo, exec_lo, s41
.LBB4_3366:                             ;   in Loop: Header=BB4_2938 Depth=2
	s_or_b32 exec_lo, exec_lo, s40
	v_and_b32_sdwa v11, v13, v96 dst_sel:DWORD dst_unused:UNUSED_PAD src0_sel:WORD_1 src1_sel:DWORD
	s_mov_b32 s12, 0
	s_mov_b32 s40, exec_lo
	v_cmpx_lt_i16_e32 0x7f, v11
	s_xor_b32 s40, exec_lo, s40
	s_cbranch_execz .LBB4_4092
; %bb.3367:                             ;   in Loop: Header=BB4_2938 Depth=2
	s_mov_b32 s12, -1
	s_mov_b32 s41, exec_lo
	v_cmpx_eq_u16_e32 0x80, v11
; %bb.3368:                             ;   in Loop: Header=BB4_2938 Depth=2
	s_xor_b32 s12, exec_lo, -1
; %bb.3369:                             ;   in Loop: Header=BB4_2938 Depth=2
	s_or_b32 exec_lo, exec_lo, s41
	s_and_b32 s12, s12, exec_lo
                                        ; implicit-def: $vgpr11
	s_or_saveexec_b32 s40, s40
	v_mov_b32_e32 v10, 0x7f800001
	s_xor_b32 exec_lo, exec_lo, s40
	s_cbranch_execnz .LBB4_4093
.LBB4_3370:                             ;   in Loop: Header=BB4_2938 Depth=2
	s_or_b32 exec_lo, exec_lo, s40
	s_and_saveexec_b32 s40, s12
	s_cbranch_execz .LBB4_3372
.LBB4_3371:                             ;   in Loop: Header=BB4_2938 Depth=2
	v_bfe_u32 v10, v13, 16, 3
	v_bfe_u32 v14, v13, 19, 4
	v_lshlrev_b32_e32 v15, 8, v13
	v_ffbh_u32_e32 v11, v10
	v_cmp_eq_u32_e32 vcc_lo, 0, v14
	v_min_u32_e32 v11, 32, v11
	v_subrev_nc_u32_e32 v12, 28, v11
	v_sub_nc_u32_e32 v11, 29, v11
	v_lshlrev_b32_sdwa v12, v12, v13 dst_sel:DWORD dst_unused:UNUSED_PAD src0_sel:DWORD src1_sel:WORD_1
	v_cndmask_b32_e32 v11, v14, v11, vcc_lo
	v_and_b32_e32 v12, 7, v12
	v_lshl_add_u32 v11, v11, 23, 0x3b800000
	v_cndmask_b32_e32 v10, v10, v12, vcc_lo
	v_and_b32_e32 v12, 0x80000000, v15
	v_lshlrev_b32_e32 v10, 20, v10
	v_or3_b32 v10, v12, v11, v10
.LBB4_3372:                             ;   in Loop: Header=BB4_2938 Depth=2
	s_or_b32 exec_lo, exec_lo, s40
	v_mul_f32_e32 v10, s29, v10
	v_mov_b32_e32 v100, 0x80
	s_mov_b32 s40, exec_lo
	v_and_b32_e32 v11, 0x7f800000, v10
	v_cmpx_ne_u32_e32 0x7f800000, v11
	s_cbranch_execz .LBB4_3380
; %bb.3373:                             ;   in Loop: Header=BB4_2938 Depth=2
	v_mov_b32_e32 v100, 0
	s_mov_b32 s41, exec_lo
	v_cmpx_ne_u32_e32 0, v10
	s_cbranch_execz .LBB4_3379
; %bb.3374:                             ;   in Loop: Header=BB4_2938 Depth=2
	v_bfe_u32 v11, v10, 23, 8
	v_and_b32_e32 v12, 0x7fffff, v10
	v_sub_nc_u32_e32 v14, 0x78, v11
	v_cmp_gt_u32_e32 vcc_lo, 0x79, v11
	v_or_b32_e32 v15, 0x800000, v12
	v_cndmask_b32_e32 v14, 0, v14, vcc_lo
	v_cmp_eq_u32_e32 vcc_lo, 0, v11
	v_add_nc_u32_e32 v11, 0xffffff89, v11
	v_cndmask_b32_e64 v14, v14, 0x77, vcc_lo
	v_cndmask_b32_e32 v12, v15, v12, vcc_lo
	v_cndmask_b32_e64 v11, v11, 0xffffff8a, vcc_lo
	v_lshl_add_u32 v15, 0x100000, v14, -1
	v_lshrrev_b32_e32 v16, v14, v12
	v_lshlrev_b32_e64 v100, v14, 0x80000
	v_add_nc_u32_e32 v14, v14, v11
	v_and_b32_e32 v12, v15, v12
	v_bfe_u32 v17, v16, 20, 1
	v_cmp_eq_u32_e64 s12, v12, v100
	v_add_nc_u32_e32 v15, -1, v17
	v_cndmask_b32_e64 v12, 0, v15, s12
	v_lshrrev_b32_e32 v15, 23, v16
	s_mov_b32 s12, exec_lo
	v_add_nc_u32_e32 v12, v12, v16
	v_xor_b32_e32 v15, 1, v15
	v_and_b32_e32 v11, 0xfffff, v12
	v_add_nc_u32_e32 v12, v11, v16
                                        ; implicit-def: $vgpr11
	v_cmpx_ne_u32_e64 v14, v15
	s_xor_b32 s12, exec_lo, s12
; %bb.3375:                             ;   in Loop: Header=BB4_2938 Depth=2
	v_cmp_lt_u32_e32 vcc_lo, 0xffffff, v12
	v_sub_nc_u32_e32 v11, v14, v15
	v_cndmask_b32_e64 v14, 0, 1, vcc_lo
	v_add_co_ci_u32_e64 v11, null, 0, v11, vcc_lo
	v_lshrrev_b32_e32 v12, v14, v12
; %bb.3376:                             ;   in Loop: Header=BB4_2938 Depth=2
	s_andn2_saveexec_b32 s12, s12
; %bb.3377:                             ;   in Loop: Header=BB4_2938 Depth=2
	v_bfe_u32 v11, v12, 23, 1
; %bb.3378:                             ;   in Loop: Header=BB4_2938 Depth=2
	s_or_b32 exec_lo, exec_lo, s12
	v_lshrrev_b32_e32 v12, 20, v12
	v_min_i32_e32 v14, 15, v11
	v_cmp_gt_i32_e32 vcc_lo, 16, v11
	v_and_b32_sdwa v10, v10, v85 dst_sel:DWORD dst_unused:UNUSED_PAD src0_sel:BYTE_3 src1_sel:DWORD
	v_lshlrev_b32_e32 v14, 3, v14
	v_cndmask_b32_e32 v12, 7, v12, vcc_lo
	v_and_b32_e32 v14, 0xf8, v14
	v_and_b32_e32 v15, 7, v12
	v_or_b32_e32 v11, v11, v12
	v_or3_b32 v10, v14, v10, v15
	v_cmp_ne_u32_e32 vcc_lo, 0, v11
	v_cndmask_b32_e32 v100, 0, v10, vcc_lo
.LBB4_3379:                             ;   in Loop: Header=BB4_2938 Depth=2
	s_or_b32 exec_lo, exec_lo, s41
.LBB4_3380:                             ;   in Loop: Header=BB4_2938 Depth=2
	s_or_b32 exec_lo, exec_lo, s40
	v_cmp_gt_i16_sdwa s40, v13, v84 src0_sel:BYTE_3 src1_sel:DWORD
	s_mov_b32 s12, 0
	s_and_saveexec_b32 s41, s40
	s_xor_b32 s40, exec_lo, s41
	s_cbranch_execz .LBB4_4094
; %bb.3381:                             ;   in Loop: Header=BB4_2938 Depth=2
	v_cmp_eq_u16_sdwa s42, v13, v85 src0_sel:BYTE_3 src1_sel:DWORD
	s_mov_b32 s12, -1
	s_and_saveexec_b32 s41, s42
; %bb.3382:                             ;   in Loop: Header=BB4_2938 Depth=2
	s_xor_b32 s12, exec_lo, -1
; %bb.3383:                             ;   in Loop: Header=BB4_2938 Depth=2
	s_or_b32 exec_lo, exec_lo, s41
	s_and_b32 s12, s12, exec_lo
	s_or_saveexec_b32 s40, s40
	v_mov_b32_e32 v10, 0x7f800001
	s_xor_b32 exec_lo, exec_lo, s40
	s_cbranch_execnz .LBB4_4095
.LBB4_3384:                             ;   in Loop: Header=BB4_2938 Depth=2
	s_or_b32 exec_lo, exec_lo, s40
	s_and_saveexec_b32 s40, s12
	s_cbranch_execz .LBB4_3386
.LBB4_3385:                             ;   in Loop: Header=BB4_2938 Depth=2
	v_bfe_u32 v10, v13, 24, 3
	v_bfe_u32 v14, v13, 27, 4
	v_ffbh_u32_e32 v11, v10
	v_cmp_eq_u32_e32 vcc_lo, 0, v14
	v_min_u32_e32 v11, 32, v11
	v_subrev_nc_u32_e32 v12, 28, v11
	v_sub_nc_u32_e32 v11, 29, v11
	v_lshlrev_b32_sdwa v12, v12, v13 dst_sel:DWORD dst_unused:UNUSED_PAD src0_sel:DWORD src1_sel:BYTE_3
	v_cndmask_b32_e32 v11, v14, v11, vcc_lo
	v_and_b32_e32 v12, 7, v12
	v_lshl_add_u32 v11, v11, 23, 0x3b800000
	v_cndmask_b32_e32 v10, v10, v12, vcc_lo
	v_and_b32_e32 v12, 0x80000000, v13
	v_lshlrev_b32_e32 v10, 20, v10
	v_or3_b32 v10, v12, v11, v10
.LBB4_3386:                             ;   in Loop: Header=BB4_2938 Depth=2
	s_or_b32 exec_lo, exec_lo, s40
	v_mul_f32_e32 v10, s29, v10
	v_mov_b32_e32 v102, 0x8000
	s_mov_b32 s29, exec_lo
	v_and_b32_e32 v11, 0x7f800000, v10
	v_cmpx_ne_u32_e32 0x7f800000, v11
	s_cbranch_execz .LBB4_3394
; %bb.3387:                             ;   in Loop: Header=BB4_2938 Depth=2
	v_mov_b32_e32 v102, 0
	s_mov_b32 s40, exec_lo
	v_cmpx_ne_u32_e32 0, v10
	s_cbranch_execz .LBB4_3393
; %bb.3388:                             ;   in Loop: Header=BB4_2938 Depth=2
	v_bfe_u32 v11, v10, 23, 8
	v_and_b32_e32 v12, 0x7fffff, v10
	v_sub_nc_u32_e32 v13, 0x78, v11
	v_cmp_gt_u32_e32 vcc_lo, 0x79, v11
	v_or_b32_e32 v14, 0x800000, v12
	v_cndmask_b32_e32 v13, 0, v13, vcc_lo
	v_cmp_eq_u32_e32 vcc_lo, 0, v11
	v_add_nc_u32_e32 v11, 0xffffff89, v11
	v_cndmask_b32_e64 v13, v13, 0x77, vcc_lo
	v_cndmask_b32_e32 v12, v14, v12, vcc_lo
	v_cndmask_b32_e64 v11, v11, 0xffffff8a, vcc_lo
	v_lshl_add_u32 v14, 0x100000, v13, -1
	v_lshrrev_b32_e32 v15, v13, v12
	v_lshlrev_b32_e64 v17, v13, 0x80000
	v_add_nc_u32_e32 v13, v13, v11
	v_and_b32_e32 v12, v14, v12
	v_bfe_u32 v16, v15, 20, 1
	v_cmp_eq_u32_e64 s12, v12, v17
	v_add_nc_u32_e32 v14, -1, v16
	v_cndmask_b32_e64 v12, 0, v14, s12
	v_lshrrev_b32_e32 v14, 23, v15
	s_mov_b32 s12, exec_lo
	v_add_nc_u32_e32 v12, v12, v15
	v_xor_b32_e32 v14, 1, v14
	v_and_b32_e32 v11, 0xfffff, v12
	v_add_nc_u32_e32 v12, v11, v15
                                        ; implicit-def: $vgpr11
	v_cmpx_ne_u32_e64 v13, v14
	s_xor_b32 s12, exec_lo, s12
; %bb.3389:                             ;   in Loop: Header=BB4_2938 Depth=2
	v_cmp_lt_u32_e32 vcc_lo, 0xffffff, v12
	v_sub_nc_u32_e32 v11, v13, v14
	v_cndmask_b32_e64 v13, 0, 1, vcc_lo
	v_add_co_ci_u32_e64 v11, null, 0, v11, vcc_lo
	v_lshrrev_b32_e32 v12, v13, v12
; %bb.3390:                             ;   in Loop: Header=BB4_2938 Depth=2
	s_andn2_saveexec_b32 s12, s12
; %bb.3391:                             ;   in Loop: Header=BB4_2938 Depth=2
	v_bfe_u32 v11, v12, 23, 1
; %bb.3392:                             ;   in Loop: Header=BB4_2938 Depth=2
	s_or_b32 exec_lo, exec_lo, s12
	v_lshrrev_b32_e32 v12, 20, v12
	v_min_i32_e32 v13, 15, v11
	v_cmp_gt_i32_e32 vcc_lo, 16, v11
	v_and_b32_sdwa v10, v10, v85 dst_sel:DWORD dst_unused:UNUSED_PAD src0_sel:BYTE_3 src1_sel:DWORD
	v_lshlrev_b32_e32 v13, 3, v13
	v_cndmask_b32_e32 v12, 7, v12, vcc_lo
	v_and_b32_e32 v13, 0xf8, v13
	v_and_b32_e32 v14, 7, v12
	v_or_b32_e32 v11, v11, v12
	v_or3_b32 v10, v10, v13, v14
	v_cmp_ne_u32_e32 vcc_lo, 0, v11
	v_lshlrev_b32_e32 v10, 8, v10
	v_cndmask_b32_e32 v102, 0, v10, vcc_lo
.LBB4_3393:                             ;   in Loop: Header=BB4_2938 Depth=2
	s_or_b32 exec_lo, exec_lo, s40
.LBB4_3394:                             ;   in Loop: Header=BB4_2938 Depth=2
	s_or_b32 exec_lo, exec_lo, s29
	s_clause 0x1
	global_load_dwordx4 v[14:17], v[64:65], off slc
	global_load_dwordx4 v[10:13], v[64:65], off offset:512 slc
	v_or_b32_e32 v75, v103, v99
	s_mov_b32 s12, 0
	v_cmp_gt_i16_sdwa s29, v75, v84 src0_sel:BYTE_0 src1_sel:DWORD
	s_and_saveexec_b32 s40, s29
	s_xor_b32 s29, exec_lo, s40
	s_cbranch_execz .LBB4_4096
; %bb.3395:                             ;   in Loop: Header=BB4_2938 Depth=2
	v_cmp_eq_u16_sdwa s41, v75, v85 src0_sel:BYTE_0 src1_sel:DWORD
	s_mov_b32 s12, -1
	s_and_saveexec_b32 s40, s41
; %bb.3396:                             ;   in Loop: Header=BB4_2938 Depth=2
	s_xor_b32 s12, exec_lo, -1
; %bb.3397:                             ;   in Loop: Header=BB4_2938 Depth=2
	s_or_b32 exec_lo, exec_lo, s40
	s_and_b32 s12, s12, exec_lo
	s_or_saveexec_b32 s29, s29
	v_mov_b32_e32 v99, 0x7f800001
	s_xor_b32 exec_lo, exec_lo, s29
	s_cbranch_execnz .LBB4_4097
.LBB4_3398:                             ;   in Loop: Header=BB4_2938 Depth=2
	s_or_b32 exec_lo, exec_lo, s29
	s_and_saveexec_b32 s29, s12
	s_cbranch_execz .LBB4_3400
.LBB4_3399:                             ;   in Loop: Header=BB4_2938 Depth=2
	v_and_b32_e32 v99, 7, v75
	v_bfe_u32 v77, v75, 3, 4
	v_lshlrev_b32_e32 v78, 24, v75
	v_ffbh_u32_e32 v103, v99
	v_cmp_eq_u32_e32 vcc_lo, 0, v77
	v_min_u32_e32 v103, 32, v103
	v_subrev_nc_u32_e32 v76, 28, v103
	v_sub_nc_u32_e32 v103, 29, v103
	v_lshlrev_b32_e32 v76, v76, v75
	v_cndmask_b32_e32 v103, v77, v103, vcc_lo
	v_and_b32_e32 v76, 7, v76
	v_lshl_add_u32 v103, v103, 23, 0x3b800000
	v_cndmask_b32_e32 v99, v99, v76, vcc_lo
	v_and_b32_e32 v76, 0x80000000, v78
	v_lshlrev_b32_e32 v99, 20, v99
	v_or3_b32 v99, v76, v103, v99
.LBB4_3400:                             ;   in Loop: Header=BB4_2938 Depth=2
	s_or_b32 exec_lo, exec_lo, s29
	s_waitcnt vmcnt(1)
	v_cmp_gt_i16_sdwa s29, v14, v84 src0_sel:BYTE_0 src1_sel:DWORD
	s_mov_b32 s12, 0
	s_and_saveexec_b32 s40, s29
	s_xor_b32 s29, exec_lo, s40
	s_cbranch_execz .LBB4_4098
; %bb.3401:                             ;   in Loop: Header=BB4_2938 Depth=2
	v_cmp_eq_u16_sdwa s41, v14, v85 src0_sel:BYTE_0 src1_sel:DWORD
	s_mov_b32 s12, -1
	s_and_saveexec_b32 s40, s41
; %bb.3402:                             ;   in Loop: Header=BB4_2938 Depth=2
	s_xor_b32 s12, exec_lo, -1
; %bb.3403:                             ;   in Loop: Header=BB4_2938 Depth=2
	s_or_b32 exec_lo, exec_lo, s40
	s_and_b32 s12, s12, exec_lo
	s_or_saveexec_b32 s29, s29
	v_mov_b32_e32 v103, 0x7f800001
	s_xor_b32 exec_lo, exec_lo, s29
	s_cbranch_execnz .LBB4_4099
.LBB4_3404:                             ;   in Loop: Header=BB4_2938 Depth=2
	s_or_b32 exec_lo, exec_lo, s29
	s_and_saveexec_b32 s29, s12
	s_cbranch_execz .LBB4_3406
.LBB4_3405:                             ;   in Loop: Header=BB4_2938 Depth=2
	v_and_b32_e32 v103, 7, v14
	v_bfe_u32 v78, v14, 3, 4
	v_lshlrev_b32_e32 v79, 24, v14
	v_ffbh_u32_e32 v76, v103
	v_cmp_eq_u32_e32 vcc_lo, 0, v78
	v_min_u32_e32 v76, 32, v76
	v_subrev_nc_u32_e32 v77, 28, v76
	v_sub_nc_u32_e32 v76, 29, v76
	v_lshlrev_b32_e32 v77, v77, v14
	v_cndmask_b32_e32 v76, v78, v76, vcc_lo
	v_and_b32_e32 v77, 7, v77
	v_lshl_add_u32 v76, v76, 23, 0x3b800000
	v_cndmask_b32_e32 v103, v103, v77, vcc_lo
	v_and_b32_e32 v77, 0x80000000, v79
	v_lshlrev_b32_e32 v103, 20, v103
	v_or3_b32 v103, v77, v76, v103
.LBB4_3406:                             ;   in Loop: Header=BB4_2938 Depth=2
	s_or_b32 exec_lo, exec_lo, s29
	v_add_f32_e32 v103, v99, v103
	v_and_b32_e32 v99, 0x7f800000, v103
	v_cmp_ne_u32_e32 vcc_lo, 0x7f800000, v99
	v_mov_b32_e32 v99, 0x80
	s_and_saveexec_b32 s29, vcc_lo
	s_cbranch_execz .LBB4_3414
; %bb.3407:                             ;   in Loop: Header=BB4_2938 Depth=2
	v_mov_b32_e32 v99, 0
	s_mov_b32 s40, exec_lo
	v_cmpx_ne_u32_e32 0, v103
	s_cbranch_execz .LBB4_3413
; %bb.3408:                             ;   in Loop: Header=BB4_2938 Depth=2
	v_bfe_u32 v99, v103, 23, 8
	v_and_b32_e32 v76, 0x7fffff, v103
	v_sub_nc_u32_e32 v77, 0x78, v99
	v_cmp_gt_u32_e32 vcc_lo, 0x79, v99
	v_or_b32_e32 v78, 0x800000, v76
	v_cndmask_b32_e32 v77, 0, v77, vcc_lo
	v_cmp_eq_u32_e32 vcc_lo, 0, v99
	v_add_nc_u32_e32 v99, 0xffffff89, v99
	v_cndmask_b32_e64 v77, v77, 0x77, vcc_lo
	v_cndmask_b32_e32 v76, v78, v76, vcc_lo
	v_cndmask_b32_e64 v99, v99, 0xffffff8a, vcc_lo
	v_lshl_add_u32 v78, 0x100000, v77, -1
	v_lshrrev_b32_e32 v79, v77, v76
	v_lshlrev_b32_e64 v89, v77, 0x80000
	v_add_nc_u32_e32 v77, v77, v99
	v_and_b32_e32 v76, v78, v76
	v_bfe_u32 v88, v79, 20, 1
	v_cmp_eq_u32_e64 s12, v76, v89
	v_add_nc_u32_e32 v78, -1, v88
	v_cndmask_b32_e64 v76, 0, v78, s12
	v_lshrrev_b32_e32 v78, 23, v79
	s_mov_b32 s12, exec_lo
	v_add_nc_u32_e32 v76, v76, v79
	v_xor_b32_e32 v78, 1, v78
	v_and_b32_e32 v99, 0xfffff, v76
	v_add_nc_u32_e32 v76, v99, v79
                                        ; implicit-def: $vgpr99
	v_cmpx_ne_u32_e64 v77, v78
	s_xor_b32 s12, exec_lo, s12
; %bb.3409:                             ;   in Loop: Header=BB4_2938 Depth=2
	v_cmp_lt_u32_e32 vcc_lo, 0xffffff, v76
	v_sub_nc_u32_e32 v99, v77, v78
	v_cndmask_b32_e64 v77, 0, 1, vcc_lo
	v_add_co_ci_u32_e64 v99, null, 0, v99, vcc_lo
	v_lshrrev_b32_e32 v76, v77, v76
; %bb.3410:                             ;   in Loop: Header=BB4_2938 Depth=2
	s_andn2_saveexec_b32 s12, s12
; %bb.3411:                             ;   in Loop: Header=BB4_2938 Depth=2
	v_bfe_u32 v99, v76, 23, 1
; %bb.3412:                             ;   in Loop: Header=BB4_2938 Depth=2
	s_or_b32 exec_lo, exec_lo, s12
	v_lshrrev_b32_e32 v76, 20, v76
	v_min_i32_e32 v77, 15, v99
	v_cmp_gt_i32_e32 vcc_lo, 16, v99
	v_and_b32_sdwa v103, v103, v85 dst_sel:DWORD dst_unused:UNUSED_PAD src0_sel:BYTE_3 src1_sel:DWORD
	v_lshlrev_b32_e32 v77, 3, v77
	v_cndmask_b32_e32 v76, 7, v76, vcc_lo
	v_and_b32_e32 v77, 0xf8, v77
	v_and_b32_e32 v78, 7, v76
	v_or_b32_e32 v99, v99, v76
	v_or3_b32 v103, v77, v103, v78
	v_cmp_ne_u32_e32 vcc_lo, 0, v99
	v_cndmask_b32_e32 v99, 0, v103, vcc_lo
.LBB4_3413:                             ;   in Loop: Header=BB4_2938 Depth=2
	s_or_b32 exec_lo, exec_lo, s40
.LBB4_3414:                             ;   in Loop: Header=BB4_2938 Depth=2
	s_or_b32 exec_lo, exec_lo, s29
	v_cmp_gt_i16_sdwa s29, v75, v84 src0_sel:BYTE_1 src1_sel:DWORD
	s_mov_b32 s12, 0
	s_and_saveexec_b32 s40, s29
	s_xor_b32 s29, exec_lo, s40
	s_cbranch_execz .LBB4_4100
; %bb.3415:                             ;   in Loop: Header=BB4_2938 Depth=2
	v_cmp_eq_u16_sdwa s41, v75, v85 src0_sel:BYTE_1 src1_sel:DWORD
	s_mov_b32 s12, -1
	s_and_saveexec_b32 s40, s41
; %bb.3416:                             ;   in Loop: Header=BB4_2938 Depth=2
	s_xor_b32 s12, exec_lo, -1
; %bb.3417:                             ;   in Loop: Header=BB4_2938 Depth=2
	s_or_b32 exec_lo, exec_lo, s40
	s_and_b32 s12, s12, exec_lo
	s_or_saveexec_b32 s29, s29
	v_mov_b32_e32 v103, 0x7f800001
	s_xor_b32 exec_lo, exec_lo, s29
	s_cbranch_execnz .LBB4_4101
.LBB4_3418:                             ;   in Loop: Header=BB4_2938 Depth=2
	s_or_b32 exec_lo, exec_lo, s29
	s_and_saveexec_b32 s29, s12
	s_cbranch_execz .LBB4_3420
.LBB4_3419:                             ;   in Loop: Header=BB4_2938 Depth=2
	v_and_b32_sdwa v103, v86, v75 dst_sel:DWORD dst_unused:UNUSED_PAD src0_sel:DWORD src1_sel:BYTE_1
	v_and_b32_e32 v76, 7, v103
	v_bfe_u32 v79, v103, 3, 4
	v_ffbh_u32_e32 v77, v76
	v_cmp_eq_u32_e32 vcc_lo, 0, v79
	v_min_u32_e32 v77, 32, v77
	v_subrev_nc_u32_e32 v78, 28, v77
	v_sub_nc_u32_e32 v77, 29, v77
	v_lshlrev_b32_e32 v103, v78, v103
	v_lshlrev_b32_sdwa v78, v87, v75 dst_sel:DWORD dst_unused:UNUSED_PAD src0_sel:DWORD src1_sel:BYTE_1
	v_cndmask_b32_e32 v77, v79, v77, vcc_lo
	v_and_b32_e32 v103, 7, v103
	v_lshl_add_u32 v77, v77, 23, 0x3b800000
	v_cndmask_b32_e32 v103, v76, v103, vcc_lo
	v_and_b32_e32 v76, 0x80000000, v78
	v_lshlrev_b32_e32 v103, 20, v103
	v_or3_b32 v103, v76, v77, v103
.LBB4_3420:                             ;   in Loop: Header=BB4_2938 Depth=2
	s_or_b32 exec_lo, exec_lo, s29
	v_cmp_gt_i16_sdwa s29, v14, v84 src0_sel:BYTE_1 src1_sel:DWORD
	s_mov_b32 s12, 0
	s_and_saveexec_b32 s40, s29
	s_xor_b32 s29, exec_lo, s40
	s_cbranch_execz .LBB4_4102
; %bb.3421:                             ;   in Loop: Header=BB4_2938 Depth=2
	v_cmp_eq_u16_sdwa s41, v14, v85 src0_sel:BYTE_1 src1_sel:DWORD
	s_mov_b32 s12, -1
	s_and_saveexec_b32 s40, s41
; %bb.3422:                             ;   in Loop: Header=BB4_2938 Depth=2
	s_xor_b32 s12, exec_lo, -1
; %bb.3423:                             ;   in Loop: Header=BB4_2938 Depth=2
	s_or_b32 exec_lo, exec_lo, s40
	s_and_b32 s12, s12, exec_lo
	s_or_saveexec_b32 s29, s29
	v_mov_b32_e32 v76, 0x7f800001
	s_xor_b32 exec_lo, exec_lo, s29
	s_cbranch_execnz .LBB4_4103
.LBB4_3424:                             ;   in Loop: Header=BB4_2938 Depth=2
	s_or_b32 exec_lo, exec_lo, s29
	s_and_saveexec_b32 s29, s12
	s_cbranch_execz .LBB4_3426
.LBB4_3425:                             ;   in Loop: Header=BB4_2938 Depth=2
	v_and_b32_sdwa v76, v86, v14 dst_sel:DWORD dst_unused:UNUSED_PAD src0_sel:DWORD src1_sel:BYTE_1
	v_and_b32_e32 v77, 7, v76
	v_bfe_u32 v88, v76, 3, 4
	v_ffbh_u32_e32 v78, v77
	v_cmp_eq_u32_e32 vcc_lo, 0, v88
	v_min_u32_e32 v78, 32, v78
	v_subrev_nc_u32_e32 v79, 28, v78
	v_sub_nc_u32_e32 v78, 29, v78
	v_lshlrev_b32_e32 v76, v79, v76
	v_lshlrev_b32_sdwa v79, v87, v14 dst_sel:DWORD dst_unused:UNUSED_PAD src0_sel:DWORD src1_sel:BYTE_1
	v_cndmask_b32_e32 v78, v88, v78, vcc_lo
	v_and_b32_e32 v76, 7, v76
	v_lshl_add_u32 v78, v78, 23, 0x3b800000
	v_cndmask_b32_e32 v76, v77, v76, vcc_lo
	v_and_b32_e32 v77, 0x80000000, v79
	v_lshlrev_b32_e32 v76, 20, v76
	v_or3_b32 v76, v77, v78, v76
.LBB4_3426:                             ;   in Loop: Header=BB4_2938 Depth=2
	s_or_b32 exec_lo, exec_lo, s29
	v_add_f32_e32 v76, v103, v76
	v_and_b32_e32 v103, 0x7f800000, v76
	v_cmp_ne_u32_e32 vcc_lo, 0x7f800000, v103
	v_mov_b32_e32 v103, 0x8000
	s_and_saveexec_b32 s29, vcc_lo
	s_cbranch_execz .LBB4_3434
; %bb.3427:                             ;   in Loop: Header=BB4_2938 Depth=2
	v_mov_b32_e32 v103, 0
	s_mov_b32 s40, exec_lo
	v_cmpx_ne_u32_e32 0, v76
	s_cbranch_execz .LBB4_3433
; %bb.3428:                             ;   in Loop: Header=BB4_2938 Depth=2
	v_bfe_u32 v103, v76, 23, 8
	v_and_b32_e32 v77, 0x7fffff, v76
	v_sub_nc_u32_e32 v78, 0x78, v103
	v_cmp_gt_u32_e32 vcc_lo, 0x79, v103
	v_or_b32_e32 v79, 0x800000, v77
	v_cndmask_b32_e32 v78, 0, v78, vcc_lo
	v_cmp_eq_u32_e32 vcc_lo, 0, v103
	v_add_nc_u32_e32 v103, 0xffffff89, v103
	v_cndmask_b32_e64 v78, v78, 0x77, vcc_lo
	v_cndmask_b32_e32 v77, v79, v77, vcc_lo
	v_cndmask_b32_e64 v103, v103, 0xffffff8a, vcc_lo
	v_lshl_add_u32 v79, 0x100000, v78, -1
	v_lshrrev_b32_e32 v88, v78, v77
	v_lshlrev_b32_e64 v90, v78, 0x80000
	v_add_nc_u32_e32 v78, v78, v103
	v_and_b32_e32 v77, v79, v77
	v_bfe_u32 v89, v88, 20, 1
	v_cmp_eq_u32_e64 s12, v77, v90
	v_add_nc_u32_e32 v79, -1, v89
	v_cndmask_b32_e64 v77, 0, v79, s12
	v_lshrrev_b32_e32 v79, 23, v88
	s_mov_b32 s12, exec_lo
	v_add_nc_u32_e32 v77, v77, v88
	v_xor_b32_e32 v79, 1, v79
	v_and_b32_e32 v103, 0xfffff, v77
	v_add_nc_u32_e32 v77, v103, v88
                                        ; implicit-def: $vgpr103
	v_cmpx_ne_u32_e64 v78, v79
	s_xor_b32 s12, exec_lo, s12
; %bb.3429:                             ;   in Loop: Header=BB4_2938 Depth=2
	v_cmp_lt_u32_e32 vcc_lo, 0xffffff, v77
	v_sub_nc_u32_e32 v103, v78, v79
	v_cndmask_b32_e64 v78, 0, 1, vcc_lo
	v_add_co_ci_u32_e64 v103, null, 0, v103, vcc_lo
	v_lshrrev_b32_e32 v77, v78, v77
; %bb.3430:                             ;   in Loop: Header=BB4_2938 Depth=2
	s_andn2_saveexec_b32 s12, s12
; %bb.3431:                             ;   in Loop: Header=BB4_2938 Depth=2
	v_bfe_u32 v103, v77, 23, 1
; %bb.3432:                             ;   in Loop: Header=BB4_2938 Depth=2
	s_or_b32 exec_lo, exec_lo, s12
	v_lshrrev_b32_e32 v77, 20, v77
	v_min_i32_e32 v78, 15, v103
	v_cmp_gt_i32_e32 vcc_lo, 16, v103
	v_and_b32_sdwa v76, v76, v85 dst_sel:DWORD dst_unused:UNUSED_PAD src0_sel:BYTE_3 src1_sel:DWORD
	v_lshlrev_b32_e32 v78, 3, v78
	v_cndmask_b32_e32 v77, 7, v77, vcc_lo
	v_and_b32_e32 v78, 0xf8, v78
	v_and_b32_e32 v79, 7, v77
	v_or_b32_e32 v103, v103, v77
	v_or3_b32 v76, v76, v78, v79
	v_cmp_ne_u32_e32 vcc_lo, 0, v103
	v_lshlrev_b32_e32 v76, 8, v76
	v_cndmask_b32_e32 v103, 0, v76, vcc_lo
.LBB4_3433:                             ;   in Loop: Header=BB4_2938 Depth=2
	s_or_b32 exec_lo, exec_lo, s40
.LBB4_3434:                             ;   in Loop: Header=BB4_2938 Depth=2
	s_or_b32 exec_lo, exec_lo, s29
	v_or_b32_e32 v74, v74, v115
	s_mov_b32 s12, 0
	v_cmp_gt_i16_sdwa s29, v74, v84 src0_sel:BYTE_0 src1_sel:DWORD
	s_and_saveexec_b32 s40, s29
	s_xor_b32 s29, exec_lo, s40
	s_cbranch_execz .LBB4_4104
; %bb.3435:                             ;   in Loop: Header=BB4_2938 Depth=2
	v_cmp_eq_u16_sdwa s41, v74, v85 src0_sel:BYTE_0 src1_sel:DWORD
	s_mov_b32 s12, -1
	s_and_saveexec_b32 s40, s41
; %bb.3436:                             ;   in Loop: Header=BB4_2938 Depth=2
	s_xor_b32 s12, exec_lo, -1
; %bb.3437:                             ;   in Loop: Header=BB4_2938 Depth=2
	s_or_b32 exec_lo, exec_lo, s40
	s_and_b32 s12, s12, exec_lo
	s_or_saveexec_b32 s29, s29
	v_mov_b32_e32 v115, 0x7f800001
	s_xor_b32 exec_lo, exec_lo, s29
	s_cbranch_execnz .LBB4_4105
.LBB4_3438:                             ;   in Loop: Header=BB4_2938 Depth=2
	s_or_b32 exec_lo, exec_lo, s29
	v_lshl_or_b32 v74, v74, 16, v75
	s_and_saveexec_b32 s29, s12
	s_cbranch_execz .LBB4_3440
.LBB4_3439:                             ;   in Loop: Header=BB4_2938 Depth=2
	v_bfe_u32 v115, v74, 16, 3
	v_bfe_u32 v77, v74, 19, 4
	v_lshlrev_b32_e32 v78, 8, v74
	v_ffbh_u32_e32 v75, v115
	v_cmp_eq_u32_e32 vcc_lo, 0, v77
	v_min_u32_e32 v75, 32, v75
	v_subrev_nc_u32_e32 v76, 28, v75
	v_sub_nc_u32_e32 v75, 29, v75
	v_lshlrev_b32_sdwa v76, v76, v74 dst_sel:DWORD dst_unused:UNUSED_PAD src0_sel:DWORD src1_sel:WORD_1
	v_cndmask_b32_e32 v75, v77, v75, vcc_lo
	v_and_b32_e32 v76, 7, v76
	v_lshl_add_u32 v75, v75, 23, 0x3b800000
	v_cndmask_b32_e32 v115, v115, v76, vcc_lo
	v_and_b32_e32 v76, 0x80000000, v78
	v_lshlrev_b32_e32 v115, 20, v115
	v_or3_b32 v115, v76, v75, v115
.LBB4_3440:                             ;   in Loop: Header=BB4_2938 Depth=2
	s_or_b32 exec_lo, exec_lo, s29
	v_and_b32_sdwa v76, v14, v96 dst_sel:DWORD dst_unused:UNUSED_PAD src0_sel:WORD_1 src1_sel:DWORD
	s_mov_b32 s12, 0
	s_mov_b32 s29, exec_lo
	v_cmpx_lt_i16_e32 0x7f, v76
	s_xor_b32 s29, exec_lo, s29
	s_cbranch_execz .LBB4_4106
; %bb.3441:                             ;   in Loop: Header=BB4_2938 Depth=2
	s_mov_b32 s12, -1
	s_mov_b32 s40, exec_lo
	v_cmpx_eq_u16_e32 0x80, v76
; %bb.3442:                             ;   in Loop: Header=BB4_2938 Depth=2
	s_xor_b32 s12, exec_lo, -1
; %bb.3443:                             ;   in Loop: Header=BB4_2938 Depth=2
	s_or_b32 exec_lo, exec_lo, s40
	s_and_b32 s12, s12, exec_lo
                                        ; implicit-def: $vgpr76
	s_or_saveexec_b32 s29, s29
	v_mov_b32_e32 v75, 0x7f800001
	s_xor_b32 exec_lo, exec_lo, s29
	s_cbranch_execnz .LBB4_4107
.LBB4_3444:                             ;   in Loop: Header=BB4_2938 Depth=2
	s_or_b32 exec_lo, exec_lo, s29
	s_and_saveexec_b32 s29, s12
	s_cbranch_execz .LBB4_3446
.LBB4_3445:                             ;   in Loop: Header=BB4_2938 Depth=2
	v_bfe_u32 v75, v14, 16, 3
	v_bfe_u32 v78, v14, 19, 4
	v_lshlrev_b32_e32 v79, 8, v14
	v_ffbh_u32_e32 v76, v75
	v_cmp_eq_u32_e32 vcc_lo, 0, v78
	v_min_u32_e32 v76, 32, v76
	v_subrev_nc_u32_e32 v77, 28, v76
	v_sub_nc_u32_e32 v76, 29, v76
	v_lshlrev_b32_sdwa v77, v77, v14 dst_sel:DWORD dst_unused:UNUSED_PAD src0_sel:DWORD src1_sel:WORD_1
	v_cndmask_b32_e32 v76, v78, v76, vcc_lo
	v_and_b32_e32 v77, 7, v77
	v_lshl_add_u32 v76, v76, 23, 0x3b800000
	v_cndmask_b32_e32 v75, v75, v77, vcc_lo
	v_and_b32_e32 v77, 0x80000000, v79
	v_lshlrev_b32_e32 v75, 20, v75
	v_or3_b32 v75, v77, v76, v75
.LBB4_3446:                             ;   in Loop: Header=BB4_2938 Depth=2
	s_or_b32 exec_lo, exec_lo, s29
	v_add_f32_e32 v75, v115, v75
	v_and_b32_e32 v115, 0x7f800000, v75
	v_cmp_ne_u32_e32 vcc_lo, 0x7f800000, v115
	v_mov_b32_e32 v115, 0x80
	s_and_saveexec_b32 s29, vcc_lo
	s_cbranch_execz .LBB4_3454
; %bb.3447:                             ;   in Loop: Header=BB4_2938 Depth=2
	v_mov_b32_e32 v115, 0
	s_mov_b32 s40, exec_lo
	v_cmpx_ne_u32_e32 0, v75
	s_cbranch_execz .LBB4_3453
; %bb.3448:                             ;   in Loop: Header=BB4_2938 Depth=2
	v_bfe_u32 v115, v75, 23, 8
	v_and_b32_e32 v76, 0x7fffff, v75
	v_sub_nc_u32_e32 v77, 0x78, v115
	v_cmp_gt_u32_e32 vcc_lo, 0x79, v115
	v_or_b32_e32 v78, 0x800000, v76
	v_cndmask_b32_e32 v77, 0, v77, vcc_lo
	v_cmp_eq_u32_e32 vcc_lo, 0, v115
	v_add_nc_u32_e32 v115, 0xffffff89, v115
	v_cndmask_b32_e64 v77, v77, 0x77, vcc_lo
	v_cndmask_b32_e32 v76, v78, v76, vcc_lo
	v_cndmask_b32_e64 v115, v115, 0xffffff8a, vcc_lo
	v_lshl_add_u32 v78, 0x100000, v77, -1
	v_lshrrev_b32_e32 v79, v77, v76
	v_lshlrev_b32_e64 v89, v77, 0x80000
	v_add_nc_u32_e32 v77, v77, v115
	v_and_b32_e32 v76, v78, v76
	v_bfe_u32 v88, v79, 20, 1
	v_cmp_eq_u32_e64 s12, v76, v89
	v_add_nc_u32_e32 v78, -1, v88
	v_cndmask_b32_e64 v76, 0, v78, s12
	v_lshrrev_b32_e32 v78, 23, v79
	s_mov_b32 s12, exec_lo
	v_add_nc_u32_e32 v76, v76, v79
	v_xor_b32_e32 v78, 1, v78
	v_and_b32_e32 v115, 0xfffff, v76
	v_add_nc_u32_e32 v76, v115, v79
                                        ; implicit-def: $vgpr115
	v_cmpx_ne_u32_e64 v77, v78
	s_xor_b32 s12, exec_lo, s12
; %bb.3449:                             ;   in Loop: Header=BB4_2938 Depth=2
	v_cmp_lt_u32_e32 vcc_lo, 0xffffff, v76
	v_sub_nc_u32_e32 v115, v77, v78
	v_cndmask_b32_e64 v77, 0, 1, vcc_lo
	v_add_co_ci_u32_e64 v115, null, 0, v115, vcc_lo
	v_lshrrev_b32_e32 v76, v77, v76
; %bb.3450:                             ;   in Loop: Header=BB4_2938 Depth=2
	s_andn2_saveexec_b32 s12, s12
; %bb.3451:                             ;   in Loop: Header=BB4_2938 Depth=2
	v_bfe_u32 v115, v76, 23, 1
; %bb.3452:                             ;   in Loop: Header=BB4_2938 Depth=2
	s_or_b32 exec_lo, exec_lo, s12
	v_lshrrev_b32_e32 v76, 20, v76
	v_min_i32_e32 v77, 15, v115
	v_cmp_gt_i32_e32 vcc_lo, 16, v115
	v_and_b32_sdwa v75, v75, v85 dst_sel:DWORD dst_unused:UNUSED_PAD src0_sel:BYTE_3 src1_sel:DWORD
	v_lshlrev_b32_e32 v77, 3, v77
	v_cndmask_b32_e32 v76, 7, v76, vcc_lo
	v_and_b32_e32 v77, 0xf8, v77
	v_and_b32_e32 v78, 7, v76
	v_or_b32_e32 v115, v115, v76
	v_or3_b32 v75, v77, v75, v78
	v_cmp_ne_u32_e32 vcc_lo, 0, v115
	v_cndmask_b32_e32 v115, 0, v75, vcc_lo
.LBB4_3453:                             ;   in Loop: Header=BB4_2938 Depth=2
	s_or_b32 exec_lo, exec_lo, s40
.LBB4_3454:                             ;   in Loop: Header=BB4_2938 Depth=2
	s_or_b32 exec_lo, exec_lo, s29
	v_cmp_gt_i16_sdwa s29, v74, v84 src0_sel:BYTE_3 src1_sel:DWORD
	s_mov_b32 s12, 0
	s_and_saveexec_b32 s40, s29
	s_xor_b32 s29, exec_lo, s40
	s_cbranch_execz .LBB4_4108
; %bb.3455:                             ;   in Loop: Header=BB4_2938 Depth=2
	v_cmp_eq_u16_sdwa s41, v74, v85 src0_sel:BYTE_3 src1_sel:DWORD
	s_mov_b32 s12, -1
	s_and_saveexec_b32 s40, s41
; %bb.3456:                             ;   in Loop: Header=BB4_2938 Depth=2
	s_xor_b32 s12, exec_lo, -1
; %bb.3457:                             ;   in Loop: Header=BB4_2938 Depth=2
	s_or_b32 exec_lo, exec_lo, s40
	s_and_b32 s12, s12, exec_lo
	s_or_saveexec_b32 s29, s29
	v_mov_b32_e32 v75, 0x7f800001
	s_xor_b32 exec_lo, exec_lo, s29
	s_cbranch_execnz .LBB4_4109
.LBB4_3458:                             ;   in Loop: Header=BB4_2938 Depth=2
	s_or_b32 exec_lo, exec_lo, s29
	s_and_saveexec_b32 s29, s12
	s_cbranch_execz .LBB4_3460
.LBB4_3459:                             ;   in Loop: Header=BB4_2938 Depth=2
	v_bfe_u32 v75, v74, 24, 3
	v_bfe_u32 v78, v74, 27, 4
	v_ffbh_u32_e32 v76, v75
	v_cmp_eq_u32_e32 vcc_lo, 0, v78
	v_min_u32_e32 v76, 32, v76
	v_subrev_nc_u32_e32 v77, 28, v76
	v_sub_nc_u32_e32 v76, 29, v76
	v_lshlrev_b32_sdwa v77, v77, v74 dst_sel:DWORD dst_unused:UNUSED_PAD src0_sel:DWORD src1_sel:BYTE_3
	v_cndmask_b32_e32 v76, v78, v76, vcc_lo
	v_and_b32_e32 v74, 0x80000000, v74
	v_and_b32_e32 v77, 7, v77
	v_lshl_add_u32 v76, v76, 23, 0x3b800000
	v_cndmask_b32_e32 v75, v75, v77, vcc_lo
	v_lshlrev_b32_e32 v75, 20, v75
	v_or3_b32 v75, v74, v76, v75
.LBB4_3460:                             ;   in Loop: Header=BB4_2938 Depth=2
	s_or_b32 exec_lo, exec_lo, s29
	v_cmp_gt_i16_sdwa s29, v14, v84 src0_sel:BYTE_3 src1_sel:DWORD
	s_mov_b32 s12, 0
	s_and_saveexec_b32 s40, s29
	s_xor_b32 s29, exec_lo, s40
	s_cbranch_execz .LBB4_4110
; %bb.3461:                             ;   in Loop: Header=BB4_2938 Depth=2
	v_cmp_eq_u16_sdwa s41, v14, v85 src0_sel:BYTE_3 src1_sel:DWORD
	s_mov_b32 s12, -1
	s_and_saveexec_b32 s40, s41
; %bb.3462:                             ;   in Loop: Header=BB4_2938 Depth=2
	s_xor_b32 s12, exec_lo, -1
; %bb.3463:                             ;   in Loop: Header=BB4_2938 Depth=2
	s_or_b32 exec_lo, exec_lo, s40
	s_and_b32 s12, s12, exec_lo
	s_or_saveexec_b32 s29, s29
	v_mov_b32_e32 v74, 0x7f800001
	s_xor_b32 exec_lo, exec_lo, s29
	s_cbranch_execnz .LBB4_4111
.LBB4_3464:                             ;   in Loop: Header=BB4_2938 Depth=2
	s_or_b32 exec_lo, exec_lo, s29
	s_and_saveexec_b32 s29, s12
	s_cbranch_execz .LBB4_3466
.LBB4_3465:                             ;   in Loop: Header=BB4_2938 Depth=2
	v_bfe_u32 v74, v14, 24, 3
	v_bfe_u32 v78, v14, 27, 4
	v_ffbh_u32_e32 v76, v74
	v_cmp_eq_u32_e32 vcc_lo, 0, v78
	v_min_u32_e32 v76, 32, v76
	v_subrev_nc_u32_e32 v77, 28, v76
	v_sub_nc_u32_e32 v76, 29, v76
	v_lshlrev_b32_sdwa v77, v77, v14 dst_sel:DWORD dst_unused:UNUSED_PAD src0_sel:DWORD src1_sel:BYTE_3
	v_cndmask_b32_e32 v76, v78, v76, vcc_lo
	v_and_b32_e32 v14, 0x80000000, v14
	v_and_b32_e32 v77, 7, v77
	v_lshl_add_u32 v76, v76, 23, 0x3b800000
	v_cndmask_b32_e32 v74, v74, v77, vcc_lo
	v_lshlrev_b32_e32 v74, 20, v74
	v_or3_b32 v74, v14, v76, v74
.LBB4_3466:                             ;   in Loop: Header=BB4_2938 Depth=2
	s_or_b32 exec_lo, exec_lo, s29
	v_add_f32_e32 v74, v75, v74
	v_and_b32_e32 v14, 0x7f800000, v74
	v_cmp_ne_u32_e32 vcc_lo, 0x7f800000, v14
	v_mov_b32_e32 v14, 0x8000
	s_and_saveexec_b32 s29, vcc_lo
	s_cbranch_execz .LBB4_3474
; %bb.3467:                             ;   in Loop: Header=BB4_2938 Depth=2
	v_mov_b32_e32 v14, 0
	s_mov_b32 s40, exec_lo
	v_cmpx_ne_u32_e32 0, v74
	s_cbranch_execz .LBB4_3473
; %bb.3468:                             ;   in Loop: Header=BB4_2938 Depth=2
	v_bfe_u32 v14, v74, 23, 8
	v_and_b32_e32 v75, 0x7fffff, v74
	v_sub_nc_u32_e32 v76, 0x78, v14
	v_cmp_gt_u32_e32 vcc_lo, 0x79, v14
	v_or_b32_e32 v77, 0x800000, v75
	v_cndmask_b32_e32 v76, 0, v76, vcc_lo
	v_cmp_eq_u32_e32 vcc_lo, 0, v14
	v_add_nc_u32_e32 v14, 0xffffff89, v14
	v_cndmask_b32_e64 v76, v76, 0x77, vcc_lo
	v_cndmask_b32_e32 v75, v77, v75, vcc_lo
	v_cndmask_b32_e64 v14, v14, 0xffffff8a, vcc_lo
	v_lshl_add_u32 v77, 0x100000, v76, -1
	v_lshrrev_b32_e32 v78, v76, v75
	v_lshlrev_b32_e64 v88, v76, 0x80000
	v_add_nc_u32_e32 v76, v76, v14
	v_and_b32_e32 v75, v77, v75
	v_bfe_u32 v79, v78, 20, 1
	v_cmp_eq_u32_e64 s12, v75, v88
	v_add_nc_u32_e32 v77, -1, v79
	v_cndmask_b32_e64 v75, 0, v77, s12
	v_lshrrev_b32_e32 v77, 23, v78
	s_mov_b32 s12, exec_lo
	v_add_nc_u32_e32 v75, v75, v78
	v_xor_b32_e32 v77, 1, v77
	v_and_b32_e32 v14, 0xfffff, v75
	v_add_nc_u32_e32 v75, v14, v78
                                        ; implicit-def: $vgpr14
	v_cmpx_ne_u32_e64 v76, v77
	s_xor_b32 s12, exec_lo, s12
; %bb.3469:                             ;   in Loop: Header=BB4_2938 Depth=2
	v_cmp_lt_u32_e32 vcc_lo, 0xffffff, v75
	v_sub_nc_u32_e32 v14, v76, v77
	v_cndmask_b32_e64 v76, 0, 1, vcc_lo
	v_add_co_ci_u32_e64 v14, null, 0, v14, vcc_lo
	v_lshrrev_b32_e32 v75, v76, v75
; %bb.3470:                             ;   in Loop: Header=BB4_2938 Depth=2
	s_andn2_saveexec_b32 s12, s12
; %bb.3471:                             ;   in Loop: Header=BB4_2938 Depth=2
	v_bfe_u32 v14, v75, 23, 1
; %bb.3472:                             ;   in Loop: Header=BB4_2938 Depth=2
	s_or_b32 exec_lo, exec_lo, s12
	v_lshrrev_b32_e32 v75, 20, v75
	v_min_i32_e32 v76, 15, v14
	v_cmp_gt_i32_e32 vcc_lo, 16, v14
	v_and_b32_sdwa v74, v74, v85 dst_sel:DWORD dst_unused:UNUSED_PAD src0_sel:BYTE_3 src1_sel:DWORD
	v_lshlrev_b32_e32 v76, 3, v76
	v_cndmask_b32_e32 v75, 7, v75, vcc_lo
	v_and_b32_e32 v76, 0xf8, v76
	v_and_b32_e32 v77, 7, v75
	v_or_b32_e32 v14, v14, v75
	v_or3_b32 v74, v74, v76, v77
	v_cmp_ne_u32_e32 vcc_lo, 0, v14
	v_lshlrev_b32_e32 v74, 8, v74
	v_cndmask_b32_e32 v14, 0, v74, vcc_lo
.LBB4_3473:                             ;   in Loop: Header=BB4_2938 Depth=2
	s_or_b32 exec_lo, exec_lo, s40
.LBB4_3474:                             ;   in Loop: Header=BB4_2938 Depth=2
	s_or_b32 exec_lo, exec_lo, s29
	v_or_b32_e32 v74, v47, v43
	s_mov_b32 s12, 0
	v_cmp_gt_i16_sdwa s29, v74, v84 src0_sel:BYTE_0 src1_sel:DWORD
	s_and_saveexec_b32 s40, s29
	s_xor_b32 s29, exec_lo, s40
	s_cbranch_execz .LBB4_4112
; %bb.3475:                             ;   in Loop: Header=BB4_2938 Depth=2
	v_cmp_eq_u16_sdwa s41, v74, v85 src0_sel:BYTE_0 src1_sel:DWORD
	s_mov_b32 s12, -1
	s_and_saveexec_b32 s40, s41
; %bb.3476:                             ;   in Loop: Header=BB4_2938 Depth=2
	s_xor_b32 s12, exec_lo, -1
; %bb.3477:                             ;   in Loop: Header=BB4_2938 Depth=2
	s_or_b32 exec_lo, exec_lo, s40
	s_and_b32 s12, s12, exec_lo
	s_or_saveexec_b32 s29, s29
	v_mov_b32_e32 v43, 0x7f800001
	s_xor_b32 exec_lo, exec_lo, s29
	s_cbranch_execnz .LBB4_4113
.LBB4_3478:                             ;   in Loop: Header=BB4_2938 Depth=2
	s_or_b32 exec_lo, exec_lo, s29
	s_and_saveexec_b32 s29, s12
	s_cbranch_execz .LBB4_3480
.LBB4_3479:                             ;   in Loop: Header=BB4_2938 Depth=2
	v_and_b32_e32 v43, 7, v74
	v_bfe_u32 v76, v74, 3, 4
	v_lshlrev_b32_e32 v77, 24, v74
	v_ffbh_u32_e32 v47, v43
	v_cmp_eq_u32_e32 vcc_lo, 0, v76
	v_min_u32_e32 v47, 32, v47
	v_subrev_nc_u32_e32 v75, 28, v47
	v_sub_nc_u32_e32 v47, 29, v47
	v_lshlrev_b32_e32 v75, v75, v74
	v_cndmask_b32_e32 v47, v76, v47, vcc_lo
	v_and_b32_e32 v75, 7, v75
	v_lshl_add_u32 v47, v47, 23, 0x3b800000
	v_cndmask_b32_e32 v43, v43, v75, vcc_lo
	v_and_b32_e32 v75, 0x80000000, v77
	v_lshlrev_b32_e32 v43, 20, v43
	v_or3_b32 v43, v75, v47, v43
.LBB4_3480:                             ;   in Loop: Header=BB4_2938 Depth=2
	s_or_b32 exec_lo, exec_lo, s29
	v_cmp_gt_i16_sdwa s29, v15, v84 src0_sel:BYTE_0 src1_sel:DWORD
	s_mov_b32 s12, 0
	s_and_saveexec_b32 s40, s29
	s_xor_b32 s29, exec_lo, s40
	s_cbranch_execz .LBB4_4114
; %bb.3481:                             ;   in Loop: Header=BB4_2938 Depth=2
	v_cmp_eq_u16_sdwa s41, v15, v85 src0_sel:BYTE_0 src1_sel:DWORD
	s_mov_b32 s12, -1
	s_and_saveexec_b32 s40, s41
; %bb.3482:                             ;   in Loop: Header=BB4_2938 Depth=2
	s_xor_b32 s12, exec_lo, -1
; %bb.3483:                             ;   in Loop: Header=BB4_2938 Depth=2
	s_or_b32 exec_lo, exec_lo, s40
	s_and_b32 s12, s12, exec_lo
	s_or_saveexec_b32 s29, s29
	v_mov_b32_e32 v47, 0x7f800001
	s_xor_b32 exec_lo, exec_lo, s29
	s_cbranch_execnz .LBB4_4115
.LBB4_3484:                             ;   in Loop: Header=BB4_2938 Depth=2
	s_or_b32 exec_lo, exec_lo, s29
	s_and_saveexec_b32 s29, s12
	s_cbranch_execz .LBB4_3486
.LBB4_3485:                             ;   in Loop: Header=BB4_2938 Depth=2
	v_and_b32_e32 v47, 7, v15
	v_bfe_u32 v77, v15, 3, 4
	v_lshlrev_b32_e32 v78, 24, v15
	v_ffbh_u32_e32 v75, v47
	v_cmp_eq_u32_e32 vcc_lo, 0, v77
	v_min_u32_e32 v75, 32, v75
	v_subrev_nc_u32_e32 v76, 28, v75
	v_sub_nc_u32_e32 v75, 29, v75
	v_lshlrev_b32_e32 v76, v76, v15
	v_cndmask_b32_e32 v75, v77, v75, vcc_lo
	v_and_b32_e32 v76, 7, v76
	v_lshl_add_u32 v75, v75, 23, 0x3b800000
	v_cndmask_b32_e32 v47, v47, v76, vcc_lo
	v_and_b32_e32 v76, 0x80000000, v78
	v_lshlrev_b32_e32 v47, 20, v47
	v_or3_b32 v47, v76, v75, v47
.LBB4_3486:                             ;   in Loop: Header=BB4_2938 Depth=2
	s_or_b32 exec_lo, exec_lo, s29
	v_add_f32_e32 v47, v43, v47
	v_and_b32_e32 v43, 0x7f800000, v47
	v_cmp_ne_u32_e32 vcc_lo, 0x7f800000, v43
	v_mov_b32_e32 v43, 0x80
	s_and_saveexec_b32 s29, vcc_lo
	s_cbranch_execz .LBB4_3494
; %bb.3487:                             ;   in Loop: Header=BB4_2938 Depth=2
	v_mov_b32_e32 v43, 0
	s_mov_b32 s40, exec_lo
	v_cmpx_ne_u32_e32 0, v47
	s_cbranch_execz .LBB4_3493
; %bb.3488:                             ;   in Loop: Header=BB4_2938 Depth=2
	v_bfe_u32 v43, v47, 23, 8
	v_and_b32_e32 v75, 0x7fffff, v47
	v_sub_nc_u32_e32 v76, 0x78, v43
	v_cmp_gt_u32_e32 vcc_lo, 0x79, v43
	v_or_b32_e32 v77, 0x800000, v75
	v_cndmask_b32_e32 v76, 0, v76, vcc_lo
	v_cmp_eq_u32_e32 vcc_lo, 0, v43
	v_add_nc_u32_e32 v43, 0xffffff89, v43
	v_cndmask_b32_e64 v76, v76, 0x77, vcc_lo
	v_cndmask_b32_e32 v75, v77, v75, vcc_lo
	v_cndmask_b32_e64 v43, v43, 0xffffff8a, vcc_lo
	v_lshl_add_u32 v77, 0x100000, v76, -1
	v_lshrrev_b32_e32 v78, v76, v75
	v_lshlrev_b32_e64 v88, v76, 0x80000
	v_add_nc_u32_e32 v76, v76, v43
	v_and_b32_e32 v75, v77, v75
	v_bfe_u32 v79, v78, 20, 1
	v_cmp_eq_u32_e64 s12, v75, v88
	v_add_nc_u32_e32 v77, -1, v79
	v_cndmask_b32_e64 v75, 0, v77, s12
	v_lshrrev_b32_e32 v77, 23, v78
	s_mov_b32 s12, exec_lo
	v_add_nc_u32_e32 v75, v75, v78
	v_xor_b32_e32 v77, 1, v77
	v_and_b32_e32 v43, 0xfffff, v75
	v_add_nc_u32_e32 v75, v43, v78
                                        ; implicit-def: $vgpr43
	v_cmpx_ne_u32_e64 v76, v77
	s_xor_b32 s12, exec_lo, s12
; %bb.3489:                             ;   in Loop: Header=BB4_2938 Depth=2
	v_cmp_lt_u32_e32 vcc_lo, 0xffffff, v75
	v_sub_nc_u32_e32 v43, v76, v77
	v_cndmask_b32_e64 v76, 0, 1, vcc_lo
	v_add_co_ci_u32_e64 v43, null, 0, v43, vcc_lo
	v_lshrrev_b32_e32 v75, v76, v75
; %bb.3490:                             ;   in Loop: Header=BB4_2938 Depth=2
	s_andn2_saveexec_b32 s12, s12
; %bb.3491:                             ;   in Loop: Header=BB4_2938 Depth=2
	v_bfe_u32 v43, v75, 23, 1
; %bb.3492:                             ;   in Loop: Header=BB4_2938 Depth=2
	s_or_b32 exec_lo, exec_lo, s12
	v_lshrrev_b32_e32 v75, 20, v75
	v_min_i32_e32 v76, 15, v43
	v_cmp_gt_i32_e32 vcc_lo, 16, v43
	v_and_b32_sdwa v47, v47, v85 dst_sel:DWORD dst_unused:UNUSED_PAD src0_sel:BYTE_3 src1_sel:DWORD
	v_lshlrev_b32_e32 v76, 3, v76
	v_cndmask_b32_e32 v75, 7, v75, vcc_lo
	v_and_b32_e32 v76, 0xf8, v76
	v_and_b32_e32 v77, 7, v75
	v_or_b32_e32 v43, v43, v75
	v_or3_b32 v47, v76, v47, v77
	v_cmp_ne_u32_e32 vcc_lo, 0, v43
	v_cndmask_b32_e32 v43, 0, v47, vcc_lo
.LBB4_3493:                             ;   in Loop: Header=BB4_2938 Depth=2
	s_or_b32 exec_lo, exec_lo, s40
.LBB4_3494:                             ;   in Loop: Header=BB4_2938 Depth=2
	s_or_b32 exec_lo, exec_lo, s29
	v_cmp_gt_i16_sdwa s29, v74, v84 src0_sel:BYTE_1 src1_sel:DWORD
	s_mov_b32 s12, 0
	s_and_saveexec_b32 s40, s29
	s_xor_b32 s29, exec_lo, s40
	s_cbranch_execz .LBB4_4116
; %bb.3495:                             ;   in Loop: Header=BB4_2938 Depth=2
	v_cmp_eq_u16_sdwa s41, v74, v85 src0_sel:BYTE_1 src1_sel:DWORD
	s_mov_b32 s12, -1
	s_and_saveexec_b32 s40, s41
; %bb.3496:                             ;   in Loop: Header=BB4_2938 Depth=2
	s_xor_b32 s12, exec_lo, -1
; %bb.3497:                             ;   in Loop: Header=BB4_2938 Depth=2
	s_or_b32 exec_lo, exec_lo, s40
	s_and_b32 s12, s12, exec_lo
	s_or_saveexec_b32 s29, s29
	v_mov_b32_e32 v47, 0x7f800001
	s_xor_b32 exec_lo, exec_lo, s29
	s_cbranch_execnz .LBB4_4117
.LBB4_3498:                             ;   in Loop: Header=BB4_2938 Depth=2
	s_or_b32 exec_lo, exec_lo, s29
	s_and_saveexec_b32 s29, s12
	s_cbranch_execz .LBB4_3500
.LBB4_3499:                             ;   in Loop: Header=BB4_2938 Depth=2
	v_and_b32_sdwa v47, v86, v74 dst_sel:DWORD dst_unused:UNUSED_PAD src0_sel:DWORD src1_sel:BYTE_1
	v_and_b32_e32 v75, 7, v47
	v_bfe_u32 v78, v47, 3, 4
	v_ffbh_u32_e32 v76, v75
	v_cmp_eq_u32_e32 vcc_lo, 0, v78
	v_min_u32_e32 v76, 32, v76
	v_subrev_nc_u32_e32 v77, 28, v76
	v_sub_nc_u32_e32 v76, 29, v76
	v_lshlrev_b32_e32 v47, v77, v47
	v_lshlrev_b32_sdwa v77, v87, v74 dst_sel:DWORD dst_unused:UNUSED_PAD src0_sel:DWORD src1_sel:BYTE_1
	v_cndmask_b32_e32 v76, v78, v76, vcc_lo
	v_and_b32_e32 v47, 7, v47
	v_lshl_add_u32 v76, v76, 23, 0x3b800000
	v_cndmask_b32_e32 v47, v75, v47, vcc_lo
	v_and_b32_e32 v75, 0x80000000, v77
	v_lshlrev_b32_e32 v47, 20, v47
	v_or3_b32 v47, v75, v76, v47
.LBB4_3500:                             ;   in Loop: Header=BB4_2938 Depth=2
	s_or_b32 exec_lo, exec_lo, s29
	v_cmp_gt_i16_sdwa s29, v15, v84 src0_sel:BYTE_1 src1_sel:DWORD
	s_mov_b32 s12, 0
	s_and_saveexec_b32 s40, s29
	s_xor_b32 s29, exec_lo, s40
	s_cbranch_execz .LBB4_4118
; %bb.3501:                             ;   in Loop: Header=BB4_2938 Depth=2
	v_cmp_eq_u16_sdwa s41, v15, v85 src0_sel:BYTE_1 src1_sel:DWORD
	s_mov_b32 s12, -1
	s_and_saveexec_b32 s40, s41
; %bb.3502:                             ;   in Loop: Header=BB4_2938 Depth=2
	s_xor_b32 s12, exec_lo, -1
; %bb.3503:                             ;   in Loop: Header=BB4_2938 Depth=2
	s_or_b32 exec_lo, exec_lo, s40
	s_and_b32 s12, s12, exec_lo
	s_or_saveexec_b32 s29, s29
	v_mov_b32_e32 v75, 0x7f800001
	s_xor_b32 exec_lo, exec_lo, s29
	s_cbranch_execnz .LBB4_4119
.LBB4_3504:                             ;   in Loop: Header=BB4_2938 Depth=2
	s_or_b32 exec_lo, exec_lo, s29
	s_and_saveexec_b32 s29, s12
	s_cbranch_execz .LBB4_3506
.LBB4_3505:                             ;   in Loop: Header=BB4_2938 Depth=2
	v_and_b32_sdwa v75, v86, v15 dst_sel:DWORD dst_unused:UNUSED_PAD src0_sel:DWORD src1_sel:BYTE_1
	v_and_b32_e32 v76, 7, v75
	v_bfe_u32 v79, v75, 3, 4
	v_ffbh_u32_e32 v77, v76
	v_cmp_eq_u32_e32 vcc_lo, 0, v79
	v_min_u32_e32 v77, 32, v77
	v_subrev_nc_u32_e32 v78, 28, v77
	v_sub_nc_u32_e32 v77, 29, v77
	v_lshlrev_b32_e32 v75, v78, v75
	v_lshlrev_b32_sdwa v78, v87, v15 dst_sel:DWORD dst_unused:UNUSED_PAD src0_sel:DWORD src1_sel:BYTE_1
	v_cndmask_b32_e32 v77, v79, v77, vcc_lo
	v_and_b32_e32 v75, 7, v75
	v_lshl_add_u32 v77, v77, 23, 0x3b800000
	v_cndmask_b32_e32 v75, v76, v75, vcc_lo
	v_and_b32_e32 v76, 0x80000000, v78
	v_lshlrev_b32_e32 v75, 20, v75
	v_or3_b32 v75, v76, v77, v75
.LBB4_3506:                             ;   in Loop: Header=BB4_2938 Depth=2
	s_or_b32 exec_lo, exec_lo, s29
	v_add_f32_e32 v75, v47, v75
	v_and_b32_e32 v47, 0x7f800000, v75
	v_cmp_ne_u32_e32 vcc_lo, 0x7f800000, v47
	v_mov_b32_e32 v47, 0x8000
	s_and_saveexec_b32 s29, vcc_lo
	s_cbranch_execz .LBB4_3514
; %bb.3507:                             ;   in Loop: Header=BB4_2938 Depth=2
	v_mov_b32_e32 v47, 0
	s_mov_b32 s40, exec_lo
	v_cmpx_ne_u32_e32 0, v75
	s_cbranch_execz .LBB4_3513
; %bb.3508:                             ;   in Loop: Header=BB4_2938 Depth=2
	v_bfe_u32 v47, v75, 23, 8
	v_and_b32_e32 v76, 0x7fffff, v75
	v_sub_nc_u32_e32 v77, 0x78, v47
	v_cmp_gt_u32_e32 vcc_lo, 0x79, v47
	v_or_b32_e32 v78, 0x800000, v76
	v_cndmask_b32_e32 v77, 0, v77, vcc_lo
	v_cmp_eq_u32_e32 vcc_lo, 0, v47
	v_add_nc_u32_e32 v47, 0xffffff89, v47
	v_cndmask_b32_e64 v77, v77, 0x77, vcc_lo
	v_cndmask_b32_e32 v76, v78, v76, vcc_lo
	v_cndmask_b32_e64 v47, v47, 0xffffff8a, vcc_lo
	v_lshl_add_u32 v78, 0x100000, v77, -1
	v_lshrrev_b32_e32 v79, v77, v76
	v_lshlrev_b32_e64 v89, v77, 0x80000
	v_add_nc_u32_e32 v77, v77, v47
	v_and_b32_e32 v76, v78, v76
	v_bfe_u32 v88, v79, 20, 1
	v_cmp_eq_u32_e64 s12, v76, v89
	v_add_nc_u32_e32 v78, -1, v88
	v_cndmask_b32_e64 v76, 0, v78, s12
	v_lshrrev_b32_e32 v78, 23, v79
	s_mov_b32 s12, exec_lo
	v_add_nc_u32_e32 v76, v76, v79
	v_xor_b32_e32 v78, 1, v78
	v_and_b32_e32 v47, 0xfffff, v76
	v_add_nc_u32_e32 v76, v47, v79
                                        ; implicit-def: $vgpr47
	v_cmpx_ne_u32_e64 v77, v78
	s_xor_b32 s12, exec_lo, s12
; %bb.3509:                             ;   in Loop: Header=BB4_2938 Depth=2
	v_cmp_lt_u32_e32 vcc_lo, 0xffffff, v76
	v_sub_nc_u32_e32 v47, v77, v78
	v_cndmask_b32_e64 v77, 0, 1, vcc_lo
	v_add_co_ci_u32_e64 v47, null, 0, v47, vcc_lo
	v_lshrrev_b32_e32 v76, v77, v76
; %bb.3510:                             ;   in Loop: Header=BB4_2938 Depth=2
	s_andn2_saveexec_b32 s12, s12
; %bb.3511:                             ;   in Loop: Header=BB4_2938 Depth=2
	v_bfe_u32 v47, v76, 23, 1
; %bb.3512:                             ;   in Loop: Header=BB4_2938 Depth=2
	s_or_b32 exec_lo, exec_lo, s12
	v_lshrrev_b32_e32 v76, 20, v76
	v_min_i32_e32 v77, 15, v47
	v_cmp_gt_i32_e32 vcc_lo, 16, v47
	v_and_b32_sdwa v75, v75, v85 dst_sel:DWORD dst_unused:UNUSED_PAD src0_sel:BYTE_3 src1_sel:DWORD
	v_lshlrev_b32_e32 v77, 3, v77
	v_cndmask_b32_e32 v76, 7, v76, vcc_lo
	v_and_b32_e32 v77, 0xf8, v77
	v_and_b32_e32 v78, 7, v76
	v_or_b32_e32 v47, v47, v76
	v_or3_b32 v75, v75, v77, v78
	v_cmp_ne_u32_e32 vcc_lo, 0, v47
	v_lshlrev_b32_e32 v75, 8, v75
	v_cndmask_b32_e32 v47, 0, v75, vcc_lo
.LBB4_3513:                             ;   in Loop: Header=BB4_2938 Depth=2
	s_or_b32 exec_lo, exec_lo, s40
.LBB4_3514:                             ;   in Loop: Header=BB4_2938 Depth=2
	s_or_b32 exec_lo, exec_lo, s29
	v_or_b32_e32 v73, v73, v59
	s_mov_b32 s12, 0
	v_cmp_gt_i16_sdwa s29, v73, v84 src0_sel:BYTE_0 src1_sel:DWORD
	s_and_saveexec_b32 s40, s29
	s_xor_b32 s29, exec_lo, s40
	s_cbranch_execz .LBB4_4120
; %bb.3515:                             ;   in Loop: Header=BB4_2938 Depth=2
	v_cmp_eq_u16_sdwa s41, v73, v85 src0_sel:BYTE_0 src1_sel:DWORD
	s_mov_b32 s12, -1
	s_and_saveexec_b32 s40, s41
; %bb.3516:                             ;   in Loop: Header=BB4_2938 Depth=2
	s_xor_b32 s12, exec_lo, -1
; %bb.3517:                             ;   in Loop: Header=BB4_2938 Depth=2
	s_or_b32 exec_lo, exec_lo, s40
	s_and_b32 s12, s12, exec_lo
	s_or_saveexec_b32 s29, s29
	v_mov_b32_e32 v59, 0x7f800001
	s_xor_b32 exec_lo, exec_lo, s29
	s_cbranch_execnz .LBB4_4121
.LBB4_3518:                             ;   in Loop: Header=BB4_2938 Depth=2
	s_or_b32 exec_lo, exec_lo, s29
	v_lshl_or_b32 v73, v73, 16, v74
	s_and_saveexec_b32 s29, s12
	s_cbranch_execz .LBB4_3520
.LBB4_3519:                             ;   in Loop: Header=BB4_2938 Depth=2
	v_bfe_u32 v59, v73, 16, 3
	v_bfe_u32 v76, v73, 19, 4
	v_lshlrev_b32_e32 v77, 8, v73
	v_ffbh_u32_e32 v74, v59
	v_cmp_eq_u32_e32 vcc_lo, 0, v76
	v_min_u32_e32 v74, 32, v74
	v_subrev_nc_u32_e32 v75, 28, v74
	v_sub_nc_u32_e32 v74, 29, v74
	v_lshlrev_b32_sdwa v75, v75, v73 dst_sel:DWORD dst_unused:UNUSED_PAD src0_sel:DWORD src1_sel:WORD_1
	v_cndmask_b32_e32 v74, v76, v74, vcc_lo
	v_and_b32_e32 v75, 7, v75
	v_lshl_add_u32 v74, v74, 23, 0x3b800000
	v_cndmask_b32_e32 v59, v59, v75, vcc_lo
	v_and_b32_e32 v75, 0x80000000, v77
	v_lshlrev_b32_e32 v59, 20, v59
	v_or3_b32 v59, v75, v74, v59
.LBB4_3520:                             ;   in Loop: Header=BB4_2938 Depth=2
	s_or_b32 exec_lo, exec_lo, s29
	v_and_b32_sdwa v75, v15, v96 dst_sel:DWORD dst_unused:UNUSED_PAD src0_sel:WORD_1 src1_sel:DWORD
	s_mov_b32 s12, 0
	s_mov_b32 s29, exec_lo
	v_cmpx_lt_i16_e32 0x7f, v75
	s_xor_b32 s29, exec_lo, s29
	s_cbranch_execz .LBB4_4122
; %bb.3521:                             ;   in Loop: Header=BB4_2938 Depth=2
	s_mov_b32 s12, -1
	s_mov_b32 s40, exec_lo
	v_cmpx_eq_u16_e32 0x80, v75
; %bb.3522:                             ;   in Loop: Header=BB4_2938 Depth=2
	s_xor_b32 s12, exec_lo, -1
; %bb.3523:                             ;   in Loop: Header=BB4_2938 Depth=2
	s_or_b32 exec_lo, exec_lo, s40
	s_and_b32 s12, s12, exec_lo
                                        ; implicit-def: $vgpr75
	s_or_saveexec_b32 s29, s29
	v_mov_b32_e32 v74, 0x7f800001
	s_xor_b32 exec_lo, exec_lo, s29
	s_cbranch_execnz .LBB4_4123
.LBB4_3524:                             ;   in Loop: Header=BB4_2938 Depth=2
	s_or_b32 exec_lo, exec_lo, s29
	s_and_saveexec_b32 s29, s12
	s_cbranch_execz .LBB4_3526
.LBB4_3525:                             ;   in Loop: Header=BB4_2938 Depth=2
	v_bfe_u32 v74, v15, 16, 3
	v_bfe_u32 v77, v15, 19, 4
	v_lshlrev_b32_e32 v78, 8, v15
	v_ffbh_u32_e32 v75, v74
	v_cmp_eq_u32_e32 vcc_lo, 0, v77
	v_min_u32_e32 v75, 32, v75
	v_subrev_nc_u32_e32 v76, 28, v75
	v_sub_nc_u32_e32 v75, 29, v75
	v_lshlrev_b32_sdwa v76, v76, v15 dst_sel:DWORD dst_unused:UNUSED_PAD src0_sel:DWORD src1_sel:WORD_1
	v_cndmask_b32_e32 v75, v77, v75, vcc_lo
	v_and_b32_e32 v76, 7, v76
	v_lshl_add_u32 v75, v75, 23, 0x3b800000
	v_cndmask_b32_e32 v74, v74, v76, vcc_lo
	v_and_b32_e32 v76, 0x80000000, v78
	v_lshlrev_b32_e32 v74, 20, v74
	v_or3_b32 v74, v76, v75, v74
.LBB4_3526:                             ;   in Loop: Header=BB4_2938 Depth=2
	s_or_b32 exec_lo, exec_lo, s29
	v_add_f32_e32 v74, v59, v74
	v_and_b32_e32 v59, 0x7f800000, v74
	v_cmp_ne_u32_e32 vcc_lo, 0x7f800000, v59
	v_mov_b32_e32 v59, 0x80
	s_and_saveexec_b32 s29, vcc_lo
	s_cbranch_execz .LBB4_3534
; %bb.3527:                             ;   in Loop: Header=BB4_2938 Depth=2
	v_mov_b32_e32 v59, 0
	s_mov_b32 s40, exec_lo
	v_cmpx_ne_u32_e32 0, v74
	s_cbranch_execz .LBB4_3533
; %bb.3528:                             ;   in Loop: Header=BB4_2938 Depth=2
	v_bfe_u32 v59, v74, 23, 8
	v_and_b32_e32 v75, 0x7fffff, v74
	v_sub_nc_u32_e32 v76, 0x78, v59
	v_cmp_gt_u32_e32 vcc_lo, 0x79, v59
	v_or_b32_e32 v77, 0x800000, v75
	v_cndmask_b32_e32 v76, 0, v76, vcc_lo
	v_cmp_eq_u32_e32 vcc_lo, 0, v59
	v_add_nc_u32_e32 v59, 0xffffff89, v59
	v_cndmask_b32_e64 v76, v76, 0x77, vcc_lo
	v_cndmask_b32_e32 v75, v77, v75, vcc_lo
	v_cndmask_b32_e64 v59, v59, 0xffffff8a, vcc_lo
	v_lshl_add_u32 v77, 0x100000, v76, -1
	v_lshrrev_b32_e32 v78, v76, v75
	v_lshlrev_b32_e64 v88, v76, 0x80000
	v_add_nc_u32_e32 v76, v76, v59
	v_and_b32_e32 v75, v77, v75
	v_bfe_u32 v79, v78, 20, 1
	v_cmp_eq_u32_e64 s12, v75, v88
	v_add_nc_u32_e32 v77, -1, v79
	v_cndmask_b32_e64 v75, 0, v77, s12
	v_lshrrev_b32_e32 v77, 23, v78
	s_mov_b32 s12, exec_lo
	v_add_nc_u32_e32 v75, v75, v78
	v_xor_b32_e32 v77, 1, v77
	v_and_b32_e32 v59, 0xfffff, v75
	v_add_nc_u32_e32 v75, v59, v78
                                        ; implicit-def: $vgpr59
	v_cmpx_ne_u32_e64 v76, v77
	s_xor_b32 s12, exec_lo, s12
; %bb.3529:                             ;   in Loop: Header=BB4_2938 Depth=2
	v_cmp_lt_u32_e32 vcc_lo, 0xffffff, v75
	v_sub_nc_u32_e32 v59, v76, v77
	v_cndmask_b32_e64 v76, 0, 1, vcc_lo
	v_add_co_ci_u32_e64 v59, null, 0, v59, vcc_lo
	v_lshrrev_b32_e32 v75, v76, v75
; %bb.3530:                             ;   in Loop: Header=BB4_2938 Depth=2
	s_andn2_saveexec_b32 s12, s12
; %bb.3531:                             ;   in Loop: Header=BB4_2938 Depth=2
	v_bfe_u32 v59, v75, 23, 1
; %bb.3532:                             ;   in Loop: Header=BB4_2938 Depth=2
	s_or_b32 exec_lo, exec_lo, s12
	v_lshrrev_b32_e32 v75, 20, v75
	v_min_i32_e32 v76, 15, v59
	v_cmp_gt_i32_e32 vcc_lo, 16, v59
	v_and_b32_sdwa v74, v74, v85 dst_sel:DWORD dst_unused:UNUSED_PAD src0_sel:BYTE_3 src1_sel:DWORD
	v_lshlrev_b32_e32 v76, 3, v76
	v_cndmask_b32_e32 v75, 7, v75, vcc_lo
	v_and_b32_e32 v76, 0xf8, v76
	v_and_b32_e32 v77, 7, v75
	v_or_b32_e32 v59, v59, v75
	v_or3_b32 v74, v76, v74, v77
	v_cmp_ne_u32_e32 vcc_lo, 0, v59
	v_cndmask_b32_e32 v59, 0, v74, vcc_lo
.LBB4_3533:                             ;   in Loop: Header=BB4_2938 Depth=2
	s_or_b32 exec_lo, exec_lo, s40
.LBB4_3534:                             ;   in Loop: Header=BB4_2938 Depth=2
	s_or_b32 exec_lo, exec_lo, s29
	v_cmp_gt_i16_sdwa s29, v73, v84 src0_sel:BYTE_3 src1_sel:DWORD
	s_mov_b32 s12, 0
	s_and_saveexec_b32 s40, s29
	s_xor_b32 s29, exec_lo, s40
	s_cbranch_execz .LBB4_4124
; %bb.3535:                             ;   in Loop: Header=BB4_2938 Depth=2
	v_cmp_eq_u16_sdwa s41, v73, v85 src0_sel:BYTE_3 src1_sel:DWORD
	s_mov_b32 s12, -1
	s_and_saveexec_b32 s40, s41
; %bb.3536:                             ;   in Loop: Header=BB4_2938 Depth=2
	s_xor_b32 s12, exec_lo, -1
; %bb.3537:                             ;   in Loop: Header=BB4_2938 Depth=2
	s_or_b32 exec_lo, exec_lo, s40
	s_and_b32 s12, s12, exec_lo
	s_or_saveexec_b32 s29, s29
	v_mov_b32_e32 v74, 0x7f800001
	s_xor_b32 exec_lo, exec_lo, s29
	s_cbranch_execnz .LBB4_4125
.LBB4_3538:                             ;   in Loop: Header=BB4_2938 Depth=2
	s_or_b32 exec_lo, exec_lo, s29
	s_and_saveexec_b32 s29, s12
	s_cbranch_execz .LBB4_3540
.LBB4_3539:                             ;   in Loop: Header=BB4_2938 Depth=2
	v_bfe_u32 v74, v73, 24, 3
	v_bfe_u32 v77, v73, 27, 4
	v_ffbh_u32_e32 v75, v74
	v_cmp_eq_u32_e32 vcc_lo, 0, v77
	v_min_u32_e32 v75, 32, v75
	v_subrev_nc_u32_e32 v76, 28, v75
	v_sub_nc_u32_e32 v75, 29, v75
	v_lshlrev_b32_sdwa v76, v76, v73 dst_sel:DWORD dst_unused:UNUSED_PAD src0_sel:DWORD src1_sel:BYTE_3
	v_cndmask_b32_e32 v75, v77, v75, vcc_lo
	v_and_b32_e32 v73, 0x80000000, v73
	v_and_b32_e32 v76, 7, v76
	v_lshl_add_u32 v75, v75, 23, 0x3b800000
	v_cndmask_b32_e32 v74, v74, v76, vcc_lo
	v_lshlrev_b32_e32 v74, 20, v74
	v_or3_b32 v74, v73, v75, v74
.LBB4_3540:                             ;   in Loop: Header=BB4_2938 Depth=2
	s_or_b32 exec_lo, exec_lo, s29
	v_cmp_gt_i16_sdwa s29, v15, v84 src0_sel:BYTE_3 src1_sel:DWORD
	s_mov_b32 s12, 0
	s_and_saveexec_b32 s40, s29
	s_xor_b32 s29, exec_lo, s40
	s_cbranch_execz .LBB4_4126
; %bb.3541:                             ;   in Loop: Header=BB4_2938 Depth=2
	v_cmp_eq_u16_sdwa s41, v15, v85 src0_sel:BYTE_3 src1_sel:DWORD
	s_mov_b32 s12, -1
	s_and_saveexec_b32 s40, s41
; %bb.3542:                             ;   in Loop: Header=BB4_2938 Depth=2
	s_xor_b32 s12, exec_lo, -1
; %bb.3543:                             ;   in Loop: Header=BB4_2938 Depth=2
	s_or_b32 exec_lo, exec_lo, s40
	s_and_b32 s12, s12, exec_lo
	s_or_saveexec_b32 s29, s29
	v_mov_b32_e32 v73, 0x7f800001
	s_xor_b32 exec_lo, exec_lo, s29
	s_cbranch_execnz .LBB4_4127
.LBB4_3544:                             ;   in Loop: Header=BB4_2938 Depth=2
	s_or_b32 exec_lo, exec_lo, s29
	s_and_saveexec_b32 s29, s12
	s_cbranch_execz .LBB4_3546
.LBB4_3545:                             ;   in Loop: Header=BB4_2938 Depth=2
	v_bfe_u32 v73, v15, 24, 3
	v_bfe_u32 v77, v15, 27, 4
	v_ffbh_u32_e32 v75, v73
	v_cmp_eq_u32_e32 vcc_lo, 0, v77
	v_min_u32_e32 v75, 32, v75
	v_subrev_nc_u32_e32 v76, 28, v75
	v_sub_nc_u32_e32 v75, 29, v75
	v_lshlrev_b32_sdwa v76, v76, v15 dst_sel:DWORD dst_unused:UNUSED_PAD src0_sel:DWORD src1_sel:BYTE_3
	v_cndmask_b32_e32 v75, v77, v75, vcc_lo
	v_and_b32_e32 v15, 0x80000000, v15
	v_and_b32_e32 v76, 7, v76
	v_lshl_add_u32 v75, v75, 23, 0x3b800000
	v_cndmask_b32_e32 v73, v73, v76, vcc_lo
	v_lshlrev_b32_e32 v73, 20, v73
	v_or3_b32 v73, v15, v75, v73
.LBB4_3546:                             ;   in Loop: Header=BB4_2938 Depth=2
	s_or_b32 exec_lo, exec_lo, s29
	v_add_f32_e32 v73, v74, v73
	v_and_b32_e32 v15, 0x7f800000, v73
	v_cmp_ne_u32_e32 vcc_lo, 0x7f800000, v15
	v_mov_b32_e32 v15, 0x8000
	s_and_saveexec_b32 s29, vcc_lo
	s_cbranch_execz .LBB4_3554
; %bb.3547:                             ;   in Loop: Header=BB4_2938 Depth=2
	v_mov_b32_e32 v15, 0
	s_mov_b32 s40, exec_lo
	v_cmpx_ne_u32_e32 0, v73
	s_cbranch_execz .LBB4_3553
; %bb.3548:                             ;   in Loop: Header=BB4_2938 Depth=2
	v_bfe_u32 v15, v73, 23, 8
	v_and_b32_e32 v74, 0x7fffff, v73
	v_sub_nc_u32_e32 v75, 0x78, v15
	v_cmp_gt_u32_e32 vcc_lo, 0x79, v15
	v_or_b32_e32 v76, 0x800000, v74
	v_cndmask_b32_e32 v75, 0, v75, vcc_lo
	v_cmp_eq_u32_e32 vcc_lo, 0, v15
	v_add_nc_u32_e32 v15, 0xffffff89, v15
	v_cndmask_b32_e64 v75, v75, 0x77, vcc_lo
	v_cndmask_b32_e32 v74, v76, v74, vcc_lo
	v_cndmask_b32_e64 v15, v15, 0xffffff8a, vcc_lo
	v_lshl_add_u32 v76, 0x100000, v75, -1
	v_lshrrev_b32_e32 v77, v75, v74
	v_lshlrev_b32_e64 v79, v75, 0x80000
	v_add_nc_u32_e32 v75, v75, v15
	v_and_b32_e32 v74, v76, v74
	v_bfe_u32 v78, v77, 20, 1
	v_cmp_eq_u32_e64 s12, v74, v79
	v_add_nc_u32_e32 v76, -1, v78
	v_cndmask_b32_e64 v74, 0, v76, s12
	v_lshrrev_b32_e32 v76, 23, v77
	s_mov_b32 s12, exec_lo
	v_add_nc_u32_e32 v74, v74, v77
	v_xor_b32_e32 v76, 1, v76
	v_and_b32_e32 v15, 0xfffff, v74
	v_add_nc_u32_e32 v74, v15, v77
                                        ; implicit-def: $vgpr15
	v_cmpx_ne_u32_e64 v75, v76
	s_xor_b32 s12, exec_lo, s12
; %bb.3549:                             ;   in Loop: Header=BB4_2938 Depth=2
	v_cmp_lt_u32_e32 vcc_lo, 0xffffff, v74
	v_sub_nc_u32_e32 v15, v75, v76
	v_cndmask_b32_e64 v75, 0, 1, vcc_lo
	v_add_co_ci_u32_e64 v15, null, 0, v15, vcc_lo
	v_lshrrev_b32_e32 v74, v75, v74
; %bb.3550:                             ;   in Loop: Header=BB4_2938 Depth=2
	s_andn2_saveexec_b32 s12, s12
; %bb.3551:                             ;   in Loop: Header=BB4_2938 Depth=2
	v_bfe_u32 v15, v74, 23, 1
; %bb.3552:                             ;   in Loop: Header=BB4_2938 Depth=2
	s_or_b32 exec_lo, exec_lo, s12
	v_lshrrev_b32_e32 v74, 20, v74
	v_min_i32_e32 v75, 15, v15
	v_cmp_gt_i32_e32 vcc_lo, 16, v15
	v_and_b32_sdwa v73, v73, v85 dst_sel:DWORD dst_unused:UNUSED_PAD src0_sel:BYTE_3 src1_sel:DWORD
	v_lshlrev_b32_e32 v75, 3, v75
	v_cndmask_b32_e32 v74, 7, v74, vcc_lo
	v_and_b32_e32 v75, 0xf8, v75
	v_and_b32_e32 v76, 7, v74
	v_or_b32_e32 v15, v15, v74
	v_or3_b32 v73, v73, v75, v76
	v_cmp_ne_u32_e32 vcc_lo, 0, v15
	v_lshlrev_b32_e32 v73, 8, v73
	v_cndmask_b32_e32 v15, 0, v73, vcc_lo
.LBB4_3553:                             ;   in Loop: Header=BB4_2938 Depth=2
	s_or_b32 exec_lo, exec_lo, s40
.LBB4_3554:                             ;   in Loop: Header=BB4_2938 Depth=2
	s_or_b32 exec_lo, exec_lo, s29
	v_or_b32_e32 v73, v72, v62
	s_mov_b32 s12, 0
	v_cmp_gt_i16_sdwa s29, v73, v84 src0_sel:BYTE_0 src1_sel:DWORD
	s_and_saveexec_b32 s40, s29
	s_xor_b32 s29, exec_lo, s40
	s_cbranch_execz .LBB4_4128
; %bb.3555:                             ;   in Loop: Header=BB4_2938 Depth=2
	v_cmp_eq_u16_sdwa s41, v73, v85 src0_sel:BYTE_0 src1_sel:DWORD
	s_mov_b32 s12, -1
	s_and_saveexec_b32 s40, s41
; %bb.3556:                             ;   in Loop: Header=BB4_2938 Depth=2
	s_xor_b32 s12, exec_lo, -1
; %bb.3557:                             ;   in Loop: Header=BB4_2938 Depth=2
	s_or_b32 exec_lo, exec_lo, s40
	s_and_b32 s12, s12, exec_lo
	s_or_saveexec_b32 s29, s29
	v_mov_b32_e32 v62, 0x7f800001
	s_xor_b32 exec_lo, exec_lo, s29
	s_cbranch_execnz .LBB4_4129
.LBB4_3558:                             ;   in Loop: Header=BB4_2938 Depth=2
	s_or_b32 exec_lo, exec_lo, s29
	s_and_saveexec_b32 s29, s12
	s_cbranch_execz .LBB4_3560
.LBB4_3559:                             ;   in Loop: Header=BB4_2938 Depth=2
	v_and_b32_e32 v62, 7, v73
	v_bfe_u32 v75, v73, 3, 4
	v_lshlrev_b32_e32 v76, 24, v73
	v_ffbh_u32_e32 v72, v62
	v_cmp_eq_u32_e32 vcc_lo, 0, v75
	v_min_u32_e32 v72, 32, v72
	v_subrev_nc_u32_e32 v74, 28, v72
	v_sub_nc_u32_e32 v72, 29, v72
	v_lshlrev_b32_e32 v74, v74, v73
	v_cndmask_b32_e32 v72, v75, v72, vcc_lo
	v_and_b32_e32 v74, 7, v74
	v_lshl_add_u32 v72, v72, 23, 0x3b800000
	v_cndmask_b32_e32 v62, v62, v74, vcc_lo
	v_and_b32_e32 v74, 0x80000000, v76
	v_lshlrev_b32_e32 v62, 20, v62
	v_or3_b32 v62, v74, v72, v62
.LBB4_3560:                             ;   in Loop: Header=BB4_2938 Depth=2
	s_or_b32 exec_lo, exec_lo, s29
	v_cmp_gt_i16_sdwa s29, v16, v84 src0_sel:BYTE_0 src1_sel:DWORD
	s_mov_b32 s12, 0
	s_and_saveexec_b32 s40, s29
	s_xor_b32 s29, exec_lo, s40
	s_cbranch_execz .LBB4_4130
; %bb.3561:                             ;   in Loop: Header=BB4_2938 Depth=2
	v_cmp_eq_u16_sdwa s41, v16, v85 src0_sel:BYTE_0 src1_sel:DWORD
	s_mov_b32 s12, -1
	s_and_saveexec_b32 s40, s41
; %bb.3562:                             ;   in Loop: Header=BB4_2938 Depth=2
	s_xor_b32 s12, exec_lo, -1
; %bb.3563:                             ;   in Loop: Header=BB4_2938 Depth=2
	s_or_b32 exec_lo, exec_lo, s40
	s_and_b32 s12, s12, exec_lo
	s_or_saveexec_b32 s29, s29
	v_mov_b32_e32 v72, 0x7f800001
	s_xor_b32 exec_lo, exec_lo, s29
	s_cbranch_execnz .LBB4_4131
.LBB4_3564:                             ;   in Loop: Header=BB4_2938 Depth=2
	s_or_b32 exec_lo, exec_lo, s29
	s_and_saveexec_b32 s29, s12
	s_cbranch_execz .LBB4_3566
.LBB4_3565:                             ;   in Loop: Header=BB4_2938 Depth=2
	v_and_b32_e32 v72, 7, v16
	v_bfe_u32 v76, v16, 3, 4
	v_lshlrev_b32_e32 v77, 24, v16
	v_ffbh_u32_e32 v74, v72
	v_cmp_eq_u32_e32 vcc_lo, 0, v76
	v_min_u32_e32 v74, 32, v74
	v_subrev_nc_u32_e32 v75, 28, v74
	v_sub_nc_u32_e32 v74, 29, v74
	v_lshlrev_b32_e32 v75, v75, v16
	v_cndmask_b32_e32 v74, v76, v74, vcc_lo
	v_and_b32_e32 v75, 7, v75
	v_lshl_add_u32 v74, v74, 23, 0x3b800000
	v_cndmask_b32_e32 v72, v72, v75, vcc_lo
	v_and_b32_e32 v75, 0x80000000, v77
	v_lshlrev_b32_e32 v72, 20, v72
	v_or3_b32 v72, v75, v74, v72
.LBB4_3566:                             ;   in Loop: Header=BB4_2938 Depth=2
	s_or_b32 exec_lo, exec_lo, s29
	v_add_f32_e32 v72, v62, v72
	v_and_b32_e32 v62, 0x7f800000, v72
	v_cmp_ne_u32_e32 vcc_lo, 0x7f800000, v62
	v_mov_b32_e32 v62, 0x80
	s_and_saveexec_b32 s29, vcc_lo
	s_cbranch_execz .LBB4_3574
; %bb.3567:                             ;   in Loop: Header=BB4_2938 Depth=2
	v_mov_b32_e32 v62, 0
	s_mov_b32 s40, exec_lo
	v_cmpx_ne_u32_e32 0, v72
	s_cbranch_execz .LBB4_3573
; %bb.3568:                             ;   in Loop: Header=BB4_2938 Depth=2
	v_bfe_u32 v62, v72, 23, 8
	v_and_b32_e32 v74, 0x7fffff, v72
	v_sub_nc_u32_e32 v75, 0x78, v62
	v_cmp_gt_u32_e32 vcc_lo, 0x79, v62
	v_or_b32_e32 v76, 0x800000, v74
	v_cndmask_b32_e32 v75, 0, v75, vcc_lo
	v_cmp_eq_u32_e32 vcc_lo, 0, v62
	v_add_nc_u32_e32 v62, 0xffffff89, v62
	v_cndmask_b32_e64 v75, v75, 0x77, vcc_lo
	v_cndmask_b32_e32 v74, v76, v74, vcc_lo
	v_cndmask_b32_e64 v62, v62, 0xffffff8a, vcc_lo
	v_lshl_add_u32 v76, 0x100000, v75, -1
	v_lshrrev_b32_e32 v77, v75, v74
	v_lshlrev_b32_e64 v79, v75, 0x80000
	v_add_nc_u32_e32 v75, v75, v62
	v_and_b32_e32 v74, v76, v74
	v_bfe_u32 v78, v77, 20, 1
	v_cmp_eq_u32_e64 s12, v74, v79
	v_add_nc_u32_e32 v76, -1, v78
	v_cndmask_b32_e64 v74, 0, v76, s12
	v_lshrrev_b32_e32 v76, 23, v77
	s_mov_b32 s12, exec_lo
	v_add_nc_u32_e32 v74, v74, v77
	v_xor_b32_e32 v76, 1, v76
	v_and_b32_e32 v62, 0xfffff, v74
	v_add_nc_u32_e32 v74, v62, v77
                                        ; implicit-def: $vgpr62
	v_cmpx_ne_u32_e64 v75, v76
	s_xor_b32 s12, exec_lo, s12
; %bb.3569:                             ;   in Loop: Header=BB4_2938 Depth=2
	v_cmp_lt_u32_e32 vcc_lo, 0xffffff, v74
	v_sub_nc_u32_e32 v62, v75, v76
	v_cndmask_b32_e64 v75, 0, 1, vcc_lo
	v_add_co_ci_u32_e64 v62, null, 0, v62, vcc_lo
	v_lshrrev_b32_e32 v74, v75, v74
; %bb.3570:                             ;   in Loop: Header=BB4_2938 Depth=2
	s_andn2_saveexec_b32 s12, s12
; %bb.3571:                             ;   in Loop: Header=BB4_2938 Depth=2
	v_bfe_u32 v62, v74, 23, 1
; %bb.3572:                             ;   in Loop: Header=BB4_2938 Depth=2
	s_or_b32 exec_lo, exec_lo, s12
	v_lshrrev_b32_e32 v74, 20, v74
	v_min_i32_e32 v75, 15, v62
	v_cmp_gt_i32_e32 vcc_lo, 16, v62
	v_and_b32_sdwa v72, v72, v85 dst_sel:DWORD dst_unused:UNUSED_PAD src0_sel:BYTE_3 src1_sel:DWORD
	v_lshlrev_b32_e32 v75, 3, v75
	v_cndmask_b32_e32 v74, 7, v74, vcc_lo
	v_and_b32_e32 v75, 0xf8, v75
	v_and_b32_e32 v76, 7, v74
	v_or_b32_e32 v62, v62, v74
	v_or3_b32 v72, v75, v72, v76
	v_cmp_ne_u32_e32 vcc_lo, 0, v62
	v_cndmask_b32_e32 v62, 0, v72, vcc_lo
.LBB4_3573:                             ;   in Loop: Header=BB4_2938 Depth=2
	s_or_b32 exec_lo, exec_lo, s40
.LBB4_3574:                             ;   in Loop: Header=BB4_2938 Depth=2
	s_or_b32 exec_lo, exec_lo, s29
	v_cmp_gt_i16_sdwa s29, v73, v84 src0_sel:BYTE_1 src1_sel:DWORD
	s_mov_b32 s12, 0
	s_and_saveexec_b32 s40, s29
	s_xor_b32 s29, exec_lo, s40
	s_cbranch_execz .LBB4_4132
; %bb.3575:                             ;   in Loop: Header=BB4_2938 Depth=2
	v_cmp_eq_u16_sdwa s41, v73, v85 src0_sel:BYTE_1 src1_sel:DWORD
	s_mov_b32 s12, -1
	s_and_saveexec_b32 s40, s41
; %bb.3576:                             ;   in Loop: Header=BB4_2938 Depth=2
	s_xor_b32 s12, exec_lo, -1
; %bb.3577:                             ;   in Loop: Header=BB4_2938 Depth=2
	s_or_b32 exec_lo, exec_lo, s40
	s_and_b32 s12, s12, exec_lo
	s_or_saveexec_b32 s29, s29
	v_mov_b32_e32 v72, 0x7f800001
	s_xor_b32 exec_lo, exec_lo, s29
	s_cbranch_execnz .LBB4_4133
.LBB4_3578:                             ;   in Loop: Header=BB4_2938 Depth=2
	s_or_b32 exec_lo, exec_lo, s29
	s_and_saveexec_b32 s29, s12
	s_cbranch_execz .LBB4_3580
.LBB4_3579:                             ;   in Loop: Header=BB4_2938 Depth=2
	v_and_b32_sdwa v72, v86, v73 dst_sel:DWORD dst_unused:UNUSED_PAD src0_sel:DWORD src1_sel:BYTE_1
	v_and_b32_e32 v74, 7, v72
	v_bfe_u32 v77, v72, 3, 4
	v_ffbh_u32_e32 v75, v74
	v_cmp_eq_u32_e32 vcc_lo, 0, v77
	v_min_u32_e32 v75, 32, v75
	v_subrev_nc_u32_e32 v76, 28, v75
	v_sub_nc_u32_e32 v75, 29, v75
	v_lshlrev_b32_e32 v72, v76, v72
	v_lshlrev_b32_sdwa v76, v87, v73 dst_sel:DWORD dst_unused:UNUSED_PAD src0_sel:DWORD src1_sel:BYTE_1
	v_cndmask_b32_e32 v75, v77, v75, vcc_lo
	v_and_b32_e32 v72, 7, v72
	v_lshl_add_u32 v75, v75, 23, 0x3b800000
	v_cndmask_b32_e32 v72, v74, v72, vcc_lo
	v_and_b32_e32 v74, 0x80000000, v76
	v_lshlrev_b32_e32 v72, 20, v72
	v_or3_b32 v72, v74, v75, v72
.LBB4_3580:                             ;   in Loop: Header=BB4_2938 Depth=2
	s_or_b32 exec_lo, exec_lo, s29
	v_cmp_gt_i16_sdwa s29, v16, v84 src0_sel:BYTE_1 src1_sel:DWORD
	s_mov_b32 s12, 0
	s_and_saveexec_b32 s40, s29
	s_xor_b32 s29, exec_lo, s40
	s_cbranch_execz .LBB4_4134
; %bb.3581:                             ;   in Loop: Header=BB4_2938 Depth=2
	v_cmp_eq_u16_sdwa s41, v16, v85 src0_sel:BYTE_1 src1_sel:DWORD
	s_mov_b32 s12, -1
	s_and_saveexec_b32 s40, s41
; %bb.3582:                             ;   in Loop: Header=BB4_2938 Depth=2
	s_xor_b32 s12, exec_lo, -1
; %bb.3583:                             ;   in Loop: Header=BB4_2938 Depth=2
	s_or_b32 exec_lo, exec_lo, s40
	s_and_b32 s12, s12, exec_lo
	s_or_saveexec_b32 s29, s29
	v_mov_b32_e32 v74, 0x7f800001
	s_xor_b32 exec_lo, exec_lo, s29
	s_cbranch_execnz .LBB4_4135
.LBB4_3584:                             ;   in Loop: Header=BB4_2938 Depth=2
	s_or_b32 exec_lo, exec_lo, s29
	s_and_saveexec_b32 s29, s12
	s_cbranch_execz .LBB4_3586
.LBB4_3585:                             ;   in Loop: Header=BB4_2938 Depth=2
	v_and_b32_sdwa v74, v86, v16 dst_sel:DWORD dst_unused:UNUSED_PAD src0_sel:DWORD src1_sel:BYTE_1
	v_and_b32_e32 v75, 7, v74
	v_bfe_u32 v78, v74, 3, 4
	v_ffbh_u32_e32 v76, v75
	v_cmp_eq_u32_e32 vcc_lo, 0, v78
	v_min_u32_e32 v76, 32, v76
	v_subrev_nc_u32_e32 v77, 28, v76
	v_sub_nc_u32_e32 v76, 29, v76
	v_lshlrev_b32_e32 v74, v77, v74
	v_lshlrev_b32_sdwa v77, v87, v16 dst_sel:DWORD dst_unused:UNUSED_PAD src0_sel:DWORD src1_sel:BYTE_1
	v_cndmask_b32_e32 v76, v78, v76, vcc_lo
	v_and_b32_e32 v74, 7, v74
	v_lshl_add_u32 v76, v76, 23, 0x3b800000
	v_cndmask_b32_e32 v74, v75, v74, vcc_lo
	v_and_b32_e32 v75, 0x80000000, v77
	v_lshlrev_b32_e32 v74, 20, v74
	v_or3_b32 v74, v75, v76, v74
.LBB4_3586:                             ;   in Loop: Header=BB4_2938 Depth=2
	s_or_b32 exec_lo, exec_lo, s29
	v_add_f32_e32 v74, v72, v74
	v_and_b32_e32 v72, 0x7f800000, v74
	v_cmp_ne_u32_e32 vcc_lo, 0x7f800000, v72
	v_mov_b32_e32 v72, 0x8000
	s_and_saveexec_b32 s29, vcc_lo
	s_cbranch_execz .LBB4_3594
; %bb.3587:                             ;   in Loop: Header=BB4_2938 Depth=2
	v_mov_b32_e32 v72, 0
	s_mov_b32 s40, exec_lo
	v_cmpx_ne_u32_e32 0, v74
	s_cbranch_execz .LBB4_3593
; %bb.3588:                             ;   in Loop: Header=BB4_2938 Depth=2
	v_bfe_u32 v72, v74, 23, 8
	v_and_b32_e32 v75, 0x7fffff, v74
	v_sub_nc_u32_e32 v76, 0x78, v72
	v_cmp_gt_u32_e32 vcc_lo, 0x79, v72
	v_or_b32_e32 v77, 0x800000, v75
	v_cndmask_b32_e32 v76, 0, v76, vcc_lo
	v_cmp_eq_u32_e32 vcc_lo, 0, v72
	v_add_nc_u32_e32 v72, 0xffffff89, v72
	v_cndmask_b32_e64 v76, v76, 0x77, vcc_lo
	v_cndmask_b32_e32 v75, v77, v75, vcc_lo
	v_cndmask_b32_e64 v72, v72, 0xffffff8a, vcc_lo
	v_lshl_add_u32 v77, 0x100000, v76, -1
	v_lshrrev_b32_e32 v78, v76, v75
	v_lshlrev_b32_e64 v88, v76, 0x80000
	v_add_nc_u32_e32 v76, v76, v72
	v_and_b32_e32 v75, v77, v75
	v_bfe_u32 v79, v78, 20, 1
	v_cmp_eq_u32_e64 s12, v75, v88
	v_add_nc_u32_e32 v77, -1, v79
	v_cndmask_b32_e64 v75, 0, v77, s12
	v_lshrrev_b32_e32 v77, 23, v78
	s_mov_b32 s12, exec_lo
	v_add_nc_u32_e32 v75, v75, v78
	v_xor_b32_e32 v77, 1, v77
	v_and_b32_e32 v72, 0xfffff, v75
	v_add_nc_u32_e32 v75, v72, v78
                                        ; implicit-def: $vgpr72
	v_cmpx_ne_u32_e64 v76, v77
	s_xor_b32 s12, exec_lo, s12
; %bb.3589:                             ;   in Loop: Header=BB4_2938 Depth=2
	v_cmp_lt_u32_e32 vcc_lo, 0xffffff, v75
	v_sub_nc_u32_e32 v72, v76, v77
	v_cndmask_b32_e64 v76, 0, 1, vcc_lo
	v_add_co_ci_u32_e64 v72, null, 0, v72, vcc_lo
	v_lshrrev_b32_e32 v75, v76, v75
; %bb.3590:                             ;   in Loop: Header=BB4_2938 Depth=2
	s_andn2_saveexec_b32 s12, s12
; %bb.3591:                             ;   in Loop: Header=BB4_2938 Depth=2
	v_bfe_u32 v72, v75, 23, 1
; %bb.3592:                             ;   in Loop: Header=BB4_2938 Depth=2
	s_or_b32 exec_lo, exec_lo, s12
	v_lshrrev_b32_e32 v75, 20, v75
	v_min_i32_e32 v76, 15, v72
	v_cmp_gt_i32_e32 vcc_lo, 16, v72
	v_and_b32_sdwa v74, v74, v85 dst_sel:DWORD dst_unused:UNUSED_PAD src0_sel:BYTE_3 src1_sel:DWORD
	v_lshlrev_b32_e32 v76, 3, v76
	v_cndmask_b32_e32 v75, 7, v75, vcc_lo
	v_and_b32_e32 v76, 0xf8, v76
	v_and_b32_e32 v77, 7, v75
	v_or_b32_e32 v72, v72, v75
	v_or3_b32 v74, v74, v76, v77
	v_cmp_ne_u32_e32 vcc_lo, 0, v72
	v_lshlrev_b32_e32 v74, 8, v74
	v_cndmask_b32_e32 v72, 0, v74, vcc_lo
.LBB4_3593:                             ;   in Loop: Header=BB4_2938 Depth=2
	s_or_b32 exec_lo, exec_lo, s40
.LBB4_3594:                             ;   in Loop: Header=BB4_2938 Depth=2
	s_or_b32 exec_lo, exec_lo, s29
	v_or_b32_e32 v63, v63, v60
	s_mov_b32 s12, 0
	v_cmp_gt_i16_sdwa s29, v63, v84 src0_sel:BYTE_0 src1_sel:DWORD
	s_and_saveexec_b32 s40, s29
	s_xor_b32 s29, exec_lo, s40
	s_cbranch_execz .LBB4_4136
; %bb.3595:                             ;   in Loop: Header=BB4_2938 Depth=2
	v_cmp_eq_u16_sdwa s41, v63, v85 src0_sel:BYTE_0 src1_sel:DWORD
	s_mov_b32 s12, -1
	s_and_saveexec_b32 s40, s41
; %bb.3596:                             ;   in Loop: Header=BB4_2938 Depth=2
	s_xor_b32 s12, exec_lo, -1
; %bb.3597:                             ;   in Loop: Header=BB4_2938 Depth=2
	s_or_b32 exec_lo, exec_lo, s40
	s_and_b32 s12, s12, exec_lo
	s_or_saveexec_b32 s29, s29
	v_mov_b32_e32 v60, 0x7f800001
	s_xor_b32 exec_lo, exec_lo, s29
	s_cbranch_execnz .LBB4_4137
.LBB4_3598:                             ;   in Loop: Header=BB4_2938 Depth=2
	s_or_b32 exec_lo, exec_lo, s29
	v_lshl_or_b32 v63, v63, 16, v73
	s_and_saveexec_b32 s29, s12
	s_cbranch_execz .LBB4_3600
.LBB4_3599:                             ;   in Loop: Header=BB4_2938 Depth=2
	v_bfe_u32 v60, v63, 16, 3
	v_bfe_u32 v75, v63, 19, 4
	v_lshlrev_b32_e32 v76, 8, v63
	v_ffbh_u32_e32 v73, v60
	v_cmp_eq_u32_e32 vcc_lo, 0, v75
	v_min_u32_e32 v73, 32, v73
	v_subrev_nc_u32_e32 v74, 28, v73
	v_sub_nc_u32_e32 v73, 29, v73
	v_lshlrev_b32_sdwa v74, v74, v63 dst_sel:DWORD dst_unused:UNUSED_PAD src0_sel:DWORD src1_sel:WORD_1
	v_cndmask_b32_e32 v73, v75, v73, vcc_lo
	v_and_b32_e32 v74, 7, v74
	v_lshl_add_u32 v73, v73, 23, 0x3b800000
	v_cndmask_b32_e32 v60, v60, v74, vcc_lo
	v_and_b32_e32 v74, 0x80000000, v76
	v_lshlrev_b32_e32 v60, 20, v60
	v_or3_b32 v60, v74, v73, v60
.LBB4_3600:                             ;   in Loop: Header=BB4_2938 Depth=2
	s_or_b32 exec_lo, exec_lo, s29
	v_and_b32_sdwa v74, v16, v96 dst_sel:DWORD dst_unused:UNUSED_PAD src0_sel:WORD_1 src1_sel:DWORD
	s_mov_b32 s12, 0
	s_mov_b32 s29, exec_lo
	v_cmpx_lt_i16_e32 0x7f, v74
	s_xor_b32 s29, exec_lo, s29
	s_cbranch_execz .LBB4_4138
; %bb.3601:                             ;   in Loop: Header=BB4_2938 Depth=2
	s_mov_b32 s12, -1
	s_mov_b32 s40, exec_lo
	v_cmpx_eq_u16_e32 0x80, v74
; %bb.3602:                             ;   in Loop: Header=BB4_2938 Depth=2
	s_xor_b32 s12, exec_lo, -1
; %bb.3603:                             ;   in Loop: Header=BB4_2938 Depth=2
	s_or_b32 exec_lo, exec_lo, s40
	s_and_b32 s12, s12, exec_lo
                                        ; implicit-def: $vgpr74
	s_or_saveexec_b32 s29, s29
	v_mov_b32_e32 v73, 0x7f800001
	s_xor_b32 exec_lo, exec_lo, s29
	s_cbranch_execnz .LBB4_4139
.LBB4_3604:                             ;   in Loop: Header=BB4_2938 Depth=2
	s_or_b32 exec_lo, exec_lo, s29
	s_and_saveexec_b32 s29, s12
	s_cbranch_execz .LBB4_3606
.LBB4_3605:                             ;   in Loop: Header=BB4_2938 Depth=2
	v_bfe_u32 v73, v16, 16, 3
	v_bfe_u32 v76, v16, 19, 4
	v_lshlrev_b32_e32 v77, 8, v16
	v_ffbh_u32_e32 v74, v73
	v_cmp_eq_u32_e32 vcc_lo, 0, v76
	v_min_u32_e32 v74, 32, v74
	v_subrev_nc_u32_e32 v75, 28, v74
	v_sub_nc_u32_e32 v74, 29, v74
	v_lshlrev_b32_sdwa v75, v75, v16 dst_sel:DWORD dst_unused:UNUSED_PAD src0_sel:DWORD src1_sel:WORD_1
	v_cndmask_b32_e32 v74, v76, v74, vcc_lo
	v_and_b32_e32 v75, 7, v75
	v_lshl_add_u32 v74, v74, 23, 0x3b800000
	v_cndmask_b32_e32 v73, v73, v75, vcc_lo
	v_and_b32_e32 v75, 0x80000000, v77
	v_lshlrev_b32_e32 v73, 20, v73
	v_or3_b32 v73, v75, v74, v73
.LBB4_3606:                             ;   in Loop: Header=BB4_2938 Depth=2
	s_or_b32 exec_lo, exec_lo, s29
	v_add_f32_e32 v73, v60, v73
	v_and_b32_e32 v60, 0x7f800000, v73
	v_cmp_ne_u32_e32 vcc_lo, 0x7f800000, v60
	v_mov_b32_e32 v60, 0x80
	s_and_saveexec_b32 s29, vcc_lo
	s_cbranch_execz .LBB4_3614
; %bb.3607:                             ;   in Loop: Header=BB4_2938 Depth=2
	v_mov_b32_e32 v60, 0
	s_mov_b32 s40, exec_lo
	v_cmpx_ne_u32_e32 0, v73
	s_cbranch_execz .LBB4_3613
; %bb.3608:                             ;   in Loop: Header=BB4_2938 Depth=2
	v_bfe_u32 v60, v73, 23, 8
	v_and_b32_e32 v74, 0x7fffff, v73
	v_sub_nc_u32_e32 v75, 0x78, v60
	v_cmp_gt_u32_e32 vcc_lo, 0x79, v60
	v_or_b32_e32 v76, 0x800000, v74
	v_cndmask_b32_e32 v75, 0, v75, vcc_lo
	v_cmp_eq_u32_e32 vcc_lo, 0, v60
	v_add_nc_u32_e32 v60, 0xffffff89, v60
	v_cndmask_b32_e64 v75, v75, 0x77, vcc_lo
	v_cndmask_b32_e32 v74, v76, v74, vcc_lo
	v_cndmask_b32_e64 v60, v60, 0xffffff8a, vcc_lo
	v_lshl_add_u32 v76, 0x100000, v75, -1
	v_lshrrev_b32_e32 v77, v75, v74
	v_lshlrev_b32_e64 v79, v75, 0x80000
	v_add_nc_u32_e32 v75, v75, v60
	v_and_b32_e32 v74, v76, v74
	v_bfe_u32 v78, v77, 20, 1
	v_cmp_eq_u32_e64 s12, v74, v79
	v_add_nc_u32_e32 v76, -1, v78
	v_cndmask_b32_e64 v74, 0, v76, s12
	v_lshrrev_b32_e32 v76, 23, v77
	s_mov_b32 s12, exec_lo
	v_add_nc_u32_e32 v74, v74, v77
	v_xor_b32_e32 v76, 1, v76
	v_and_b32_e32 v60, 0xfffff, v74
	v_add_nc_u32_e32 v74, v60, v77
                                        ; implicit-def: $vgpr60
	v_cmpx_ne_u32_e64 v75, v76
	s_xor_b32 s12, exec_lo, s12
; %bb.3609:                             ;   in Loop: Header=BB4_2938 Depth=2
	v_cmp_lt_u32_e32 vcc_lo, 0xffffff, v74
	v_sub_nc_u32_e32 v60, v75, v76
	v_cndmask_b32_e64 v75, 0, 1, vcc_lo
	v_add_co_ci_u32_e64 v60, null, 0, v60, vcc_lo
	v_lshrrev_b32_e32 v74, v75, v74
; %bb.3610:                             ;   in Loop: Header=BB4_2938 Depth=2
	s_andn2_saveexec_b32 s12, s12
; %bb.3611:                             ;   in Loop: Header=BB4_2938 Depth=2
	v_bfe_u32 v60, v74, 23, 1
; %bb.3612:                             ;   in Loop: Header=BB4_2938 Depth=2
	s_or_b32 exec_lo, exec_lo, s12
	v_lshrrev_b32_e32 v74, 20, v74
	v_min_i32_e32 v75, 15, v60
	v_cmp_gt_i32_e32 vcc_lo, 16, v60
	v_and_b32_sdwa v73, v73, v85 dst_sel:DWORD dst_unused:UNUSED_PAD src0_sel:BYTE_3 src1_sel:DWORD
	v_lshlrev_b32_e32 v75, 3, v75
	v_cndmask_b32_e32 v74, 7, v74, vcc_lo
	v_and_b32_e32 v75, 0xf8, v75
	v_and_b32_e32 v76, 7, v74
	v_or_b32_e32 v60, v60, v74
	v_or3_b32 v73, v75, v73, v76
	v_cmp_ne_u32_e32 vcc_lo, 0, v60
	v_cndmask_b32_e32 v60, 0, v73, vcc_lo
.LBB4_3613:                             ;   in Loop: Header=BB4_2938 Depth=2
	s_or_b32 exec_lo, exec_lo, s40
.LBB4_3614:                             ;   in Loop: Header=BB4_2938 Depth=2
	s_or_b32 exec_lo, exec_lo, s29
	v_cmp_gt_i16_sdwa s29, v63, v84 src0_sel:BYTE_3 src1_sel:DWORD
	s_mov_b32 s12, 0
	s_and_saveexec_b32 s40, s29
	s_xor_b32 s29, exec_lo, s40
	s_cbranch_execz .LBB4_4140
; %bb.3615:                             ;   in Loop: Header=BB4_2938 Depth=2
	v_cmp_eq_u16_sdwa s41, v63, v85 src0_sel:BYTE_3 src1_sel:DWORD
	s_mov_b32 s12, -1
	s_and_saveexec_b32 s40, s41
; %bb.3616:                             ;   in Loop: Header=BB4_2938 Depth=2
	s_xor_b32 s12, exec_lo, -1
; %bb.3617:                             ;   in Loop: Header=BB4_2938 Depth=2
	s_or_b32 exec_lo, exec_lo, s40
	s_and_b32 s12, s12, exec_lo
	s_or_saveexec_b32 s29, s29
	v_mov_b32_e32 v73, 0x7f800001
	s_xor_b32 exec_lo, exec_lo, s29
	s_cbranch_execnz .LBB4_4141
.LBB4_3618:                             ;   in Loop: Header=BB4_2938 Depth=2
	s_or_b32 exec_lo, exec_lo, s29
	s_and_saveexec_b32 s29, s12
	s_cbranch_execz .LBB4_3620
.LBB4_3619:                             ;   in Loop: Header=BB4_2938 Depth=2
	v_bfe_u32 v73, v63, 24, 3
	v_bfe_u32 v76, v63, 27, 4
	v_ffbh_u32_e32 v74, v73
	v_cmp_eq_u32_e32 vcc_lo, 0, v76
	v_min_u32_e32 v74, 32, v74
	v_subrev_nc_u32_e32 v75, 28, v74
	v_sub_nc_u32_e32 v74, 29, v74
	v_lshlrev_b32_sdwa v75, v75, v63 dst_sel:DWORD dst_unused:UNUSED_PAD src0_sel:DWORD src1_sel:BYTE_3
	v_cndmask_b32_e32 v74, v76, v74, vcc_lo
	v_and_b32_e32 v63, 0x80000000, v63
	v_and_b32_e32 v75, 7, v75
	v_lshl_add_u32 v74, v74, 23, 0x3b800000
	v_cndmask_b32_e32 v73, v73, v75, vcc_lo
	v_lshlrev_b32_e32 v73, 20, v73
	v_or3_b32 v73, v63, v74, v73
.LBB4_3620:                             ;   in Loop: Header=BB4_2938 Depth=2
	s_or_b32 exec_lo, exec_lo, s29
	v_cmp_gt_i16_sdwa s29, v16, v84 src0_sel:BYTE_3 src1_sel:DWORD
	s_mov_b32 s12, 0
	s_and_saveexec_b32 s40, s29
	s_xor_b32 s29, exec_lo, s40
	s_cbranch_execz .LBB4_4142
; %bb.3621:                             ;   in Loop: Header=BB4_2938 Depth=2
	v_cmp_eq_u16_sdwa s41, v16, v85 src0_sel:BYTE_3 src1_sel:DWORD
	s_mov_b32 s12, -1
	s_and_saveexec_b32 s40, s41
; %bb.3622:                             ;   in Loop: Header=BB4_2938 Depth=2
	s_xor_b32 s12, exec_lo, -1
; %bb.3623:                             ;   in Loop: Header=BB4_2938 Depth=2
	s_or_b32 exec_lo, exec_lo, s40
	s_and_b32 s12, s12, exec_lo
	s_or_saveexec_b32 s29, s29
	v_mov_b32_e32 v63, 0x7f800001
	s_xor_b32 exec_lo, exec_lo, s29
	s_cbranch_execnz .LBB4_4143
.LBB4_3624:                             ;   in Loop: Header=BB4_2938 Depth=2
	s_or_b32 exec_lo, exec_lo, s29
	s_and_saveexec_b32 s29, s12
	s_cbranch_execz .LBB4_3626
.LBB4_3625:                             ;   in Loop: Header=BB4_2938 Depth=2
	v_bfe_u32 v63, v16, 24, 3
	v_bfe_u32 v76, v16, 27, 4
	v_ffbh_u32_e32 v74, v63
	v_cmp_eq_u32_e32 vcc_lo, 0, v76
	v_min_u32_e32 v74, 32, v74
	v_subrev_nc_u32_e32 v75, 28, v74
	v_sub_nc_u32_e32 v74, 29, v74
	v_lshlrev_b32_sdwa v75, v75, v16 dst_sel:DWORD dst_unused:UNUSED_PAD src0_sel:DWORD src1_sel:BYTE_3
	v_cndmask_b32_e32 v74, v76, v74, vcc_lo
	v_and_b32_e32 v16, 0x80000000, v16
	v_and_b32_e32 v75, 7, v75
	v_lshl_add_u32 v74, v74, 23, 0x3b800000
	v_cndmask_b32_e32 v63, v63, v75, vcc_lo
	v_lshlrev_b32_e32 v63, 20, v63
	v_or3_b32 v63, v16, v74, v63
.LBB4_3626:                             ;   in Loop: Header=BB4_2938 Depth=2
	s_or_b32 exec_lo, exec_lo, s29
	v_add_f32_e32 v63, v73, v63
	v_and_b32_e32 v16, 0x7f800000, v63
	v_cmp_ne_u32_e32 vcc_lo, 0x7f800000, v16
	v_mov_b32_e32 v16, 0x8000
	s_and_saveexec_b32 s29, vcc_lo
	s_cbranch_execz .LBB4_3634
; %bb.3627:                             ;   in Loop: Header=BB4_2938 Depth=2
	v_mov_b32_e32 v16, 0
	s_mov_b32 s40, exec_lo
	v_cmpx_ne_u32_e32 0, v63
	s_cbranch_execz .LBB4_3633
; %bb.3628:                             ;   in Loop: Header=BB4_2938 Depth=2
	v_bfe_u32 v16, v63, 23, 8
	v_and_b32_e32 v73, 0x7fffff, v63
	v_sub_nc_u32_e32 v74, 0x78, v16
	v_cmp_gt_u32_e32 vcc_lo, 0x79, v16
	v_or_b32_e32 v75, 0x800000, v73
	v_cndmask_b32_e32 v74, 0, v74, vcc_lo
	v_cmp_eq_u32_e32 vcc_lo, 0, v16
	v_add_nc_u32_e32 v16, 0xffffff89, v16
	v_cndmask_b32_e64 v74, v74, 0x77, vcc_lo
	v_cndmask_b32_e32 v73, v75, v73, vcc_lo
	v_cndmask_b32_e64 v16, v16, 0xffffff8a, vcc_lo
	v_lshl_add_u32 v75, 0x100000, v74, -1
	v_lshrrev_b32_e32 v76, v74, v73
	v_lshlrev_b32_e64 v78, v74, 0x80000
	v_add_nc_u32_e32 v74, v74, v16
	v_and_b32_e32 v73, v75, v73
	v_bfe_u32 v77, v76, 20, 1
	v_cmp_eq_u32_e64 s12, v73, v78
	v_add_nc_u32_e32 v75, -1, v77
	v_cndmask_b32_e64 v73, 0, v75, s12
	v_lshrrev_b32_e32 v75, 23, v76
	s_mov_b32 s12, exec_lo
	v_add_nc_u32_e32 v73, v73, v76
	v_xor_b32_e32 v75, 1, v75
	v_and_b32_e32 v16, 0xfffff, v73
	v_add_nc_u32_e32 v73, v16, v76
                                        ; implicit-def: $vgpr16
	v_cmpx_ne_u32_e64 v74, v75
	s_xor_b32 s12, exec_lo, s12
; %bb.3629:                             ;   in Loop: Header=BB4_2938 Depth=2
	v_cmp_lt_u32_e32 vcc_lo, 0xffffff, v73
	v_sub_nc_u32_e32 v16, v74, v75
	v_cndmask_b32_e64 v74, 0, 1, vcc_lo
	v_add_co_ci_u32_e64 v16, null, 0, v16, vcc_lo
	v_lshrrev_b32_e32 v73, v74, v73
; %bb.3630:                             ;   in Loop: Header=BB4_2938 Depth=2
	s_andn2_saveexec_b32 s12, s12
; %bb.3631:                             ;   in Loop: Header=BB4_2938 Depth=2
	v_bfe_u32 v16, v73, 23, 1
; %bb.3632:                             ;   in Loop: Header=BB4_2938 Depth=2
	s_or_b32 exec_lo, exec_lo, s12
	v_lshrrev_b32_e32 v73, 20, v73
	v_min_i32_e32 v74, 15, v16
	v_cmp_gt_i32_e32 vcc_lo, 16, v16
	v_and_b32_sdwa v63, v63, v85 dst_sel:DWORD dst_unused:UNUSED_PAD src0_sel:BYTE_3 src1_sel:DWORD
	v_lshlrev_b32_e32 v74, 3, v74
	v_cndmask_b32_e32 v73, 7, v73, vcc_lo
	v_and_b32_e32 v74, 0xf8, v74
	v_and_b32_e32 v75, 7, v73
	v_or_b32_e32 v16, v16, v73
	v_or3_b32 v63, v63, v74, v75
	v_cmp_ne_u32_e32 vcc_lo, 0, v16
	v_lshlrev_b32_e32 v63, 8, v63
	v_cndmask_b32_e32 v16, 0, v63, vcc_lo
.LBB4_3633:                             ;   in Loop: Header=BB4_2938 Depth=2
	s_or_b32 exec_lo, exec_lo, s40
.LBB4_3634:                             ;   in Loop: Header=BB4_2938 Depth=2
	s_or_b32 exec_lo, exec_lo, s29
	v_or_b32_e32 v63, v61, v57
	s_mov_b32 s12, 0
	v_cmp_gt_i16_sdwa s29, v63, v84 src0_sel:BYTE_0 src1_sel:DWORD
	s_and_saveexec_b32 s40, s29
	s_xor_b32 s29, exec_lo, s40
	s_cbranch_execz .LBB4_4144
; %bb.3635:                             ;   in Loop: Header=BB4_2938 Depth=2
	v_cmp_eq_u16_sdwa s41, v63, v85 src0_sel:BYTE_0 src1_sel:DWORD
	s_mov_b32 s12, -1
	s_and_saveexec_b32 s40, s41
; %bb.3636:                             ;   in Loop: Header=BB4_2938 Depth=2
	s_xor_b32 s12, exec_lo, -1
; %bb.3637:                             ;   in Loop: Header=BB4_2938 Depth=2
	s_or_b32 exec_lo, exec_lo, s40
	s_and_b32 s12, s12, exec_lo
	s_or_saveexec_b32 s29, s29
	v_mov_b32_e32 v57, 0x7f800001
	s_xor_b32 exec_lo, exec_lo, s29
	s_cbranch_execnz .LBB4_4145
.LBB4_3638:                             ;   in Loop: Header=BB4_2938 Depth=2
	s_or_b32 exec_lo, exec_lo, s29
	s_and_saveexec_b32 s29, s12
	s_cbranch_execz .LBB4_3640
.LBB4_3639:                             ;   in Loop: Header=BB4_2938 Depth=2
	v_and_b32_e32 v57, 7, v63
	v_bfe_u32 v74, v63, 3, 4
	v_lshlrev_b32_e32 v75, 24, v63
	v_ffbh_u32_e32 v61, v57
	v_cmp_eq_u32_e32 vcc_lo, 0, v74
	v_min_u32_e32 v61, 32, v61
	v_subrev_nc_u32_e32 v73, 28, v61
	v_sub_nc_u32_e32 v61, 29, v61
	v_lshlrev_b32_e32 v73, v73, v63
	v_cndmask_b32_e32 v61, v74, v61, vcc_lo
	v_and_b32_e32 v73, 7, v73
	v_lshl_add_u32 v61, v61, 23, 0x3b800000
	v_cndmask_b32_e32 v57, v57, v73, vcc_lo
	v_and_b32_e32 v73, 0x80000000, v75
	v_lshlrev_b32_e32 v57, 20, v57
	v_or3_b32 v57, v73, v61, v57
.LBB4_3640:                             ;   in Loop: Header=BB4_2938 Depth=2
	s_or_b32 exec_lo, exec_lo, s29
	v_cmp_gt_i16_sdwa s29, v17, v84 src0_sel:BYTE_0 src1_sel:DWORD
	s_mov_b32 s12, 0
	s_and_saveexec_b32 s40, s29
	s_xor_b32 s29, exec_lo, s40
	s_cbranch_execz .LBB4_4146
; %bb.3641:                             ;   in Loop: Header=BB4_2938 Depth=2
	v_cmp_eq_u16_sdwa s41, v17, v85 src0_sel:BYTE_0 src1_sel:DWORD
	s_mov_b32 s12, -1
	s_and_saveexec_b32 s40, s41
; %bb.3642:                             ;   in Loop: Header=BB4_2938 Depth=2
	s_xor_b32 s12, exec_lo, -1
; %bb.3643:                             ;   in Loop: Header=BB4_2938 Depth=2
	s_or_b32 exec_lo, exec_lo, s40
	s_and_b32 s12, s12, exec_lo
	s_or_saveexec_b32 s29, s29
	v_mov_b32_e32 v61, 0x7f800001
	s_xor_b32 exec_lo, exec_lo, s29
	s_cbranch_execnz .LBB4_4147
.LBB4_3644:                             ;   in Loop: Header=BB4_2938 Depth=2
	s_or_b32 exec_lo, exec_lo, s29
	s_and_saveexec_b32 s29, s12
	s_cbranch_execz .LBB4_3646
.LBB4_3645:                             ;   in Loop: Header=BB4_2938 Depth=2
	v_and_b32_e32 v61, 7, v17
	v_bfe_u32 v75, v17, 3, 4
	v_lshlrev_b32_e32 v76, 24, v17
	v_ffbh_u32_e32 v73, v61
	v_cmp_eq_u32_e32 vcc_lo, 0, v75
	v_min_u32_e32 v73, 32, v73
	v_subrev_nc_u32_e32 v74, 28, v73
	v_sub_nc_u32_e32 v73, 29, v73
	v_lshlrev_b32_e32 v74, v74, v17
	v_cndmask_b32_e32 v73, v75, v73, vcc_lo
	v_and_b32_e32 v74, 7, v74
	v_lshl_add_u32 v73, v73, 23, 0x3b800000
	v_cndmask_b32_e32 v61, v61, v74, vcc_lo
	v_and_b32_e32 v74, 0x80000000, v76
	v_lshlrev_b32_e32 v61, 20, v61
	v_or3_b32 v61, v74, v73, v61
.LBB4_3646:                             ;   in Loop: Header=BB4_2938 Depth=2
	s_or_b32 exec_lo, exec_lo, s29
	v_add_f32_e32 v61, v57, v61
	v_and_b32_e32 v57, 0x7f800000, v61
	v_cmp_ne_u32_e32 vcc_lo, 0x7f800000, v57
	v_mov_b32_e32 v57, 0x80
	s_and_saveexec_b32 s29, vcc_lo
	s_cbranch_execz .LBB4_3654
; %bb.3647:                             ;   in Loop: Header=BB4_2938 Depth=2
	v_mov_b32_e32 v57, 0
	s_mov_b32 s40, exec_lo
	v_cmpx_ne_u32_e32 0, v61
	s_cbranch_execz .LBB4_3653
; %bb.3648:                             ;   in Loop: Header=BB4_2938 Depth=2
	v_bfe_u32 v57, v61, 23, 8
	v_and_b32_e32 v73, 0x7fffff, v61
	v_sub_nc_u32_e32 v74, 0x78, v57
	v_cmp_gt_u32_e32 vcc_lo, 0x79, v57
	v_or_b32_e32 v75, 0x800000, v73
	v_cndmask_b32_e32 v74, 0, v74, vcc_lo
	v_cmp_eq_u32_e32 vcc_lo, 0, v57
	v_add_nc_u32_e32 v57, 0xffffff89, v57
	v_cndmask_b32_e64 v74, v74, 0x77, vcc_lo
	v_cndmask_b32_e32 v73, v75, v73, vcc_lo
	v_cndmask_b32_e64 v57, v57, 0xffffff8a, vcc_lo
	v_lshl_add_u32 v75, 0x100000, v74, -1
	v_lshrrev_b32_e32 v76, v74, v73
	v_lshlrev_b32_e64 v78, v74, 0x80000
	v_add_nc_u32_e32 v74, v74, v57
	v_and_b32_e32 v73, v75, v73
	v_bfe_u32 v77, v76, 20, 1
	v_cmp_eq_u32_e64 s12, v73, v78
	v_add_nc_u32_e32 v75, -1, v77
	v_cndmask_b32_e64 v73, 0, v75, s12
	v_lshrrev_b32_e32 v75, 23, v76
	s_mov_b32 s12, exec_lo
	v_add_nc_u32_e32 v73, v73, v76
	v_xor_b32_e32 v75, 1, v75
	v_and_b32_e32 v57, 0xfffff, v73
	v_add_nc_u32_e32 v73, v57, v76
                                        ; implicit-def: $vgpr57
	v_cmpx_ne_u32_e64 v74, v75
	s_xor_b32 s12, exec_lo, s12
; %bb.3649:                             ;   in Loop: Header=BB4_2938 Depth=2
	v_cmp_lt_u32_e32 vcc_lo, 0xffffff, v73
	v_sub_nc_u32_e32 v57, v74, v75
	v_cndmask_b32_e64 v74, 0, 1, vcc_lo
	v_add_co_ci_u32_e64 v57, null, 0, v57, vcc_lo
	v_lshrrev_b32_e32 v73, v74, v73
; %bb.3650:                             ;   in Loop: Header=BB4_2938 Depth=2
	s_andn2_saveexec_b32 s12, s12
; %bb.3651:                             ;   in Loop: Header=BB4_2938 Depth=2
	v_bfe_u32 v57, v73, 23, 1
; %bb.3652:                             ;   in Loop: Header=BB4_2938 Depth=2
	s_or_b32 exec_lo, exec_lo, s12
	v_lshrrev_b32_e32 v73, 20, v73
	v_min_i32_e32 v74, 15, v57
	v_cmp_gt_i32_e32 vcc_lo, 16, v57
	v_and_b32_sdwa v61, v61, v85 dst_sel:DWORD dst_unused:UNUSED_PAD src0_sel:BYTE_3 src1_sel:DWORD
	v_lshlrev_b32_e32 v74, 3, v74
	v_cndmask_b32_e32 v73, 7, v73, vcc_lo
	v_and_b32_e32 v74, 0xf8, v74
	v_and_b32_e32 v75, 7, v73
	v_or_b32_e32 v57, v57, v73
	v_or3_b32 v61, v74, v61, v75
	v_cmp_ne_u32_e32 vcc_lo, 0, v57
	v_cndmask_b32_e32 v57, 0, v61, vcc_lo
.LBB4_3653:                             ;   in Loop: Header=BB4_2938 Depth=2
	s_or_b32 exec_lo, exec_lo, s40
.LBB4_3654:                             ;   in Loop: Header=BB4_2938 Depth=2
	s_or_b32 exec_lo, exec_lo, s29
	v_cmp_gt_i16_sdwa s29, v63, v84 src0_sel:BYTE_1 src1_sel:DWORD
	s_mov_b32 s12, 0
	s_and_saveexec_b32 s40, s29
	s_xor_b32 s29, exec_lo, s40
	s_cbranch_execz .LBB4_4148
; %bb.3655:                             ;   in Loop: Header=BB4_2938 Depth=2
	v_cmp_eq_u16_sdwa s41, v63, v85 src0_sel:BYTE_1 src1_sel:DWORD
	s_mov_b32 s12, -1
	s_and_saveexec_b32 s40, s41
; %bb.3656:                             ;   in Loop: Header=BB4_2938 Depth=2
	s_xor_b32 s12, exec_lo, -1
; %bb.3657:                             ;   in Loop: Header=BB4_2938 Depth=2
	s_or_b32 exec_lo, exec_lo, s40
	s_and_b32 s12, s12, exec_lo
	s_or_saveexec_b32 s29, s29
	v_mov_b32_e32 v61, 0x7f800001
	s_xor_b32 exec_lo, exec_lo, s29
	s_cbranch_execnz .LBB4_4149
.LBB4_3658:                             ;   in Loop: Header=BB4_2938 Depth=2
	s_or_b32 exec_lo, exec_lo, s29
	s_and_saveexec_b32 s29, s12
	s_cbranch_execz .LBB4_3660
.LBB4_3659:                             ;   in Loop: Header=BB4_2938 Depth=2
	v_and_b32_sdwa v61, v86, v63 dst_sel:DWORD dst_unused:UNUSED_PAD src0_sel:DWORD src1_sel:BYTE_1
	v_and_b32_e32 v73, 7, v61
	v_bfe_u32 v76, v61, 3, 4
	v_ffbh_u32_e32 v74, v73
	v_cmp_eq_u32_e32 vcc_lo, 0, v76
	v_min_u32_e32 v74, 32, v74
	v_subrev_nc_u32_e32 v75, 28, v74
	v_sub_nc_u32_e32 v74, 29, v74
	v_lshlrev_b32_e32 v61, v75, v61
	v_lshlrev_b32_sdwa v75, v87, v63 dst_sel:DWORD dst_unused:UNUSED_PAD src0_sel:DWORD src1_sel:BYTE_1
	v_cndmask_b32_e32 v74, v76, v74, vcc_lo
	v_and_b32_e32 v61, 7, v61
	v_lshl_add_u32 v74, v74, 23, 0x3b800000
	v_cndmask_b32_e32 v61, v73, v61, vcc_lo
	v_and_b32_e32 v73, 0x80000000, v75
	v_lshlrev_b32_e32 v61, 20, v61
	v_or3_b32 v61, v73, v74, v61
.LBB4_3660:                             ;   in Loop: Header=BB4_2938 Depth=2
	s_or_b32 exec_lo, exec_lo, s29
	v_cmp_gt_i16_sdwa s29, v17, v84 src0_sel:BYTE_1 src1_sel:DWORD
	s_mov_b32 s12, 0
	s_and_saveexec_b32 s40, s29
	s_xor_b32 s29, exec_lo, s40
	s_cbranch_execz .LBB4_4150
; %bb.3661:                             ;   in Loop: Header=BB4_2938 Depth=2
	v_cmp_eq_u16_sdwa s41, v17, v85 src0_sel:BYTE_1 src1_sel:DWORD
	s_mov_b32 s12, -1
	s_and_saveexec_b32 s40, s41
; %bb.3662:                             ;   in Loop: Header=BB4_2938 Depth=2
	s_xor_b32 s12, exec_lo, -1
; %bb.3663:                             ;   in Loop: Header=BB4_2938 Depth=2
	s_or_b32 exec_lo, exec_lo, s40
	s_and_b32 s12, s12, exec_lo
	s_or_saveexec_b32 s29, s29
	v_mov_b32_e32 v73, 0x7f800001
	s_xor_b32 exec_lo, exec_lo, s29
	s_cbranch_execnz .LBB4_4151
.LBB4_3664:                             ;   in Loop: Header=BB4_2938 Depth=2
	s_or_b32 exec_lo, exec_lo, s29
	s_and_saveexec_b32 s29, s12
	s_cbranch_execz .LBB4_3666
.LBB4_3665:                             ;   in Loop: Header=BB4_2938 Depth=2
	v_and_b32_sdwa v73, v86, v17 dst_sel:DWORD dst_unused:UNUSED_PAD src0_sel:DWORD src1_sel:BYTE_1
	v_and_b32_e32 v74, 7, v73
	v_bfe_u32 v77, v73, 3, 4
	v_ffbh_u32_e32 v75, v74
	v_cmp_eq_u32_e32 vcc_lo, 0, v77
	v_min_u32_e32 v75, 32, v75
	v_subrev_nc_u32_e32 v76, 28, v75
	v_sub_nc_u32_e32 v75, 29, v75
	v_lshlrev_b32_e32 v73, v76, v73
	v_lshlrev_b32_sdwa v76, v87, v17 dst_sel:DWORD dst_unused:UNUSED_PAD src0_sel:DWORD src1_sel:BYTE_1
	v_cndmask_b32_e32 v75, v77, v75, vcc_lo
	v_and_b32_e32 v73, 7, v73
	v_lshl_add_u32 v75, v75, 23, 0x3b800000
	v_cndmask_b32_e32 v73, v74, v73, vcc_lo
	v_and_b32_e32 v74, 0x80000000, v76
	v_lshlrev_b32_e32 v73, 20, v73
	v_or3_b32 v73, v74, v75, v73
.LBB4_3666:                             ;   in Loop: Header=BB4_2938 Depth=2
	s_or_b32 exec_lo, exec_lo, s29
	v_add_f32_e32 v73, v61, v73
	v_and_b32_e32 v61, 0x7f800000, v73
	v_cmp_ne_u32_e32 vcc_lo, 0x7f800000, v61
	v_mov_b32_e32 v61, 0x8000
	s_and_saveexec_b32 s29, vcc_lo
	s_cbranch_execz .LBB4_3674
; %bb.3667:                             ;   in Loop: Header=BB4_2938 Depth=2
	v_mov_b32_e32 v61, 0
	s_mov_b32 s40, exec_lo
	v_cmpx_ne_u32_e32 0, v73
	s_cbranch_execz .LBB4_3673
; %bb.3668:                             ;   in Loop: Header=BB4_2938 Depth=2
	v_bfe_u32 v61, v73, 23, 8
	v_and_b32_e32 v74, 0x7fffff, v73
	v_sub_nc_u32_e32 v75, 0x78, v61
	v_cmp_gt_u32_e32 vcc_lo, 0x79, v61
	v_or_b32_e32 v76, 0x800000, v74
	v_cndmask_b32_e32 v75, 0, v75, vcc_lo
	v_cmp_eq_u32_e32 vcc_lo, 0, v61
	v_add_nc_u32_e32 v61, 0xffffff89, v61
	v_cndmask_b32_e64 v75, v75, 0x77, vcc_lo
	v_cndmask_b32_e32 v74, v76, v74, vcc_lo
	v_cndmask_b32_e64 v61, v61, 0xffffff8a, vcc_lo
	v_lshl_add_u32 v76, 0x100000, v75, -1
	v_lshrrev_b32_e32 v77, v75, v74
	v_lshlrev_b32_e64 v79, v75, 0x80000
	v_add_nc_u32_e32 v75, v75, v61
	v_and_b32_e32 v74, v76, v74
	v_bfe_u32 v78, v77, 20, 1
	v_cmp_eq_u32_e64 s12, v74, v79
	v_add_nc_u32_e32 v76, -1, v78
	v_cndmask_b32_e64 v74, 0, v76, s12
	v_lshrrev_b32_e32 v76, 23, v77
	s_mov_b32 s12, exec_lo
	v_add_nc_u32_e32 v74, v74, v77
	v_xor_b32_e32 v76, 1, v76
	v_and_b32_e32 v61, 0xfffff, v74
	v_add_nc_u32_e32 v74, v61, v77
                                        ; implicit-def: $vgpr61
	v_cmpx_ne_u32_e64 v75, v76
	s_xor_b32 s12, exec_lo, s12
; %bb.3669:                             ;   in Loop: Header=BB4_2938 Depth=2
	v_cmp_lt_u32_e32 vcc_lo, 0xffffff, v74
	v_sub_nc_u32_e32 v61, v75, v76
	v_cndmask_b32_e64 v75, 0, 1, vcc_lo
	v_add_co_ci_u32_e64 v61, null, 0, v61, vcc_lo
	v_lshrrev_b32_e32 v74, v75, v74
; %bb.3670:                             ;   in Loop: Header=BB4_2938 Depth=2
	s_andn2_saveexec_b32 s12, s12
; %bb.3671:                             ;   in Loop: Header=BB4_2938 Depth=2
	v_bfe_u32 v61, v74, 23, 1
; %bb.3672:                             ;   in Loop: Header=BB4_2938 Depth=2
	s_or_b32 exec_lo, exec_lo, s12
	v_lshrrev_b32_e32 v74, 20, v74
	v_min_i32_e32 v75, 15, v61
	v_cmp_gt_i32_e32 vcc_lo, 16, v61
	v_and_b32_sdwa v73, v73, v85 dst_sel:DWORD dst_unused:UNUSED_PAD src0_sel:BYTE_3 src1_sel:DWORD
	v_lshlrev_b32_e32 v75, 3, v75
	v_cndmask_b32_e32 v74, 7, v74, vcc_lo
	v_and_b32_e32 v75, 0xf8, v75
	v_and_b32_e32 v76, 7, v74
	v_or_b32_e32 v61, v61, v74
	v_or3_b32 v73, v73, v75, v76
	v_cmp_ne_u32_e32 vcc_lo, 0, v61
	v_lshlrev_b32_e32 v73, 8, v73
	v_cndmask_b32_e32 v61, 0, v73, vcc_lo
.LBB4_3673:                             ;   in Loop: Header=BB4_2938 Depth=2
	s_or_b32 exec_lo, exec_lo, s40
.LBB4_3674:                             ;   in Loop: Header=BB4_2938 Depth=2
	s_or_b32 exec_lo, exec_lo, s29
	v_or_b32_e32 v58, v58, v46
	s_mov_b32 s12, 0
	v_cmp_gt_i16_sdwa s29, v58, v84 src0_sel:BYTE_0 src1_sel:DWORD
	s_and_saveexec_b32 s40, s29
	s_xor_b32 s29, exec_lo, s40
	s_cbranch_execz .LBB4_4152
; %bb.3675:                             ;   in Loop: Header=BB4_2938 Depth=2
	v_cmp_eq_u16_sdwa s41, v58, v85 src0_sel:BYTE_0 src1_sel:DWORD
	s_mov_b32 s12, -1
	s_and_saveexec_b32 s40, s41
; %bb.3676:                             ;   in Loop: Header=BB4_2938 Depth=2
	s_xor_b32 s12, exec_lo, -1
; %bb.3677:                             ;   in Loop: Header=BB4_2938 Depth=2
	s_or_b32 exec_lo, exec_lo, s40
	s_and_b32 s12, s12, exec_lo
	s_or_saveexec_b32 s29, s29
	v_mov_b32_e32 v46, 0x7f800001
	s_xor_b32 exec_lo, exec_lo, s29
	s_cbranch_execnz .LBB4_4153
.LBB4_3678:                             ;   in Loop: Header=BB4_2938 Depth=2
	s_or_b32 exec_lo, exec_lo, s29
	v_lshl_or_b32 v58, v58, 16, v63
	s_and_saveexec_b32 s29, s12
	s_cbranch_execz .LBB4_3680
.LBB4_3679:                             ;   in Loop: Header=BB4_2938 Depth=2
	v_bfe_u32 v46, v58, 16, 3
	v_bfe_u32 v74, v58, 19, 4
	v_lshlrev_b32_e32 v75, 8, v58
	v_ffbh_u32_e32 v63, v46
	v_cmp_eq_u32_e32 vcc_lo, 0, v74
	v_min_u32_e32 v63, 32, v63
	v_subrev_nc_u32_e32 v73, 28, v63
	v_sub_nc_u32_e32 v63, 29, v63
	v_lshlrev_b32_sdwa v73, v73, v58 dst_sel:DWORD dst_unused:UNUSED_PAD src0_sel:DWORD src1_sel:WORD_1
	v_cndmask_b32_e32 v63, v74, v63, vcc_lo
	v_and_b32_e32 v73, 7, v73
	v_lshl_add_u32 v63, v63, 23, 0x3b800000
	v_cndmask_b32_e32 v46, v46, v73, vcc_lo
	v_and_b32_e32 v73, 0x80000000, v75
	v_lshlrev_b32_e32 v46, 20, v46
	v_or3_b32 v46, v73, v63, v46
.LBB4_3680:                             ;   in Loop: Header=BB4_2938 Depth=2
	s_or_b32 exec_lo, exec_lo, s29
	v_and_b32_sdwa v73, v17, v96 dst_sel:DWORD dst_unused:UNUSED_PAD src0_sel:WORD_1 src1_sel:DWORD
	s_mov_b32 s12, 0
	s_mov_b32 s29, exec_lo
	v_cmpx_lt_i16_e32 0x7f, v73
	s_xor_b32 s29, exec_lo, s29
	s_cbranch_execz .LBB4_4154
; %bb.3681:                             ;   in Loop: Header=BB4_2938 Depth=2
	s_mov_b32 s12, -1
	s_mov_b32 s40, exec_lo
	v_cmpx_eq_u16_e32 0x80, v73
; %bb.3682:                             ;   in Loop: Header=BB4_2938 Depth=2
	s_xor_b32 s12, exec_lo, -1
; %bb.3683:                             ;   in Loop: Header=BB4_2938 Depth=2
	s_or_b32 exec_lo, exec_lo, s40
	s_and_b32 s12, s12, exec_lo
                                        ; implicit-def: $vgpr73
	s_or_saveexec_b32 s29, s29
	v_mov_b32_e32 v63, 0x7f800001
	s_xor_b32 exec_lo, exec_lo, s29
	s_cbranch_execnz .LBB4_4155
.LBB4_3684:                             ;   in Loop: Header=BB4_2938 Depth=2
	s_or_b32 exec_lo, exec_lo, s29
	s_and_saveexec_b32 s29, s12
	s_cbranch_execz .LBB4_3686
.LBB4_3685:                             ;   in Loop: Header=BB4_2938 Depth=2
	v_bfe_u32 v63, v17, 16, 3
	v_bfe_u32 v75, v17, 19, 4
	v_lshlrev_b32_e32 v76, 8, v17
	v_ffbh_u32_e32 v73, v63
	v_cmp_eq_u32_e32 vcc_lo, 0, v75
	v_min_u32_e32 v73, 32, v73
	v_subrev_nc_u32_e32 v74, 28, v73
	v_sub_nc_u32_e32 v73, 29, v73
	v_lshlrev_b32_sdwa v74, v74, v17 dst_sel:DWORD dst_unused:UNUSED_PAD src0_sel:DWORD src1_sel:WORD_1
	v_cndmask_b32_e32 v73, v75, v73, vcc_lo
	v_and_b32_e32 v74, 7, v74
	v_lshl_add_u32 v73, v73, 23, 0x3b800000
	v_cndmask_b32_e32 v63, v63, v74, vcc_lo
	v_and_b32_e32 v74, 0x80000000, v76
	v_lshlrev_b32_e32 v63, 20, v63
	v_or3_b32 v63, v74, v73, v63
.LBB4_3686:                             ;   in Loop: Header=BB4_2938 Depth=2
	s_or_b32 exec_lo, exec_lo, s29
	v_add_f32_e32 v63, v46, v63
	v_and_b32_e32 v46, 0x7f800000, v63
	v_cmp_ne_u32_e32 vcc_lo, 0x7f800000, v46
	v_mov_b32_e32 v46, 0x80
	s_and_saveexec_b32 s29, vcc_lo
	s_cbranch_execz .LBB4_3694
; %bb.3687:                             ;   in Loop: Header=BB4_2938 Depth=2
	v_mov_b32_e32 v46, 0
	s_mov_b32 s40, exec_lo
	v_cmpx_ne_u32_e32 0, v63
	s_cbranch_execz .LBB4_3693
; %bb.3688:                             ;   in Loop: Header=BB4_2938 Depth=2
	v_bfe_u32 v46, v63, 23, 8
	v_and_b32_e32 v73, 0x7fffff, v63
	v_sub_nc_u32_e32 v74, 0x78, v46
	v_cmp_gt_u32_e32 vcc_lo, 0x79, v46
	v_or_b32_e32 v75, 0x800000, v73
	v_cndmask_b32_e32 v74, 0, v74, vcc_lo
	v_cmp_eq_u32_e32 vcc_lo, 0, v46
	v_add_nc_u32_e32 v46, 0xffffff89, v46
	v_cndmask_b32_e64 v74, v74, 0x77, vcc_lo
	v_cndmask_b32_e32 v73, v75, v73, vcc_lo
	v_cndmask_b32_e64 v46, v46, 0xffffff8a, vcc_lo
	v_lshl_add_u32 v75, 0x100000, v74, -1
	v_lshrrev_b32_e32 v76, v74, v73
	v_lshlrev_b32_e64 v78, v74, 0x80000
	v_add_nc_u32_e32 v74, v74, v46
	v_and_b32_e32 v73, v75, v73
	v_bfe_u32 v77, v76, 20, 1
	v_cmp_eq_u32_e64 s12, v73, v78
	v_add_nc_u32_e32 v75, -1, v77
	v_cndmask_b32_e64 v73, 0, v75, s12
	v_lshrrev_b32_e32 v75, 23, v76
	s_mov_b32 s12, exec_lo
	v_add_nc_u32_e32 v73, v73, v76
	v_xor_b32_e32 v75, 1, v75
	v_and_b32_e32 v46, 0xfffff, v73
	v_add_nc_u32_e32 v73, v46, v76
                                        ; implicit-def: $vgpr46
	v_cmpx_ne_u32_e64 v74, v75
	s_xor_b32 s12, exec_lo, s12
; %bb.3689:                             ;   in Loop: Header=BB4_2938 Depth=2
	v_cmp_lt_u32_e32 vcc_lo, 0xffffff, v73
	v_sub_nc_u32_e32 v46, v74, v75
	v_cndmask_b32_e64 v74, 0, 1, vcc_lo
	v_add_co_ci_u32_e64 v46, null, 0, v46, vcc_lo
	v_lshrrev_b32_e32 v73, v74, v73
; %bb.3690:                             ;   in Loop: Header=BB4_2938 Depth=2
	s_andn2_saveexec_b32 s12, s12
; %bb.3691:                             ;   in Loop: Header=BB4_2938 Depth=2
	v_bfe_u32 v46, v73, 23, 1
; %bb.3692:                             ;   in Loop: Header=BB4_2938 Depth=2
	s_or_b32 exec_lo, exec_lo, s12
	v_lshrrev_b32_e32 v73, 20, v73
	v_min_i32_e32 v74, 15, v46
	v_cmp_gt_i32_e32 vcc_lo, 16, v46
	v_and_b32_sdwa v63, v63, v85 dst_sel:DWORD dst_unused:UNUSED_PAD src0_sel:BYTE_3 src1_sel:DWORD
	v_lshlrev_b32_e32 v74, 3, v74
	v_cndmask_b32_e32 v73, 7, v73, vcc_lo
	v_and_b32_e32 v74, 0xf8, v74
	v_and_b32_e32 v75, 7, v73
	v_or_b32_e32 v46, v46, v73
	v_or3_b32 v63, v74, v63, v75
	v_cmp_ne_u32_e32 vcc_lo, 0, v46
	v_cndmask_b32_e32 v46, 0, v63, vcc_lo
.LBB4_3693:                             ;   in Loop: Header=BB4_2938 Depth=2
	s_or_b32 exec_lo, exec_lo, s40
.LBB4_3694:                             ;   in Loop: Header=BB4_2938 Depth=2
	s_or_b32 exec_lo, exec_lo, s29
	v_cmp_gt_i16_sdwa s29, v58, v84 src0_sel:BYTE_3 src1_sel:DWORD
	s_mov_b32 s12, 0
	s_and_saveexec_b32 s40, s29
	s_xor_b32 s29, exec_lo, s40
	s_cbranch_execz .LBB4_4156
; %bb.3695:                             ;   in Loop: Header=BB4_2938 Depth=2
	v_cmp_eq_u16_sdwa s41, v58, v85 src0_sel:BYTE_3 src1_sel:DWORD
	s_mov_b32 s12, -1
	s_and_saveexec_b32 s40, s41
; %bb.3696:                             ;   in Loop: Header=BB4_2938 Depth=2
	s_xor_b32 s12, exec_lo, -1
; %bb.3697:                             ;   in Loop: Header=BB4_2938 Depth=2
	s_or_b32 exec_lo, exec_lo, s40
	s_and_b32 s12, s12, exec_lo
	s_or_saveexec_b32 s29, s29
	v_mov_b32_e32 v63, 0x7f800001
	s_xor_b32 exec_lo, exec_lo, s29
	s_cbranch_execnz .LBB4_4157
.LBB4_3698:                             ;   in Loop: Header=BB4_2938 Depth=2
	s_or_b32 exec_lo, exec_lo, s29
	s_and_saveexec_b32 s29, s12
	s_cbranch_execz .LBB4_3700
.LBB4_3699:                             ;   in Loop: Header=BB4_2938 Depth=2
	v_bfe_u32 v63, v58, 24, 3
	v_bfe_u32 v75, v58, 27, 4
	v_ffbh_u32_e32 v73, v63
	v_cmp_eq_u32_e32 vcc_lo, 0, v75
	v_min_u32_e32 v73, 32, v73
	v_subrev_nc_u32_e32 v74, 28, v73
	v_sub_nc_u32_e32 v73, 29, v73
	v_lshlrev_b32_sdwa v74, v74, v58 dst_sel:DWORD dst_unused:UNUSED_PAD src0_sel:DWORD src1_sel:BYTE_3
	v_cndmask_b32_e32 v73, v75, v73, vcc_lo
	v_and_b32_e32 v58, 0x80000000, v58
	v_and_b32_e32 v74, 7, v74
	v_lshl_add_u32 v73, v73, 23, 0x3b800000
	v_cndmask_b32_e32 v63, v63, v74, vcc_lo
	v_lshlrev_b32_e32 v63, 20, v63
	v_or3_b32 v63, v58, v73, v63
.LBB4_3700:                             ;   in Loop: Header=BB4_2938 Depth=2
	s_or_b32 exec_lo, exec_lo, s29
	v_cmp_gt_i16_sdwa s29, v17, v84 src0_sel:BYTE_3 src1_sel:DWORD
	s_mov_b32 s12, 0
	s_and_saveexec_b32 s40, s29
	s_xor_b32 s29, exec_lo, s40
	s_cbranch_execz .LBB4_4158
; %bb.3701:                             ;   in Loop: Header=BB4_2938 Depth=2
	v_cmp_eq_u16_sdwa s41, v17, v85 src0_sel:BYTE_3 src1_sel:DWORD
	s_mov_b32 s12, -1
	s_and_saveexec_b32 s40, s41
; %bb.3702:                             ;   in Loop: Header=BB4_2938 Depth=2
	s_xor_b32 s12, exec_lo, -1
; %bb.3703:                             ;   in Loop: Header=BB4_2938 Depth=2
	s_or_b32 exec_lo, exec_lo, s40
	s_and_b32 s12, s12, exec_lo
	s_or_saveexec_b32 s29, s29
	v_mov_b32_e32 v58, 0x7f800001
	s_xor_b32 exec_lo, exec_lo, s29
	s_cbranch_execnz .LBB4_4159
.LBB4_3704:                             ;   in Loop: Header=BB4_2938 Depth=2
	s_or_b32 exec_lo, exec_lo, s29
	s_and_saveexec_b32 s29, s12
	s_cbranch_execz .LBB4_3706
.LBB4_3705:                             ;   in Loop: Header=BB4_2938 Depth=2
	v_bfe_u32 v58, v17, 24, 3
	v_bfe_u32 v75, v17, 27, 4
	v_ffbh_u32_e32 v73, v58
	v_cmp_eq_u32_e32 vcc_lo, 0, v75
	v_min_u32_e32 v73, 32, v73
	v_subrev_nc_u32_e32 v74, 28, v73
	v_sub_nc_u32_e32 v73, 29, v73
	v_lshlrev_b32_sdwa v74, v74, v17 dst_sel:DWORD dst_unused:UNUSED_PAD src0_sel:DWORD src1_sel:BYTE_3
	v_cndmask_b32_e32 v73, v75, v73, vcc_lo
	v_and_b32_e32 v17, 0x80000000, v17
	v_and_b32_e32 v74, 7, v74
	v_lshl_add_u32 v73, v73, 23, 0x3b800000
	v_cndmask_b32_e32 v58, v58, v74, vcc_lo
	v_lshlrev_b32_e32 v58, 20, v58
	v_or3_b32 v58, v17, v73, v58
.LBB4_3706:                             ;   in Loop: Header=BB4_2938 Depth=2
	s_or_b32 exec_lo, exec_lo, s29
	v_add_f32_e32 v58, v63, v58
	v_and_b32_e32 v17, 0x7f800000, v58
	v_cmp_ne_u32_e32 vcc_lo, 0x7f800000, v17
	v_mov_b32_e32 v17, 0x8000
	s_and_saveexec_b32 s29, vcc_lo
	s_cbranch_execz .LBB4_3714
; %bb.3707:                             ;   in Loop: Header=BB4_2938 Depth=2
	v_mov_b32_e32 v17, 0
	s_mov_b32 s40, exec_lo
	v_cmpx_ne_u32_e32 0, v58
	s_cbranch_execz .LBB4_3713
; %bb.3708:                             ;   in Loop: Header=BB4_2938 Depth=2
	v_bfe_u32 v17, v58, 23, 8
	v_and_b32_e32 v63, 0x7fffff, v58
	v_sub_nc_u32_e32 v73, 0x78, v17
	v_cmp_gt_u32_e32 vcc_lo, 0x79, v17
	v_or_b32_e32 v74, 0x800000, v63
	v_cndmask_b32_e32 v73, 0, v73, vcc_lo
	v_cmp_eq_u32_e32 vcc_lo, 0, v17
	v_add_nc_u32_e32 v17, 0xffffff89, v17
	v_cndmask_b32_e64 v73, v73, 0x77, vcc_lo
	v_cndmask_b32_e32 v63, v74, v63, vcc_lo
	v_cndmask_b32_e64 v17, v17, 0xffffff8a, vcc_lo
	v_lshl_add_u32 v74, 0x100000, v73, -1
	v_lshrrev_b32_e32 v75, v73, v63
	v_lshlrev_b32_e64 v77, v73, 0x80000
	v_add_nc_u32_e32 v73, v73, v17
	v_and_b32_e32 v63, v74, v63
	v_bfe_u32 v76, v75, 20, 1
	v_cmp_eq_u32_e64 s12, v63, v77
	v_add_nc_u32_e32 v74, -1, v76
	v_cndmask_b32_e64 v63, 0, v74, s12
	v_lshrrev_b32_e32 v74, 23, v75
	s_mov_b32 s12, exec_lo
	v_add_nc_u32_e32 v63, v63, v75
	v_xor_b32_e32 v74, 1, v74
	v_and_b32_e32 v17, 0xfffff, v63
	v_add_nc_u32_e32 v63, v17, v75
                                        ; implicit-def: $vgpr17
	v_cmpx_ne_u32_e64 v73, v74
	s_xor_b32 s12, exec_lo, s12
; %bb.3709:                             ;   in Loop: Header=BB4_2938 Depth=2
	v_cmp_lt_u32_e32 vcc_lo, 0xffffff, v63
	v_sub_nc_u32_e32 v17, v73, v74
	v_cndmask_b32_e64 v73, 0, 1, vcc_lo
	v_add_co_ci_u32_e64 v17, null, 0, v17, vcc_lo
	v_lshrrev_b32_e32 v63, v73, v63
; %bb.3710:                             ;   in Loop: Header=BB4_2938 Depth=2
	s_andn2_saveexec_b32 s12, s12
; %bb.3711:                             ;   in Loop: Header=BB4_2938 Depth=2
	v_bfe_u32 v17, v63, 23, 1
; %bb.3712:                             ;   in Loop: Header=BB4_2938 Depth=2
	s_or_b32 exec_lo, exec_lo, s12
	v_lshrrev_b32_e32 v63, 20, v63
	v_min_i32_e32 v73, 15, v17
	v_cmp_gt_i32_e32 vcc_lo, 16, v17
	v_and_b32_sdwa v58, v58, v85 dst_sel:DWORD dst_unused:UNUSED_PAD src0_sel:BYTE_3 src1_sel:DWORD
	v_lshlrev_b32_e32 v73, 3, v73
	v_cndmask_b32_e32 v63, 7, v63, vcc_lo
	v_and_b32_e32 v73, 0xf8, v73
	v_and_b32_e32 v74, 7, v63
	v_or_b32_e32 v17, v17, v63
	v_or3_b32 v58, v58, v73, v74
	v_cmp_ne_u32_e32 vcc_lo, 0, v17
	v_lshlrev_b32_e32 v58, 8, v58
	v_cndmask_b32_e32 v17, 0, v58, vcc_lo
.LBB4_3713:                             ;   in Loop: Header=BB4_2938 Depth=2
	s_or_b32 exec_lo, exec_lo, s40
.LBB4_3714:                             ;   in Loop: Header=BB4_2938 Depth=2
	s_or_b32 exec_lo, exec_lo, s29
	v_or_b32_e32 v58, v56, v44
	s_mov_b32 s12, 0
	v_cmp_gt_i16_sdwa s29, v58, v84 src0_sel:BYTE_0 src1_sel:DWORD
	s_and_saveexec_b32 s40, s29
	s_xor_b32 s29, exec_lo, s40
	s_cbranch_execz .LBB4_4160
; %bb.3715:                             ;   in Loop: Header=BB4_2938 Depth=2
	v_cmp_eq_u16_sdwa s41, v58, v85 src0_sel:BYTE_0 src1_sel:DWORD
	s_mov_b32 s12, -1
	s_and_saveexec_b32 s40, s41
; %bb.3716:                             ;   in Loop: Header=BB4_2938 Depth=2
	s_xor_b32 s12, exec_lo, -1
; %bb.3717:                             ;   in Loop: Header=BB4_2938 Depth=2
	s_or_b32 exec_lo, exec_lo, s40
	s_and_b32 s12, s12, exec_lo
	s_or_saveexec_b32 s29, s29
	v_mov_b32_e32 v44, 0x7f800001
	s_xor_b32 exec_lo, exec_lo, s29
	s_cbranch_execnz .LBB4_4161
.LBB4_3718:                             ;   in Loop: Header=BB4_2938 Depth=2
	s_or_b32 exec_lo, exec_lo, s29
	s_and_saveexec_b32 s29, s12
	s_cbranch_execz .LBB4_3720
.LBB4_3719:                             ;   in Loop: Header=BB4_2938 Depth=2
	v_and_b32_e32 v44, 7, v58
	v_bfe_u32 v73, v58, 3, 4
	v_lshlrev_b32_e32 v74, 24, v58
	v_ffbh_u32_e32 v56, v44
	v_cmp_eq_u32_e32 vcc_lo, 0, v73
	v_min_u32_e32 v56, 32, v56
	v_subrev_nc_u32_e32 v63, 28, v56
	v_sub_nc_u32_e32 v56, 29, v56
	v_lshlrev_b32_e32 v63, v63, v58
	v_cndmask_b32_e32 v56, v73, v56, vcc_lo
	v_and_b32_e32 v63, 7, v63
	v_lshl_add_u32 v56, v56, 23, 0x3b800000
	v_cndmask_b32_e32 v44, v44, v63, vcc_lo
	v_and_b32_e32 v63, 0x80000000, v74
	v_lshlrev_b32_e32 v44, 20, v44
	v_or3_b32 v44, v63, v56, v44
.LBB4_3720:                             ;   in Loop: Header=BB4_2938 Depth=2
	s_or_b32 exec_lo, exec_lo, s29
	s_waitcnt vmcnt(0)
	v_cmp_gt_i16_sdwa s29, v10, v84 src0_sel:BYTE_0 src1_sel:DWORD
	s_mov_b32 s12, 0
	s_and_saveexec_b32 s40, s29
	s_xor_b32 s29, exec_lo, s40
	s_cbranch_execz .LBB4_4162
; %bb.3721:                             ;   in Loop: Header=BB4_2938 Depth=2
	v_cmp_eq_u16_sdwa s41, v10, v85 src0_sel:BYTE_0 src1_sel:DWORD
	s_mov_b32 s12, -1
	s_and_saveexec_b32 s40, s41
; %bb.3722:                             ;   in Loop: Header=BB4_2938 Depth=2
	s_xor_b32 s12, exec_lo, -1
; %bb.3723:                             ;   in Loop: Header=BB4_2938 Depth=2
	s_or_b32 exec_lo, exec_lo, s40
	s_and_b32 s12, s12, exec_lo
	s_or_saveexec_b32 s29, s29
	v_mov_b32_e32 v56, 0x7f800001
	s_xor_b32 exec_lo, exec_lo, s29
	s_cbranch_execnz .LBB4_4163
.LBB4_3724:                             ;   in Loop: Header=BB4_2938 Depth=2
	s_or_b32 exec_lo, exec_lo, s29
	s_and_saveexec_b32 s29, s12
	s_cbranch_execz .LBB4_3726
.LBB4_3725:                             ;   in Loop: Header=BB4_2938 Depth=2
	v_and_b32_e32 v56, 7, v10
	v_bfe_u32 v74, v10, 3, 4
	v_lshlrev_b32_e32 v75, 24, v10
	v_ffbh_u32_e32 v63, v56
	v_cmp_eq_u32_e32 vcc_lo, 0, v74
	v_min_u32_e32 v63, 32, v63
	v_subrev_nc_u32_e32 v73, 28, v63
	v_sub_nc_u32_e32 v63, 29, v63
	v_lshlrev_b32_e32 v73, v73, v10
	v_cndmask_b32_e32 v63, v74, v63, vcc_lo
	v_and_b32_e32 v73, 7, v73
	v_lshl_add_u32 v63, v63, 23, 0x3b800000
	v_cndmask_b32_e32 v56, v56, v73, vcc_lo
	v_and_b32_e32 v73, 0x80000000, v75
	v_lshlrev_b32_e32 v56, 20, v56
	v_or3_b32 v56, v73, v63, v56
.LBB4_3726:                             ;   in Loop: Header=BB4_2938 Depth=2
	s_or_b32 exec_lo, exec_lo, s29
	v_add_f32_e32 v56, v44, v56
	v_and_b32_e32 v44, 0x7f800000, v56
	v_cmp_ne_u32_e32 vcc_lo, 0x7f800000, v44
	v_mov_b32_e32 v44, 0x80
	s_and_saveexec_b32 s29, vcc_lo
	s_cbranch_execz .LBB4_3734
; %bb.3727:                             ;   in Loop: Header=BB4_2938 Depth=2
	v_mov_b32_e32 v44, 0
	s_mov_b32 s40, exec_lo
	v_cmpx_ne_u32_e32 0, v56
	s_cbranch_execz .LBB4_3733
; %bb.3728:                             ;   in Loop: Header=BB4_2938 Depth=2
	v_bfe_u32 v44, v56, 23, 8
	v_and_b32_e32 v63, 0x7fffff, v56
	v_sub_nc_u32_e32 v73, 0x78, v44
	v_cmp_gt_u32_e32 vcc_lo, 0x79, v44
	v_or_b32_e32 v74, 0x800000, v63
	v_cndmask_b32_e32 v73, 0, v73, vcc_lo
	v_cmp_eq_u32_e32 vcc_lo, 0, v44
	v_add_nc_u32_e32 v44, 0xffffff89, v44
	v_cndmask_b32_e64 v73, v73, 0x77, vcc_lo
	v_cndmask_b32_e32 v63, v74, v63, vcc_lo
	v_cndmask_b32_e64 v44, v44, 0xffffff8a, vcc_lo
	v_lshl_add_u32 v74, 0x100000, v73, -1
	v_lshrrev_b32_e32 v75, v73, v63
	v_lshlrev_b32_e64 v77, v73, 0x80000
	v_add_nc_u32_e32 v73, v73, v44
	v_and_b32_e32 v63, v74, v63
	v_bfe_u32 v76, v75, 20, 1
	v_cmp_eq_u32_e64 s12, v63, v77
	v_add_nc_u32_e32 v74, -1, v76
	v_cndmask_b32_e64 v63, 0, v74, s12
	v_lshrrev_b32_e32 v74, 23, v75
	s_mov_b32 s12, exec_lo
	v_add_nc_u32_e32 v63, v63, v75
	v_xor_b32_e32 v74, 1, v74
	v_and_b32_e32 v44, 0xfffff, v63
	v_add_nc_u32_e32 v63, v44, v75
                                        ; implicit-def: $vgpr44
	v_cmpx_ne_u32_e64 v73, v74
	s_xor_b32 s12, exec_lo, s12
; %bb.3729:                             ;   in Loop: Header=BB4_2938 Depth=2
	v_cmp_lt_u32_e32 vcc_lo, 0xffffff, v63
	v_sub_nc_u32_e32 v44, v73, v74
	v_cndmask_b32_e64 v73, 0, 1, vcc_lo
	v_add_co_ci_u32_e64 v44, null, 0, v44, vcc_lo
	v_lshrrev_b32_e32 v63, v73, v63
; %bb.3730:                             ;   in Loop: Header=BB4_2938 Depth=2
	s_andn2_saveexec_b32 s12, s12
; %bb.3731:                             ;   in Loop: Header=BB4_2938 Depth=2
	v_bfe_u32 v44, v63, 23, 1
; %bb.3732:                             ;   in Loop: Header=BB4_2938 Depth=2
	s_or_b32 exec_lo, exec_lo, s12
	v_lshrrev_b32_e32 v63, 20, v63
	v_min_i32_e32 v73, 15, v44
	v_cmp_gt_i32_e32 vcc_lo, 16, v44
	v_and_b32_sdwa v56, v56, v85 dst_sel:DWORD dst_unused:UNUSED_PAD src0_sel:BYTE_3 src1_sel:DWORD
	v_lshlrev_b32_e32 v73, 3, v73
	v_cndmask_b32_e32 v63, 7, v63, vcc_lo
	v_and_b32_e32 v73, 0xf8, v73
	v_and_b32_e32 v74, 7, v63
	v_or_b32_e32 v44, v44, v63
	v_or3_b32 v56, v73, v56, v74
	v_cmp_ne_u32_e32 vcc_lo, 0, v44
	v_cndmask_b32_e32 v44, 0, v56, vcc_lo
.LBB4_3733:                             ;   in Loop: Header=BB4_2938 Depth=2
	s_or_b32 exec_lo, exec_lo, s40
.LBB4_3734:                             ;   in Loop: Header=BB4_2938 Depth=2
	s_or_b32 exec_lo, exec_lo, s29
	v_cmp_gt_i16_sdwa s29, v58, v84 src0_sel:BYTE_1 src1_sel:DWORD
	s_mov_b32 s12, 0
	s_and_saveexec_b32 s40, s29
	s_xor_b32 s29, exec_lo, s40
	s_cbranch_execz .LBB4_4164
; %bb.3735:                             ;   in Loop: Header=BB4_2938 Depth=2
	v_cmp_eq_u16_sdwa s41, v58, v85 src0_sel:BYTE_1 src1_sel:DWORD
	s_mov_b32 s12, -1
	s_and_saveexec_b32 s40, s41
; %bb.3736:                             ;   in Loop: Header=BB4_2938 Depth=2
	s_xor_b32 s12, exec_lo, -1
; %bb.3737:                             ;   in Loop: Header=BB4_2938 Depth=2
	s_or_b32 exec_lo, exec_lo, s40
	s_and_b32 s12, s12, exec_lo
	s_or_saveexec_b32 s29, s29
	v_mov_b32_e32 v56, 0x7f800001
	s_xor_b32 exec_lo, exec_lo, s29
	s_cbranch_execnz .LBB4_4165
.LBB4_3738:                             ;   in Loop: Header=BB4_2938 Depth=2
	s_or_b32 exec_lo, exec_lo, s29
	s_and_saveexec_b32 s29, s12
	s_cbranch_execz .LBB4_3740
.LBB4_3739:                             ;   in Loop: Header=BB4_2938 Depth=2
	v_and_b32_sdwa v56, v86, v58 dst_sel:DWORD dst_unused:UNUSED_PAD src0_sel:DWORD src1_sel:BYTE_1
	v_and_b32_e32 v63, 7, v56
	v_bfe_u32 v75, v56, 3, 4
	v_ffbh_u32_e32 v73, v63
	v_cmp_eq_u32_e32 vcc_lo, 0, v75
	v_min_u32_e32 v73, 32, v73
	v_subrev_nc_u32_e32 v74, 28, v73
	v_sub_nc_u32_e32 v73, 29, v73
	v_lshlrev_b32_e32 v56, v74, v56
	v_lshlrev_b32_sdwa v74, v87, v58 dst_sel:DWORD dst_unused:UNUSED_PAD src0_sel:DWORD src1_sel:BYTE_1
	v_cndmask_b32_e32 v73, v75, v73, vcc_lo
	v_and_b32_e32 v56, 7, v56
	v_lshl_add_u32 v73, v73, 23, 0x3b800000
	v_cndmask_b32_e32 v56, v63, v56, vcc_lo
	v_and_b32_e32 v63, 0x80000000, v74
	v_lshlrev_b32_e32 v56, 20, v56
	v_or3_b32 v56, v63, v73, v56
.LBB4_3740:                             ;   in Loop: Header=BB4_2938 Depth=2
	s_or_b32 exec_lo, exec_lo, s29
	v_cmp_gt_i16_sdwa s29, v10, v84 src0_sel:BYTE_1 src1_sel:DWORD
	s_mov_b32 s12, 0
	s_and_saveexec_b32 s40, s29
	s_xor_b32 s29, exec_lo, s40
	s_cbranch_execz .LBB4_4166
; %bb.3741:                             ;   in Loop: Header=BB4_2938 Depth=2
	v_cmp_eq_u16_sdwa s41, v10, v85 src0_sel:BYTE_1 src1_sel:DWORD
	s_mov_b32 s12, -1
	s_and_saveexec_b32 s40, s41
; %bb.3742:                             ;   in Loop: Header=BB4_2938 Depth=2
	s_xor_b32 s12, exec_lo, -1
; %bb.3743:                             ;   in Loop: Header=BB4_2938 Depth=2
	s_or_b32 exec_lo, exec_lo, s40
	s_and_b32 s12, s12, exec_lo
	s_or_saveexec_b32 s29, s29
	v_mov_b32_e32 v63, 0x7f800001
	s_xor_b32 exec_lo, exec_lo, s29
	s_cbranch_execnz .LBB4_4167
.LBB4_3744:                             ;   in Loop: Header=BB4_2938 Depth=2
	s_or_b32 exec_lo, exec_lo, s29
	s_and_saveexec_b32 s29, s12
	s_cbranch_execz .LBB4_3746
.LBB4_3745:                             ;   in Loop: Header=BB4_2938 Depth=2
	v_and_b32_sdwa v63, v86, v10 dst_sel:DWORD dst_unused:UNUSED_PAD src0_sel:DWORD src1_sel:BYTE_1
	v_and_b32_e32 v73, 7, v63
	v_bfe_u32 v76, v63, 3, 4
	v_ffbh_u32_e32 v74, v73
	v_cmp_eq_u32_e32 vcc_lo, 0, v76
	v_min_u32_e32 v74, 32, v74
	v_subrev_nc_u32_e32 v75, 28, v74
	v_sub_nc_u32_e32 v74, 29, v74
	v_lshlrev_b32_e32 v63, v75, v63
	v_lshlrev_b32_sdwa v75, v87, v10 dst_sel:DWORD dst_unused:UNUSED_PAD src0_sel:DWORD src1_sel:BYTE_1
	v_cndmask_b32_e32 v74, v76, v74, vcc_lo
	v_and_b32_e32 v63, 7, v63
	v_lshl_add_u32 v74, v74, 23, 0x3b800000
	v_cndmask_b32_e32 v63, v73, v63, vcc_lo
	v_and_b32_e32 v73, 0x80000000, v75
	v_lshlrev_b32_e32 v63, 20, v63
	v_or3_b32 v63, v73, v74, v63
.LBB4_3746:                             ;   in Loop: Header=BB4_2938 Depth=2
	s_or_b32 exec_lo, exec_lo, s29
	v_add_f32_e32 v63, v56, v63
	v_and_b32_e32 v56, 0x7f800000, v63
	v_cmp_ne_u32_e32 vcc_lo, 0x7f800000, v56
	v_mov_b32_e32 v56, 0x8000
	s_and_saveexec_b32 s29, vcc_lo
	s_cbranch_execz .LBB4_3754
; %bb.3747:                             ;   in Loop: Header=BB4_2938 Depth=2
	v_mov_b32_e32 v56, 0
	s_mov_b32 s40, exec_lo
	v_cmpx_ne_u32_e32 0, v63
	s_cbranch_execz .LBB4_3753
; %bb.3748:                             ;   in Loop: Header=BB4_2938 Depth=2
	v_bfe_u32 v56, v63, 23, 8
	v_and_b32_e32 v73, 0x7fffff, v63
	v_sub_nc_u32_e32 v74, 0x78, v56
	v_cmp_gt_u32_e32 vcc_lo, 0x79, v56
	v_or_b32_e32 v75, 0x800000, v73
	v_cndmask_b32_e32 v74, 0, v74, vcc_lo
	v_cmp_eq_u32_e32 vcc_lo, 0, v56
	v_add_nc_u32_e32 v56, 0xffffff89, v56
	v_cndmask_b32_e64 v74, v74, 0x77, vcc_lo
	v_cndmask_b32_e32 v73, v75, v73, vcc_lo
	v_cndmask_b32_e64 v56, v56, 0xffffff8a, vcc_lo
	v_lshl_add_u32 v75, 0x100000, v74, -1
	v_lshrrev_b32_e32 v76, v74, v73
	v_lshlrev_b32_e64 v78, v74, 0x80000
	v_add_nc_u32_e32 v74, v74, v56
	v_and_b32_e32 v73, v75, v73
	v_bfe_u32 v77, v76, 20, 1
	v_cmp_eq_u32_e64 s12, v73, v78
	v_add_nc_u32_e32 v75, -1, v77
	v_cndmask_b32_e64 v73, 0, v75, s12
	v_lshrrev_b32_e32 v75, 23, v76
	s_mov_b32 s12, exec_lo
	v_add_nc_u32_e32 v73, v73, v76
	v_xor_b32_e32 v75, 1, v75
	v_and_b32_e32 v56, 0xfffff, v73
	v_add_nc_u32_e32 v73, v56, v76
                                        ; implicit-def: $vgpr56
	v_cmpx_ne_u32_e64 v74, v75
	s_xor_b32 s12, exec_lo, s12
; %bb.3749:                             ;   in Loop: Header=BB4_2938 Depth=2
	v_cmp_lt_u32_e32 vcc_lo, 0xffffff, v73
	v_sub_nc_u32_e32 v56, v74, v75
	v_cndmask_b32_e64 v74, 0, 1, vcc_lo
	v_add_co_ci_u32_e64 v56, null, 0, v56, vcc_lo
	v_lshrrev_b32_e32 v73, v74, v73
; %bb.3750:                             ;   in Loop: Header=BB4_2938 Depth=2
	s_andn2_saveexec_b32 s12, s12
; %bb.3751:                             ;   in Loop: Header=BB4_2938 Depth=2
	v_bfe_u32 v56, v73, 23, 1
; %bb.3752:                             ;   in Loop: Header=BB4_2938 Depth=2
	s_or_b32 exec_lo, exec_lo, s12
	v_lshrrev_b32_e32 v73, 20, v73
	v_min_i32_e32 v74, 15, v56
	v_cmp_gt_i32_e32 vcc_lo, 16, v56
	v_and_b32_sdwa v63, v63, v85 dst_sel:DWORD dst_unused:UNUSED_PAD src0_sel:BYTE_3 src1_sel:DWORD
	v_lshlrev_b32_e32 v74, 3, v74
	v_cndmask_b32_e32 v73, 7, v73, vcc_lo
	v_and_b32_e32 v74, 0xf8, v74
	v_and_b32_e32 v75, 7, v73
	v_or_b32_e32 v56, v56, v73
	v_or3_b32 v63, v63, v74, v75
	v_cmp_ne_u32_e32 vcc_lo, 0, v56
	v_lshlrev_b32_e32 v63, 8, v63
	v_cndmask_b32_e32 v56, 0, v63, vcc_lo
.LBB4_3753:                             ;   in Loop: Header=BB4_2938 Depth=2
	s_or_b32 exec_lo, exec_lo, s40
.LBB4_3754:                             ;   in Loop: Header=BB4_2938 Depth=2
	s_or_b32 exec_lo, exec_lo, s29
	v_or_b32_e32 v45, v45, v41
	s_mov_b32 s12, 0
	v_cmp_gt_i16_sdwa s29, v45, v84 src0_sel:BYTE_0 src1_sel:DWORD
	s_and_saveexec_b32 s40, s29
	s_xor_b32 s29, exec_lo, s40
	s_cbranch_execz .LBB4_4168
; %bb.3755:                             ;   in Loop: Header=BB4_2938 Depth=2
	v_cmp_eq_u16_sdwa s41, v45, v85 src0_sel:BYTE_0 src1_sel:DWORD
	s_mov_b32 s12, -1
	s_and_saveexec_b32 s40, s41
; %bb.3756:                             ;   in Loop: Header=BB4_2938 Depth=2
	s_xor_b32 s12, exec_lo, -1
; %bb.3757:                             ;   in Loop: Header=BB4_2938 Depth=2
	s_or_b32 exec_lo, exec_lo, s40
	s_and_b32 s12, s12, exec_lo
	s_or_saveexec_b32 s29, s29
	v_mov_b32_e32 v41, 0x7f800001
	s_xor_b32 exec_lo, exec_lo, s29
	s_cbranch_execnz .LBB4_4169
.LBB4_3758:                             ;   in Loop: Header=BB4_2938 Depth=2
	s_or_b32 exec_lo, exec_lo, s29
	v_lshl_or_b32 v45, v45, 16, v58
	s_and_saveexec_b32 s29, s12
	s_cbranch_execz .LBB4_3760
.LBB4_3759:                             ;   in Loop: Header=BB4_2938 Depth=2
	v_bfe_u32 v41, v45, 16, 3
	v_bfe_u32 v73, v45, 19, 4
	v_lshlrev_b32_e32 v74, 8, v45
	v_ffbh_u32_e32 v58, v41
	v_cmp_eq_u32_e32 vcc_lo, 0, v73
	v_min_u32_e32 v58, 32, v58
	v_subrev_nc_u32_e32 v63, 28, v58
	v_sub_nc_u32_e32 v58, 29, v58
	v_lshlrev_b32_sdwa v63, v63, v45 dst_sel:DWORD dst_unused:UNUSED_PAD src0_sel:DWORD src1_sel:WORD_1
	v_cndmask_b32_e32 v58, v73, v58, vcc_lo
	v_and_b32_e32 v63, 7, v63
	v_lshl_add_u32 v58, v58, 23, 0x3b800000
	v_cndmask_b32_e32 v41, v41, v63, vcc_lo
	v_and_b32_e32 v63, 0x80000000, v74
	v_lshlrev_b32_e32 v41, 20, v41
	v_or3_b32 v41, v63, v58, v41
.LBB4_3760:                             ;   in Loop: Header=BB4_2938 Depth=2
	s_or_b32 exec_lo, exec_lo, s29
	v_and_b32_sdwa v63, v10, v96 dst_sel:DWORD dst_unused:UNUSED_PAD src0_sel:WORD_1 src1_sel:DWORD
	s_mov_b32 s12, 0
	s_mov_b32 s29, exec_lo
	v_cmpx_lt_i16_e32 0x7f, v63
	s_xor_b32 s29, exec_lo, s29
	s_cbranch_execz .LBB4_4170
; %bb.3761:                             ;   in Loop: Header=BB4_2938 Depth=2
	s_mov_b32 s12, -1
	s_mov_b32 s40, exec_lo
	v_cmpx_eq_u16_e32 0x80, v63
; %bb.3762:                             ;   in Loop: Header=BB4_2938 Depth=2
	s_xor_b32 s12, exec_lo, -1
; %bb.3763:                             ;   in Loop: Header=BB4_2938 Depth=2
	s_or_b32 exec_lo, exec_lo, s40
	s_and_b32 s12, s12, exec_lo
                                        ; implicit-def: $vgpr63
	s_or_saveexec_b32 s29, s29
	v_mov_b32_e32 v58, 0x7f800001
	s_xor_b32 exec_lo, exec_lo, s29
	s_cbranch_execnz .LBB4_4171
.LBB4_3764:                             ;   in Loop: Header=BB4_2938 Depth=2
	s_or_b32 exec_lo, exec_lo, s29
	s_and_saveexec_b32 s29, s12
	s_cbranch_execz .LBB4_3766
.LBB4_3765:                             ;   in Loop: Header=BB4_2938 Depth=2
	v_bfe_u32 v58, v10, 16, 3
	v_bfe_u32 v74, v10, 19, 4
	v_lshlrev_b32_e32 v75, 8, v10
	v_ffbh_u32_e32 v63, v58
	v_cmp_eq_u32_e32 vcc_lo, 0, v74
	v_min_u32_e32 v63, 32, v63
	v_subrev_nc_u32_e32 v73, 28, v63
	v_sub_nc_u32_e32 v63, 29, v63
	v_lshlrev_b32_sdwa v73, v73, v10 dst_sel:DWORD dst_unused:UNUSED_PAD src0_sel:DWORD src1_sel:WORD_1
	v_cndmask_b32_e32 v63, v74, v63, vcc_lo
	v_and_b32_e32 v73, 7, v73
	v_lshl_add_u32 v63, v63, 23, 0x3b800000
	v_cndmask_b32_e32 v58, v58, v73, vcc_lo
	v_and_b32_e32 v73, 0x80000000, v75
	v_lshlrev_b32_e32 v58, 20, v58
	v_or3_b32 v58, v73, v63, v58
.LBB4_3766:                             ;   in Loop: Header=BB4_2938 Depth=2
	s_or_b32 exec_lo, exec_lo, s29
	v_add_f32_e32 v58, v41, v58
	v_and_b32_e32 v41, 0x7f800000, v58
	v_cmp_ne_u32_e32 vcc_lo, 0x7f800000, v41
	v_mov_b32_e32 v41, 0x80
	s_and_saveexec_b32 s29, vcc_lo
	s_cbranch_execz .LBB4_3774
; %bb.3767:                             ;   in Loop: Header=BB4_2938 Depth=2
	v_mov_b32_e32 v41, 0
	s_mov_b32 s40, exec_lo
	v_cmpx_ne_u32_e32 0, v58
	s_cbranch_execz .LBB4_3773
; %bb.3768:                             ;   in Loop: Header=BB4_2938 Depth=2
	v_bfe_u32 v41, v58, 23, 8
	v_and_b32_e32 v63, 0x7fffff, v58
	v_sub_nc_u32_e32 v73, 0x78, v41
	v_cmp_gt_u32_e32 vcc_lo, 0x79, v41
	v_or_b32_e32 v74, 0x800000, v63
	v_cndmask_b32_e32 v73, 0, v73, vcc_lo
	v_cmp_eq_u32_e32 vcc_lo, 0, v41
	v_add_nc_u32_e32 v41, 0xffffff89, v41
	v_cndmask_b32_e64 v73, v73, 0x77, vcc_lo
	v_cndmask_b32_e32 v63, v74, v63, vcc_lo
	v_cndmask_b32_e64 v41, v41, 0xffffff8a, vcc_lo
	v_lshl_add_u32 v74, 0x100000, v73, -1
	v_lshrrev_b32_e32 v75, v73, v63
	v_lshlrev_b32_e64 v77, v73, 0x80000
	v_add_nc_u32_e32 v73, v73, v41
	v_and_b32_e32 v63, v74, v63
	v_bfe_u32 v76, v75, 20, 1
	v_cmp_eq_u32_e64 s12, v63, v77
	v_add_nc_u32_e32 v74, -1, v76
	v_cndmask_b32_e64 v63, 0, v74, s12
	v_lshrrev_b32_e32 v74, 23, v75
	s_mov_b32 s12, exec_lo
	v_add_nc_u32_e32 v63, v63, v75
	v_xor_b32_e32 v74, 1, v74
	v_and_b32_e32 v41, 0xfffff, v63
	v_add_nc_u32_e32 v63, v41, v75
                                        ; implicit-def: $vgpr41
	v_cmpx_ne_u32_e64 v73, v74
	s_xor_b32 s12, exec_lo, s12
; %bb.3769:                             ;   in Loop: Header=BB4_2938 Depth=2
	v_cmp_lt_u32_e32 vcc_lo, 0xffffff, v63
	v_sub_nc_u32_e32 v41, v73, v74
	v_cndmask_b32_e64 v73, 0, 1, vcc_lo
	v_add_co_ci_u32_e64 v41, null, 0, v41, vcc_lo
	v_lshrrev_b32_e32 v63, v73, v63
; %bb.3770:                             ;   in Loop: Header=BB4_2938 Depth=2
	s_andn2_saveexec_b32 s12, s12
; %bb.3771:                             ;   in Loop: Header=BB4_2938 Depth=2
	v_bfe_u32 v41, v63, 23, 1
; %bb.3772:                             ;   in Loop: Header=BB4_2938 Depth=2
	s_or_b32 exec_lo, exec_lo, s12
	v_lshrrev_b32_e32 v63, 20, v63
	v_min_i32_e32 v73, 15, v41
	v_cmp_gt_i32_e32 vcc_lo, 16, v41
	v_and_b32_sdwa v58, v58, v85 dst_sel:DWORD dst_unused:UNUSED_PAD src0_sel:BYTE_3 src1_sel:DWORD
	v_lshlrev_b32_e32 v73, 3, v73
	v_cndmask_b32_e32 v63, 7, v63, vcc_lo
	v_and_b32_e32 v73, 0xf8, v73
	v_and_b32_e32 v74, 7, v63
	v_or_b32_e32 v41, v41, v63
	v_or3_b32 v58, v73, v58, v74
	v_cmp_ne_u32_e32 vcc_lo, 0, v41
	v_cndmask_b32_e32 v41, 0, v58, vcc_lo
.LBB4_3773:                             ;   in Loop: Header=BB4_2938 Depth=2
	s_or_b32 exec_lo, exec_lo, s40
.LBB4_3774:                             ;   in Loop: Header=BB4_2938 Depth=2
	s_or_b32 exec_lo, exec_lo, s29
	v_cmp_gt_i16_sdwa s29, v45, v84 src0_sel:BYTE_3 src1_sel:DWORD
	s_mov_b32 s12, 0
	s_and_saveexec_b32 s40, s29
	s_xor_b32 s29, exec_lo, s40
	s_cbranch_execz .LBB4_4172
; %bb.3775:                             ;   in Loop: Header=BB4_2938 Depth=2
	v_cmp_eq_u16_sdwa s41, v45, v85 src0_sel:BYTE_3 src1_sel:DWORD
	s_mov_b32 s12, -1
	s_and_saveexec_b32 s40, s41
; %bb.3776:                             ;   in Loop: Header=BB4_2938 Depth=2
	s_xor_b32 s12, exec_lo, -1
; %bb.3777:                             ;   in Loop: Header=BB4_2938 Depth=2
	s_or_b32 exec_lo, exec_lo, s40
	s_and_b32 s12, s12, exec_lo
	s_or_saveexec_b32 s29, s29
	v_mov_b32_e32 v58, 0x7f800001
	s_xor_b32 exec_lo, exec_lo, s29
	s_cbranch_execnz .LBB4_4173
.LBB4_3778:                             ;   in Loop: Header=BB4_2938 Depth=2
	s_or_b32 exec_lo, exec_lo, s29
	s_and_saveexec_b32 s29, s12
	s_cbranch_execz .LBB4_3780
.LBB4_3779:                             ;   in Loop: Header=BB4_2938 Depth=2
	v_bfe_u32 v58, v45, 24, 3
	v_bfe_u32 v74, v45, 27, 4
	v_ffbh_u32_e32 v63, v58
	v_cmp_eq_u32_e32 vcc_lo, 0, v74
	v_min_u32_e32 v63, 32, v63
	v_subrev_nc_u32_e32 v73, 28, v63
	v_sub_nc_u32_e32 v63, 29, v63
	v_lshlrev_b32_sdwa v73, v73, v45 dst_sel:DWORD dst_unused:UNUSED_PAD src0_sel:DWORD src1_sel:BYTE_3
	v_cndmask_b32_e32 v63, v74, v63, vcc_lo
	v_and_b32_e32 v45, 0x80000000, v45
	v_and_b32_e32 v73, 7, v73
	v_lshl_add_u32 v63, v63, 23, 0x3b800000
	v_cndmask_b32_e32 v58, v58, v73, vcc_lo
	v_lshlrev_b32_e32 v58, 20, v58
	v_or3_b32 v58, v45, v63, v58
.LBB4_3780:                             ;   in Loop: Header=BB4_2938 Depth=2
	s_or_b32 exec_lo, exec_lo, s29
	v_cmp_gt_i16_sdwa s29, v10, v84 src0_sel:BYTE_3 src1_sel:DWORD
	s_mov_b32 s12, 0
	s_and_saveexec_b32 s40, s29
	s_xor_b32 s29, exec_lo, s40
	s_cbranch_execz .LBB4_4174
; %bb.3781:                             ;   in Loop: Header=BB4_2938 Depth=2
	v_cmp_eq_u16_sdwa s41, v10, v85 src0_sel:BYTE_3 src1_sel:DWORD
	s_mov_b32 s12, -1
	s_and_saveexec_b32 s40, s41
; %bb.3782:                             ;   in Loop: Header=BB4_2938 Depth=2
	s_xor_b32 s12, exec_lo, -1
; %bb.3783:                             ;   in Loop: Header=BB4_2938 Depth=2
	s_or_b32 exec_lo, exec_lo, s40
	s_and_b32 s12, s12, exec_lo
	s_or_saveexec_b32 s29, s29
	v_mov_b32_e32 v45, 0x7f800001
	s_xor_b32 exec_lo, exec_lo, s29
	s_cbranch_execnz .LBB4_4175
.LBB4_3784:                             ;   in Loop: Header=BB4_2938 Depth=2
	s_or_b32 exec_lo, exec_lo, s29
	s_and_saveexec_b32 s29, s12
	s_cbranch_execz .LBB4_3786
.LBB4_3785:                             ;   in Loop: Header=BB4_2938 Depth=2
	v_bfe_u32 v45, v10, 24, 3
	v_bfe_u32 v74, v10, 27, 4
	v_ffbh_u32_e32 v63, v45
	v_cmp_eq_u32_e32 vcc_lo, 0, v74
	v_min_u32_e32 v63, 32, v63
	v_subrev_nc_u32_e32 v73, 28, v63
	v_sub_nc_u32_e32 v63, 29, v63
	v_lshlrev_b32_sdwa v73, v73, v10 dst_sel:DWORD dst_unused:UNUSED_PAD src0_sel:DWORD src1_sel:BYTE_3
	v_cndmask_b32_e32 v63, v74, v63, vcc_lo
	v_and_b32_e32 v10, 0x80000000, v10
	v_and_b32_e32 v73, 7, v73
	v_lshl_add_u32 v63, v63, 23, 0x3b800000
	v_cndmask_b32_e32 v45, v45, v73, vcc_lo
	v_lshlrev_b32_e32 v45, 20, v45
	v_or3_b32 v45, v10, v63, v45
.LBB4_3786:                             ;   in Loop: Header=BB4_2938 Depth=2
	s_or_b32 exec_lo, exec_lo, s29
	v_add_f32_e32 v45, v58, v45
	v_and_b32_e32 v10, 0x7f800000, v45
	v_cmp_ne_u32_e32 vcc_lo, 0x7f800000, v10
	v_mov_b32_e32 v10, 0x8000
	s_and_saveexec_b32 s29, vcc_lo
	s_cbranch_execz .LBB4_3794
; %bb.3787:                             ;   in Loop: Header=BB4_2938 Depth=2
	v_mov_b32_e32 v10, 0
	s_mov_b32 s40, exec_lo
	v_cmpx_ne_u32_e32 0, v45
	s_cbranch_execz .LBB4_3793
; %bb.3788:                             ;   in Loop: Header=BB4_2938 Depth=2
	v_bfe_u32 v10, v45, 23, 8
	v_and_b32_e32 v58, 0x7fffff, v45
	v_sub_nc_u32_e32 v63, 0x78, v10
	v_cmp_gt_u32_e32 vcc_lo, 0x79, v10
	v_or_b32_e32 v73, 0x800000, v58
	v_cndmask_b32_e32 v63, 0, v63, vcc_lo
	v_cmp_eq_u32_e32 vcc_lo, 0, v10
	v_add_nc_u32_e32 v10, 0xffffff89, v10
	v_cndmask_b32_e64 v63, v63, 0x77, vcc_lo
	v_cndmask_b32_e32 v58, v73, v58, vcc_lo
	v_cndmask_b32_e64 v10, v10, 0xffffff8a, vcc_lo
	v_lshl_add_u32 v73, 0x100000, v63, -1
	v_lshrrev_b32_e32 v74, v63, v58
	v_lshlrev_b32_e64 v76, v63, 0x80000
	v_add_nc_u32_e32 v63, v63, v10
	v_and_b32_e32 v58, v73, v58
	v_bfe_u32 v75, v74, 20, 1
	v_cmp_eq_u32_e64 s12, v58, v76
	v_add_nc_u32_e32 v73, -1, v75
	v_cndmask_b32_e64 v58, 0, v73, s12
	v_lshrrev_b32_e32 v73, 23, v74
	s_mov_b32 s12, exec_lo
	v_add_nc_u32_e32 v58, v58, v74
	v_xor_b32_e32 v73, 1, v73
	v_and_b32_e32 v10, 0xfffff, v58
	v_add_nc_u32_e32 v58, v10, v74
                                        ; implicit-def: $vgpr10
	v_cmpx_ne_u32_e64 v63, v73
	s_xor_b32 s12, exec_lo, s12
; %bb.3789:                             ;   in Loop: Header=BB4_2938 Depth=2
	v_cmp_lt_u32_e32 vcc_lo, 0xffffff, v58
	v_sub_nc_u32_e32 v10, v63, v73
	v_cndmask_b32_e64 v63, 0, 1, vcc_lo
	v_add_co_ci_u32_e64 v10, null, 0, v10, vcc_lo
	v_lshrrev_b32_e32 v58, v63, v58
; %bb.3790:                             ;   in Loop: Header=BB4_2938 Depth=2
	s_andn2_saveexec_b32 s12, s12
; %bb.3791:                             ;   in Loop: Header=BB4_2938 Depth=2
	v_bfe_u32 v10, v58, 23, 1
; %bb.3792:                             ;   in Loop: Header=BB4_2938 Depth=2
	s_or_b32 exec_lo, exec_lo, s12
	v_lshrrev_b32_e32 v58, 20, v58
	v_min_i32_e32 v63, 15, v10
	v_cmp_gt_i32_e32 vcc_lo, 16, v10
	v_and_b32_sdwa v45, v45, v85 dst_sel:DWORD dst_unused:UNUSED_PAD src0_sel:BYTE_3 src1_sel:DWORD
	v_lshlrev_b32_e32 v63, 3, v63
	v_cndmask_b32_e32 v58, 7, v58, vcc_lo
	v_and_b32_e32 v63, 0xf8, v63
	v_and_b32_e32 v73, 7, v58
	v_or_b32_e32 v10, v10, v58
	v_or3_b32 v45, v45, v63, v73
	v_cmp_ne_u32_e32 vcc_lo, 0, v10
	v_lshlrev_b32_e32 v45, 8, v45
	v_cndmask_b32_e32 v10, 0, v45, vcc_lo
.LBB4_3793:                             ;   in Loop: Header=BB4_2938 Depth=2
	s_or_b32 exec_lo, exec_lo, s40
.LBB4_3794:                             ;   in Loop: Header=BB4_2938 Depth=2
	s_or_b32 exec_lo, exec_lo, s29
	v_or_b32_e32 v45, v42, v119
	s_mov_b32 s12, 0
	v_cmp_gt_i16_sdwa s29, v45, v84 src0_sel:BYTE_0 src1_sel:DWORD
	s_and_saveexec_b32 s40, s29
	s_xor_b32 s29, exec_lo, s40
	s_cbranch_execz .LBB4_4176
; %bb.3795:                             ;   in Loop: Header=BB4_2938 Depth=2
	v_cmp_eq_u16_sdwa s41, v45, v85 src0_sel:BYTE_0 src1_sel:DWORD
	s_mov_b32 s12, -1
	s_and_saveexec_b32 s40, s41
; %bb.3796:                             ;   in Loop: Header=BB4_2938 Depth=2
	s_xor_b32 s12, exec_lo, -1
; %bb.3797:                             ;   in Loop: Header=BB4_2938 Depth=2
	s_or_b32 exec_lo, exec_lo, s40
	s_and_b32 s12, s12, exec_lo
	s_or_saveexec_b32 s29, s29
	v_mov_b32_e32 v119, 0x7f800001
	s_xor_b32 exec_lo, exec_lo, s29
	s_cbranch_execnz .LBB4_4177
.LBB4_3798:                             ;   in Loop: Header=BB4_2938 Depth=2
	s_or_b32 exec_lo, exec_lo, s29
	s_and_saveexec_b32 s29, s12
	s_cbranch_execz .LBB4_3800
.LBB4_3799:                             ;   in Loop: Header=BB4_2938 Depth=2
	v_and_b32_e32 v119, 7, v45
	v_bfe_u32 v63, v45, 3, 4
	v_lshlrev_b32_e32 v73, 24, v45
	v_ffbh_u32_e32 v42, v119
	v_cmp_eq_u32_e32 vcc_lo, 0, v63
	v_min_u32_e32 v42, 32, v42
	v_subrev_nc_u32_e32 v58, 28, v42
	v_sub_nc_u32_e32 v42, 29, v42
	v_lshlrev_b32_e32 v58, v58, v45
	v_cndmask_b32_e32 v42, v63, v42, vcc_lo
	v_and_b32_e32 v58, 7, v58
	v_lshl_add_u32 v42, v42, 23, 0x3b800000
	v_cndmask_b32_e32 v119, v119, v58, vcc_lo
	v_and_b32_e32 v58, 0x80000000, v73
	v_lshlrev_b32_e32 v119, 20, v119
	v_or3_b32 v119, v58, v42, v119
.LBB4_3800:                             ;   in Loop: Header=BB4_2938 Depth=2
	s_or_b32 exec_lo, exec_lo, s29
	v_cmp_gt_i16_sdwa s29, v11, v84 src0_sel:BYTE_0 src1_sel:DWORD
	s_mov_b32 s12, 0
	s_and_saveexec_b32 s40, s29
	s_xor_b32 s29, exec_lo, s40
	s_cbranch_execz .LBB4_4178
; %bb.3801:                             ;   in Loop: Header=BB4_2938 Depth=2
	v_cmp_eq_u16_sdwa s41, v11, v85 src0_sel:BYTE_0 src1_sel:DWORD
	s_mov_b32 s12, -1
	s_and_saveexec_b32 s40, s41
; %bb.3802:                             ;   in Loop: Header=BB4_2938 Depth=2
	s_xor_b32 s12, exec_lo, -1
; %bb.3803:                             ;   in Loop: Header=BB4_2938 Depth=2
	s_or_b32 exec_lo, exec_lo, s40
	s_and_b32 s12, s12, exec_lo
	s_or_saveexec_b32 s29, s29
	v_mov_b32_e32 v42, 0x7f800001
	s_xor_b32 exec_lo, exec_lo, s29
	s_cbranch_execnz .LBB4_4179
.LBB4_3804:                             ;   in Loop: Header=BB4_2938 Depth=2
	s_or_b32 exec_lo, exec_lo, s29
	s_and_saveexec_b32 s29, s12
	s_cbranch_execz .LBB4_3806
.LBB4_3805:                             ;   in Loop: Header=BB4_2938 Depth=2
	v_and_b32_e32 v42, 7, v11
	v_bfe_u32 v73, v11, 3, 4
	v_lshlrev_b32_e32 v74, 24, v11
	v_ffbh_u32_e32 v58, v42
	v_cmp_eq_u32_e32 vcc_lo, 0, v73
	v_min_u32_e32 v58, 32, v58
	v_subrev_nc_u32_e32 v63, 28, v58
	v_sub_nc_u32_e32 v58, 29, v58
	v_lshlrev_b32_e32 v63, v63, v11
	v_cndmask_b32_e32 v58, v73, v58, vcc_lo
	v_and_b32_e32 v63, 7, v63
	v_lshl_add_u32 v58, v58, 23, 0x3b800000
	v_cndmask_b32_e32 v42, v42, v63, vcc_lo
	v_and_b32_e32 v63, 0x80000000, v74
	v_lshlrev_b32_e32 v42, 20, v42
	v_or3_b32 v42, v63, v58, v42
.LBB4_3806:                             ;   in Loop: Header=BB4_2938 Depth=2
	s_or_b32 exec_lo, exec_lo, s29
	v_add_f32_e32 v42, v119, v42
	v_and_b32_e32 v119, 0x7f800000, v42
	v_cmp_ne_u32_e32 vcc_lo, 0x7f800000, v119
	v_mov_b32_e32 v119, 0x80
	s_and_saveexec_b32 s29, vcc_lo
	s_cbranch_execz .LBB4_3814
; %bb.3807:                             ;   in Loop: Header=BB4_2938 Depth=2
	v_mov_b32_e32 v119, 0
	s_mov_b32 s40, exec_lo
	v_cmpx_ne_u32_e32 0, v42
	s_cbranch_execz .LBB4_3813
; %bb.3808:                             ;   in Loop: Header=BB4_2938 Depth=2
	v_bfe_u32 v119, v42, 23, 8
	v_and_b32_e32 v58, 0x7fffff, v42
	v_sub_nc_u32_e32 v63, 0x78, v119
	v_cmp_gt_u32_e32 vcc_lo, 0x79, v119
	v_or_b32_e32 v73, 0x800000, v58
	v_cndmask_b32_e32 v63, 0, v63, vcc_lo
	v_cmp_eq_u32_e32 vcc_lo, 0, v119
	v_add_nc_u32_e32 v119, 0xffffff89, v119
	v_cndmask_b32_e64 v63, v63, 0x77, vcc_lo
	v_cndmask_b32_e32 v58, v73, v58, vcc_lo
	v_cndmask_b32_e64 v119, v119, 0xffffff8a, vcc_lo
	v_lshl_add_u32 v73, 0x100000, v63, -1
	v_lshrrev_b32_e32 v74, v63, v58
	v_lshlrev_b32_e64 v76, v63, 0x80000
	v_add_nc_u32_e32 v63, v63, v119
	v_and_b32_e32 v58, v73, v58
	v_bfe_u32 v75, v74, 20, 1
	v_cmp_eq_u32_e64 s12, v58, v76
	v_add_nc_u32_e32 v73, -1, v75
	v_cndmask_b32_e64 v58, 0, v73, s12
	v_lshrrev_b32_e32 v73, 23, v74
	s_mov_b32 s12, exec_lo
	v_add_nc_u32_e32 v58, v58, v74
	v_xor_b32_e32 v73, 1, v73
	v_and_b32_e32 v119, 0xfffff, v58
	v_add_nc_u32_e32 v58, v119, v74
                                        ; implicit-def: $vgpr119
	v_cmpx_ne_u32_e64 v63, v73
	s_xor_b32 s12, exec_lo, s12
; %bb.3809:                             ;   in Loop: Header=BB4_2938 Depth=2
	v_cmp_lt_u32_e32 vcc_lo, 0xffffff, v58
	v_sub_nc_u32_e32 v119, v63, v73
	v_cndmask_b32_e64 v63, 0, 1, vcc_lo
	v_add_co_ci_u32_e64 v119, null, 0, v119, vcc_lo
	v_lshrrev_b32_e32 v58, v63, v58
; %bb.3810:                             ;   in Loop: Header=BB4_2938 Depth=2
	s_andn2_saveexec_b32 s12, s12
; %bb.3811:                             ;   in Loop: Header=BB4_2938 Depth=2
	v_bfe_u32 v119, v58, 23, 1
; %bb.3812:                             ;   in Loop: Header=BB4_2938 Depth=2
	s_or_b32 exec_lo, exec_lo, s12
	v_lshrrev_b32_e32 v58, 20, v58
	v_min_i32_e32 v63, 15, v119
	v_cmp_gt_i32_e32 vcc_lo, 16, v119
	v_and_b32_sdwa v42, v42, v85 dst_sel:DWORD dst_unused:UNUSED_PAD src0_sel:BYTE_3 src1_sel:DWORD
	v_lshlrev_b32_e32 v63, 3, v63
	v_cndmask_b32_e32 v58, 7, v58, vcc_lo
	v_and_b32_e32 v63, 0xf8, v63
	v_and_b32_e32 v73, 7, v58
	v_or_b32_e32 v119, v119, v58
	v_or3_b32 v42, v63, v42, v73
	v_cmp_ne_u32_e32 vcc_lo, 0, v119
	v_cndmask_b32_e32 v119, 0, v42, vcc_lo
.LBB4_3813:                             ;   in Loop: Header=BB4_2938 Depth=2
	s_or_b32 exec_lo, exec_lo, s40
.LBB4_3814:                             ;   in Loop: Header=BB4_2938 Depth=2
	s_or_b32 exec_lo, exec_lo, s29
	v_cmp_gt_i16_sdwa s29, v45, v84 src0_sel:BYTE_1 src1_sel:DWORD
	s_mov_b32 s12, 0
	s_and_saveexec_b32 s40, s29
	s_xor_b32 s29, exec_lo, s40
	s_cbranch_execz .LBB4_4180
; %bb.3815:                             ;   in Loop: Header=BB4_2938 Depth=2
	v_cmp_eq_u16_sdwa s41, v45, v85 src0_sel:BYTE_1 src1_sel:DWORD
	s_mov_b32 s12, -1
	s_and_saveexec_b32 s40, s41
; %bb.3816:                             ;   in Loop: Header=BB4_2938 Depth=2
	s_xor_b32 s12, exec_lo, -1
; %bb.3817:                             ;   in Loop: Header=BB4_2938 Depth=2
	s_or_b32 exec_lo, exec_lo, s40
	s_and_b32 s12, s12, exec_lo
	s_or_saveexec_b32 s29, s29
	v_mov_b32_e32 v42, 0x7f800001
	s_xor_b32 exec_lo, exec_lo, s29
	s_cbranch_execnz .LBB4_4181
.LBB4_3818:                             ;   in Loop: Header=BB4_2938 Depth=2
	s_or_b32 exec_lo, exec_lo, s29
	s_and_saveexec_b32 s29, s12
	s_cbranch_execz .LBB4_3820
.LBB4_3819:                             ;   in Loop: Header=BB4_2938 Depth=2
	v_and_b32_sdwa v42, v86, v45 dst_sel:DWORD dst_unused:UNUSED_PAD src0_sel:DWORD src1_sel:BYTE_1
	v_and_b32_e32 v58, 7, v42
	v_bfe_u32 v74, v42, 3, 4
	v_ffbh_u32_e32 v63, v58
	v_cmp_eq_u32_e32 vcc_lo, 0, v74
	v_min_u32_e32 v63, 32, v63
	v_subrev_nc_u32_e32 v73, 28, v63
	v_sub_nc_u32_e32 v63, 29, v63
	v_lshlrev_b32_e32 v42, v73, v42
	v_lshlrev_b32_sdwa v73, v87, v45 dst_sel:DWORD dst_unused:UNUSED_PAD src0_sel:DWORD src1_sel:BYTE_1
	v_cndmask_b32_e32 v63, v74, v63, vcc_lo
	v_and_b32_e32 v42, 7, v42
	v_lshl_add_u32 v63, v63, 23, 0x3b800000
	v_cndmask_b32_e32 v42, v58, v42, vcc_lo
	v_and_b32_e32 v58, 0x80000000, v73
	v_lshlrev_b32_e32 v42, 20, v42
	v_or3_b32 v42, v58, v63, v42
.LBB4_3820:                             ;   in Loop: Header=BB4_2938 Depth=2
	s_or_b32 exec_lo, exec_lo, s29
	v_cmp_gt_i16_sdwa s29, v11, v84 src0_sel:BYTE_1 src1_sel:DWORD
	s_mov_b32 s12, 0
	s_and_saveexec_b32 s40, s29
	s_xor_b32 s29, exec_lo, s40
	s_cbranch_execz .LBB4_4182
; %bb.3821:                             ;   in Loop: Header=BB4_2938 Depth=2
	v_cmp_eq_u16_sdwa s41, v11, v85 src0_sel:BYTE_1 src1_sel:DWORD
	s_mov_b32 s12, -1
	s_and_saveexec_b32 s40, s41
; %bb.3822:                             ;   in Loop: Header=BB4_2938 Depth=2
	s_xor_b32 s12, exec_lo, -1
; %bb.3823:                             ;   in Loop: Header=BB4_2938 Depth=2
	s_or_b32 exec_lo, exec_lo, s40
	s_and_b32 s12, s12, exec_lo
	s_or_saveexec_b32 s29, s29
	v_mov_b32_e32 v58, 0x7f800001
	s_xor_b32 exec_lo, exec_lo, s29
	s_cbranch_execnz .LBB4_4183
.LBB4_3824:                             ;   in Loop: Header=BB4_2938 Depth=2
	s_or_b32 exec_lo, exec_lo, s29
	s_and_saveexec_b32 s29, s12
	s_cbranch_execz .LBB4_3826
.LBB4_3825:                             ;   in Loop: Header=BB4_2938 Depth=2
	v_and_b32_sdwa v58, v86, v11 dst_sel:DWORD dst_unused:UNUSED_PAD src0_sel:DWORD src1_sel:BYTE_1
	v_and_b32_e32 v63, 7, v58
	v_bfe_u32 v75, v58, 3, 4
	v_ffbh_u32_e32 v73, v63
	v_cmp_eq_u32_e32 vcc_lo, 0, v75
	v_min_u32_e32 v73, 32, v73
	v_subrev_nc_u32_e32 v74, 28, v73
	v_sub_nc_u32_e32 v73, 29, v73
	v_lshlrev_b32_e32 v58, v74, v58
	v_lshlrev_b32_sdwa v74, v87, v11 dst_sel:DWORD dst_unused:UNUSED_PAD src0_sel:DWORD src1_sel:BYTE_1
	v_cndmask_b32_e32 v73, v75, v73, vcc_lo
	v_and_b32_e32 v58, 7, v58
	v_lshl_add_u32 v73, v73, 23, 0x3b800000
	v_cndmask_b32_e32 v58, v63, v58, vcc_lo
	v_and_b32_e32 v63, 0x80000000, v74
	v_lshlrev_b32_e32 v58, 20, v58
	v_or3_b32 v58, v63, v73, v58
.LBB4_3826:                             ;   in Loop: Header=BB4_2938 Depth=2
	s_or_b32 exec_lo, exec_lo, s29
	v_add_f32_e32 v58, v42, v58
	v_and_b32_e32 v42, 0x7f800000, v58
	v_cmp_ne_u32_e32 vcc_lo, 0x7f800000, v42
	v_mov_b32_e32 v42, 0x8000
	s_and_saveexec_b32 s29, vcc_lo
	s_cbranch_execz .LBB4_3834
; %bb.3827:                             ;   in Loop: Header=BB4_2938 Depth=2
	v_mov_b32_e32 v42, 0
	s_mov_b32 s40, exec_lo
	v_cmpx_ne_u32_e32 0, v58
	s_cbranch_execz .LBB4_3833
; %bb.3828:                             ;   in Loop: Header=BB4_2938 Depth=2
	v_bfe_u32 v42, v58, 23, 8
	v_and_b32_e32 v63, 0x7fffff, v58
	v_sub_nc_u32_e32 v73, 0x78, v42
	v_cmp_gt_u32_e32 vcc_lo, 0x79, v42
	v_or_b32_e32 v74, 0x800000, v63
	v_cndmask_b32_e32 v73, 0, v73, vcc_lo
	v_cmp_eq_u32_e32 vcc_lo, 0, v42
	v_add_nc_u32_e32 v42, 0xffffff89, v42
	v_cndmask_b32_e64 v73, v73, 0x77, vcc_lo
	v_cndmask_b32_e32 v63, v74, v63, vcc_lo
	v_cndmask_b32_e64 v42, v42, 0xffffff8a, vcc_lo
	v_lshl_add_u32 v74, 0x100000, v73, -1
	v_lshrrev_b32_e32 v75, v73, v63
	v_lshlrev_b32_e64 v77, v73, 0x80000
	v_add_nc_u32_e32 v73, v73, v42
	v_and_b32_e32 v63, v74, v63
	v_bfe_u32 v76, v75, 20, 1
	v_cmp_eq_u32_e64 s12, v63, v77
	v_add_nc_u32_e32 v74, -1, v76
	v_cndmask_b32_e64 v63, 0, v74, s12
	v_lshrrev_b32_e32 v74, 23, v75
	s_mov_b32 s12, exec_lo
	v_add_nc_u32_e32 v63, v63, v75
	v_xor_b32_e32 v74, 1, v74
	v_and_b32_e32 v42, 0xfffff, v63
	v_add_nc_u32_e32 v63, v42, v75
                                        ; implicit-def: $vgpr42
	v_cmpx_ne_u32_e64 v73, v74
	s_xor_b32 s12, exec_lo, s12
; %bb.3829:                             ;   in Loop: Header=BB4_2938 Depth=2
	v_cmp_lt_u32_e32 vcc_lo, 0xffffff, v63
	v_sub_nc_u32_e32 v42, v73, v74
	v_cndmask_b32_e64 v73, 0, 1, vcc_lo
	v_add_co_ci_u32_e64 v42, null, 0, v42, vcc_lo
	v_lshrrev_b32_e32 v63, v73, v63
; %bb.3830:                             ;   in Loop: Header=BB4_2938 Depth=2
	s_andn2_saveexec_b32 s12, s12
; %bb.3831:                             ;   in Loop: Header=BB4_2938 Depth=2
	v_bfe_u32 v42, v63, 23, 1
; %bb.3832:                             ;   in Loop: Header=BB4_2938 Depth=2
	s_or_b32 exec_lo, exec_lo, s12
	v_lshrrev_b32_e32 v63, 20, v63
	v_min_i32_e32 v73, 15, v42
	v_cmp_gt_i32_e32 vcc_lo, 16, v42
	v_and_b32_sdwa v58, v58, v85 dst_sel:DWORD dst_unused:UNUSED_PAD src0_sel:BYTE_3 src1_sel:DWORD
	v_lshlrev_b32_e32 v73, 3, v73
	v_cndmask_b32_e32 v63, 7, v63, vcc_lo
	v_and_b32_e32 v73, 0xf8, v73
	v_and_b32_e32 v74, 7, v63
	v_or_b32_e32 v42, v42, v63
	v_or3_b32 v58, v58, v73, v74
	v_cmp_ne_u32_e32 vcc_lo, 0, v42
	v_lshlrev_b32_e32 v58, 8, v58
	v_cndmask_b32_e32 v42, 0, v58, vcc_lo
.LBB4_3833:                             ;   in Loop: Header=BB4_2938 Depth=2
	s_or_b32 exec_lo, exec_lo, s40
.LBB4_3834:                             ;   in Loop: Header=BB4_2938 Depth=2
	s_or_b32 exec_lo, exec_lo, s29
	v_or_b32_e32 v40, v40, v117
	s_mov_b32 s12, 0
	v_cmp_gt_i16_sdwa s29, v40, v84 src0_sel:BYTE_0 src1_sel:DWORD
	s_and_saveexec_b32 s40, s29
	s_xor_b32 s29, exec_lo, s40
	s_cbranch_execz .LBB4_4184
; %bb.3835:                             ;   in Loop: Header=BB4_2938 Depth=2
	v_cmp_eq_u16_sdwa s41, v40, v85 src0_sel:BYTE_0 src1_sel:DWORD
	s_mov_b32 s12, -1
	s_and_saveexec_b32 s40, s41
; %bb.3836:                             ;   in Loop: Header=BB4_2938 Depth=2
	s_xor_b32 s12, exec_lo, -1
; %bb.3837:                             ;   in Loop: Header=BB4_2938 Depth=2
	s_or_b32 exec_lo, exec_lo, s40
	s_and_b32 s12, s12, exec_lo
	s_or_saveexec_b32 s29, s29
	v_mov_b32_e32 v117, 0x7f800001
	s_xor_b32 exec_lo, exec_lo, s29
	s_cbranch_execnz .LBB4_4185
.LBB4_3838:                             ;   in Loop: Header=BB4_2938 Depth=2
	s_or_b32 exec_lo, exec_lo, s29
	v_lshl_or_b32 v40, v40, 16, v45
	s_and_saveexec_b32 s29, s12
	s_cbranch_execz .LBB4_3840
.LBB4_3839:                             ;   in Loop: Header=BB4_2938 Depth=2
	v_bfe_u32 v117, v40, 16, 3
	v_bfe_u32 v63, v40, 19, 4
	v_lshlrev_b32_e32 v73, 8, v40
	v_ffbh_u32_e32 v45, v117
	v_cmp_eq_u32_e32 vcc_lo, 0, v63
	v_min_u32_e32 v45, 32, v45
	v_subrev_nc_u32_e32 v58, 28, v45
	v_sub_nc_u32_e32 v45, 29, v45
	v_lshlrev_b32_sdwa v58, v58, v40 dst_sel:DWORD dst_unused:UNUSED_PAD src0_sel:DWORD src1_sel:WORD_1
	v_cndmask_b32_e32 v45, v63, v45, vcc_lo
	v_and_b32_e32 v58, 7, v58
	v_lshl_add_u32 v45, v45, 23, 0x3b800000
	v_cndmask_b32_e32 v117, v117, v58, vcc_lo
	v_and_b32_e32 v58, 0x80000000, v73
	v_lshlrev_b32_e32 v117, 20, v117
	v_or3_b32 v117, v58, v45, v117
.LBB4_3840:                             ;   in Loop: Header=BB4_2938 Depth=2
	s_or_b32 exec_lo, exec_lo, s29
	v_and_b32_sdwa v58, v11, v96 dst_sel:DWORD dst_unused:UNUSED_PAD src0_sel:WORD_1 src1_sel:DWORD
	s_mov_b32 s12, 0
	s_mov_b32 s29, exec_lo
	v_cmpx_lt_i16_e32 0x7f, v58
	s_xor_b32 s29, exec_lo, s29
	s_cbranch_execz .LBB4_4186
; %bb.3841:                             ;   in Loop: Header=BB4_2938 Depth=2
	s_mov_b32 s12, -1
	s_mov_b32 s40, exec_lo
	v_cmpx_eq_u16_e32 0x80, v58
; %bb.3842:                             ;   in Loop: Header=BB4_2938 Depth=2
	s_xor_b32 s12, exec_lo, -1
; %bb.3843:                             ;   in Loop: Header=BB4_2938 Depth=2
	s_or_b32 exec_lo, exec_lo, s40
	s_and_b32 s12, s12, exec_lo
                                        ; implicit-def: $vgpr58
	s_or_saveexec_b32 s29, s29
	v_mov_b32_e32 v45, 0x7f800001
	s_xor_b32 exec_lo, exec_lo, s29
	s_cbranch_execnz .LBB4_4187
.LBB4_3844:                             ;   in Loop: Header=BB4_2938 Depth=2
	s_or_b32 exec_lo, exec_lo, s29
	s_and_saveexec_b32 s29, s12
	s_cbranch_execz .LBB4_3846
.LBB4_3845:                             ;   in Loop: Header=BB4_2938 Depth=2
	v_bfe_u32 v45, v11, 16, 3
	v_bfe_u32 v73, v11, 19, 4
	v_lshlrev_b32_e32 v74, 8, v11
	v_ffbh_u32_e32 v58, v45
	v_cmp_eq_u32_e32 vcc_lo, 0, v73
	v_min_u32_e32 v58, 32, v58
	v_subrev_nc_u32_e32 v63, 28, v58
	v_sub_nc_u32_e32 v58, 29, v58
	v_lshlrev_b32_sdwa v63, v63, v11 dst_sel:DWORD dst_unused:UNUSED_PAD src0_sel:DWORD src1_sel:WORD_1
	v_cndmask_b32_e32 v58, v73, v58, vcc_lo
	v_and_b32_e32 v63, 7, v63
	v_lshl_add_u32 v58, v58, 23, 0x3b800000
	v_cndmask_b32_e32 v45, v45, v63, vcc_lo
	v_and_b32_e32 v63, 0x80000000, v74
	v_lshlrev_b32_e32 v45, 20, v45
	v_or3_b32 v45, v63, v58, v45
.LBB4_3846:                             ;   in Loop: Header=BB4_2938 Depth=2
	s_or_b32 exec_lo, exec_lo, s29
	v_add_f32_e32 v45, v117, v45
	v_and_b32_e32 v117, 0x7f800000, v45
	v_cmp_ne_u32_e32 vcc_lo, 0x7f800000, v117
	v_mov_b32_e32 v117, 0x80
	s_and_saveexec_b32 s29, vcc_lo
	s_cbranch_execz .LBB4_3854
; %bb.3847:                             ;   in Loop: Header=BB4_2938 Depth=2
	v_mov_b32_e32 v117, 0
	s_mov_b32 s40, exec_lo
	v_cmpx_ne_u32_e32 0, v45
	s_cbranch_execz .LBB4_3853
; %bb.3848:                             ;   in Loop: Header=BB4_2938 Depth=2
	v_bfe_u32 v117, v45, 23, 8
	v_and_b32_e32 v58, 0x7fffff, v45
	v_sub_nc_u32_e32 v63, 0x78, v117
	v_cmp_gt_u32_e32 vcc_lo, 0x79, v117
	v_or_b32_e32 v73, 0x800000, v58
	v_cndmask_b32_e32 v63, 0, v63, vcc_lo
	v_cmp_eq_u32_e32 vcc_lo, 0, v117
	v_add_nc_u32_e32 v117, 0xffffff89, v117
	v_cndmask_b32_e64 v63, v63, 0x77, vcc_lo
	v_cndmask_b32_e32 v58, v73, v58, vcc_lo
	v_cndmask_b32_e64 v117, v117, 0xffffff8a, vcc_lo
	v_lshl_add_u32 v73, 0x100000, v63, -1
	v_lshrrev_b32_e32 v74, v63, v58
	v_lshlrev_b32_e64 v76, v63, 0x80000
	v_add_nc_u32_e32 v63, v63, v117
	v_and_b32_e32 v58, v73, v58
	v_bfe_u32 v75, v74, 20, 1
	v_cmp_eq_u32_e64 s12, v58, v76
	v_add_nc_u32_e32 v73, -1, v75
	v_cndmask_b32_e64 v58, 0, v73, s12
	v_lshrrev_b32_e32 v73, 23, v74
	s_mov_b32 s12, exec_lo
	v_add_nc_u32_e32 v58, v58, v74
	v_xor_b32_e32 v73, 1, v73
	v_and_b32_e32 v117, 0xfffff, v58
	v_add_nc_u32_e32 v58, v117, v74
                                        ; implicit-def: $vgpr117
	v_cmpx_ne_u32_e64 v63, v73
	s_xor_b32 s12, exec_lo, s12
; %bb.3849:                             ;   in Loop: Header=BB4_2938 Depth=2
	v_cmp_lt_u32_e32 vcc_lo, 0xffffff, v58
	v_sub_nc_u32_e32 v117, v63, v73
	v_cndmask_b32_e64 v63, 0, 1, vcc_lo
	v_add_co_ci_u32_e64 v117, null, 0, v117, vcc_lo
	v_lshrrev_b32_e32 v58, v63, v58
; %bb.3850:                             ;   in Loop: Header=BB4_2938 Depth=2
	s_andn2_saveexec_b32 s12, s12
; %bb.3851:                             ;   in Loop: Header=BB4_2938 Depth=2
	v_bfe_u32 v117, v58, 23, 1
; %bb.3852:                             ;   in Loop: Header=BB4_2938 Depth=2
	s_or_b32 exec_lo, exec_lo, s12
	v_lshrrev_b32_e32 v58, 20, v58
	v_min_i32_e32 v63, 15, v117
	v_cmp_gt_i32_e32 vcc_lo, 16, v117
	v_and_b32_sdwa v45, v45, v85 dst_sel:DWORD dst_unused:UNUSED_PAD src0_sel:BYTE_3 src1_sel:DWORD
	v_lshlrev_b32_e32 v63, 3, v63
	v_cndmask_b32_e32 v58, 7, v58, vcc_lo
	v_and_b32_e32 v63, 0xf8, v63
	v_and_b32_e32 v73, 7, v58
	v_or_b32_e32 v117, v117, v58
	v_or3_b32 v45, v63, v45, v73
	v_cmp_ne_u32_e32 vcc_lo, 0, v117
	v_cndmask_b32_e32 v117, 0, v45, vcc_lo
.LBB4_3853:                             ;   in Loop: Header=BB4_2938 Depth=2
	s_or_b32 exec_lo, exec_lo, s40
.LBB4_3854:                             ;   in Loop: Header=BB4_2938 Depth=2
	s_or_b32 exec_lo, exec_lo, s29
	v_cmp_gt_i16_sdwa s29, v40, v84 src0_sel:BYTE_3 src1_sel:DWORD
	s_mov_b32 s12, 0
	s_and_saveexec_b32 s40, s29
	s_xor_b32 s29, exec_lo, s40
	s_cbranch_execz .LBB4_4188
; %bb.3855:                             ;   in Loop: Header=BB4_2938 Depth=2
	v_cmp_eq_u16_sdwa s41, v40, v85 src0_sel:BYTE_3 src1_sel:DWORD
	s_mov_b32 s12, -1
	s_and_saveexec_b32 s40, s41
; %bb.3856:                             ;   in Loop: Header=BB4_2938 Depth=2
	s_xor_b32 s12, exec_lo, -1
; %bb.3857:                             ;   in Loop: Header=BB4_2938 Depth=2
	s_or_b32 exec_lo, exec_lo, s40
	s_and_b32 s12, s12, exec_lo
	s_or_saveexec_b32 s29, s29
	v_mov_b32_e32 v45, 0x7f800001
	s_xor_b32 exec_lo, exec_lo, s29
	s_cbranch_execnz .LBB4_4189
.LBB4_3858:                             ;   in Loop: Header=BB4_2938 Depth=2
	s_or_b32 exec_lo, exec_lo, s29
	s_and_saveexec_b32 s29, s12
	s_cbranch_execz .LBB4_3860
.LBB4_3859:                             ;   in Loop: Header=BB4_2938 Depth=2
	v_bfe_u32 v45, v40, 24, 3
	v_bfe_u32 v73, v40, 27, 4
	v_ffbh_u32_e32 v58, v45
	v_cmp_eq_u32_e32 vcc_lo, 0, v73
	v_min_u32_e32 v58, 32, v58
	v_subrev_nc_u32_e32 v63, 28, v58
	v_sub_nc_u32_e32 v58, 29, v58
	v_lshlrev_b32_sdwa v63, v63, v40 dst_sel:DWORD dst_unused:UNUSED_PAD src0_sel:DWORD src1_sel:BYTE_3
	v_cndmask_b32_e32 v58, v73, v58, vcc_lo
	v_and_b32_e32 v40, 0x80000000, v40
	v_and_b32_e32 v63, 7, v63
	v_lshl_add_u32 v58, v58, 23, 0x3b800000
	v_cndmask_b32_e32 v45, v45, v63, vcc_lo
	v_lshlrev_b32_e32 v45, 20, v45
	v_or3_b32 v45, v40, v58, v45
.LBB4_3860:                             ;   in Loop: Header=BB4_2938 Depth=2
	s_or_b32 exec_lo, exec_lo, s29
	v_cmp_gt_i16_sdwa s29, v11, v84 src0_sel:BYTE_3 src1_sel:DWORD
	s_mov_b32 s12, 0
	s_and_saveexec_b32 s40, s29
	s_xor_b32 s29, exec_lo, s40
	s_cbranch_execz .LBB4_4190
; %bb.3861:                             ;   in Loop: Header=BB4_2938 Depth=2
	v_cmp_eq_u16_sdwa s41, v11, v85 src0_sel:BYTE_3 src1_sel:DWORD
	s_mov_b32 s12, -1
	s_and_saveexec_b32 s40, s41
; %bb.3862:                             ;   in Loop: Header=BB4_2938 Depth=2
	s_xor_b32 s12, exec_lo, -1
; %bb.3863:                             ;   in Loop: Header=BB4_2938 Depth=2
	s_or_b32 exec_lo, exec_lo, s40
	s_and_b32 s12, s12, exec_lo
	s_or_saveexec_b32 s29, s29
	v_mov_b32_e32 v40, 0x7f800001
	s_xor_b32 exec_lo, exec_lo, s29
	s_cbranch_execnz .LBB4_4191
.LBB4_3864:                             ;   in Loop: Header=BB4_2938 Depth=2
	s_or_b32 exec_lo, exec_lo, s29
	s_and_saveexec_b32 s29, s12
	s_cbranch_execz .LBB4_3866
.LBB4_3865:                             ;   in Loop: Header=BB4_2938 Depth=2
	v_bfe_u32 v40, v11, 24, 3
	v_bfe_u32 v73, v11, 27, 4
	v_ffbh_u32_e32 v58, v40
	v_cmp_eq_u32_e32 vcc_lo, 0, v73
	v_min_u32_e32 v58, 32, v58
	v_subrev_nc_u32_e32 v63, 28, v58
	v_sub_nc_u32_e32 v58, 29, v58
	v_lshlrev_b32_sdwa v63, v63, v11 dst_sel:DWORD dst_unused:UNUSED_PAD src0_sel:DWORD src1_sel:BYTE_3
	v_cndmask_b32_e32 v58, v73, v58, vcc_lo
	v_and_b32_e32 v11, 0x80000000, v11
	v_and_b32_e32 v63, 7, v63
	v_lshl_add_u32 v58, v58, 23, 0x3b800000
	v_cndmask_b32_e32 v40, v40, v63, vcc_lo
	v_lshlrev_b32_e32 v40, 20, v40
	v_or3_b32 v40, v11, v58, v40
.LBB4_3866:                             ;   in Loop: Header=BB4_2938 Depth=2
	s_or_b32 exec_lo, exec_lo, s29
	v_add_f32_e32 v40, v45, v40
	v_and_b32_e32 v11, 0x7f800000, v40
	v_cmp_ne_u32_e32 vcc_lo, 0x7f800000, v11
	v_mov_b32_e32 v11, 0x8000
	s_and_saveexec_b32 s29, vcc_lo
	s_cbranch_execz .LBB4_3874
; %bb.3867:                             ;   in Loop: Header=BB4_2938 Depth=2
	v_mov_b32_e32 v11, 0
	s_mov_b32 s40, exec_lo
	v_cmpx_ne_u32_e32 0, v40
	s_cbranch_execz .LBB4_3873
; %bb.3868:                             ;   in Loop: Header=BB4_2938 Depth=2
	v_bfe_u32 v11, v40, 23, 8
	v_and_b32_e32 v45, 0x7fffff, v40
	v_sub_nc_u32_e32 v58, 0x78, v11
	v_cmp_gt_u32_e32 vcc_lo, 0x79, v11
	v_or_b32_e32 v63, 0x800000, v45
	v_cndmask_b32_e32 v58, 0, v58, vcc_lo
	v_cmp_eq_u32_e32 vcc_lo, 0, v11
	v_add_nc_u32_e32 v11, 0xffffff89, v11
	v_cndmask_b32_e64 v58, v58, 0x77, vcc_lo
	v_cndmask_b32_e32 v45, v63, v45, vcc_lo
	v_cndmask_b32_e64 v11, v11, 0xffffff8a, vcc_lo
	v_lshl_add_u32 v63, 0x100000, v58, -1
	v_lshrrev_b32_e32 v73, v58, v45
	v_lshlrev_b32_e64 v75, v58, 0x80000
	v_add_nc_u32_e32 v58, v58, v11
	v_and_b32_e32 v45, v63, v45
	v_bfe_u32 v74, v73, 20, 1
	v_cmp_eq_u32_e64 s12, v45, v75
	v_add_nc_u32_e32 v63, -1, v74
	v_cndmask_b32_e64 v45, 0, v63, s12
	v_lshrrev_b32_e32 v63, 23, v73
	s_mov_b32 s12, exec_lo
	v_add_nc_u32_e32 v45, v45, v73
	v_xor_b32_e32 v63, 1, v63
	v_and_b32_e32 v11, 0xfffff, v45
	v_add_nc_u32_e32 v45, v11, v73
                                        ; implicit-def: $vgpr11
	v_cmpx_ne_u32_e64 v58, v63
	s_xor_b32 s12, exec_lo, s12
; %bb.3869:                             ;   in Loop: Header=BB4_2938 Depth=2
	v_cmp_lt_u32_e32 vcc_lo, 0xffffff, v45
	v_sub_nc_u32_e32 v11, v58, v63
	v_cndmask_b32_e64 v58, 0, 1, vcc_lo
	v_add_co_ci_u32_e64 v11, null, 0, v11, vcc_lo
	v_lshrrev_b32_e32 v45, v58, v45
; %bb.3870:                             ;   in Loop: Header=BB4_2938 Depth=2
	s_andn2_saveexec_b32 s12, s12
; %bb.3871:                             ;   in Loop: Header=BB4_2938 Depth=2
	v_bfe_u32 v11, v45, 23, 1
; %bb.3872:                             ;   in Loop: Header=BB4_2938 Depth=2
	s_or_b32 exec_lo, exec_lo, s12
	v_lshrrev_b32_e32 v45, 20, v45
	v_min_i32_e32 v58, 15, v11
	v_cmp_gt_i32_e32 vcc_lo, 16, v11
	v_and_b32_sdwa v40, v40, v85 dst_sel:DWORD dst_unused:UNUSED_PAD src0_sel:BYTE_3 src1_sel:DWORD
	v_lshlrev_b32_e32 v58, 3, v58
	v_cndmask_b32_e32 v45, 7, v45, vcc_lo
	v_and_b32_e32 v58, 0xf8, v58
	v_and_b32_e32 v63, 7, v45
	v_or_b32_e32 v11, v11, v45
	v_or3_b32 v40, v40, v58, v63
	v_cmp_ne_u32_e32 vcc_lo, 0, v11
	v_lshlrev_b32_e32 v40, 8, v40
	v_cndmask_b32_e32 v11, 0, v40, vcc_lo
.LBB4_3873:                             ;   in Loop: Header=BB4_2938 Depth=2
	s_or_b32 exec_lo, exec_lo, s40
.LBB4_3874:                             ;   in Loop: Header=BB4_2938 Depth=2
	s_or_b32 exec_lo, exec_lo, s29
	v_or_b32_e32 v40, v118, v114
	s_mov_b32 s12, 0
	v_cmp_gt_i16_sdwa s29, v40, v84 src0_sel:BYTE_0 src1_sel:DWORD
	s_and_saveexec_b32 s40, s29
	s_xor_b32 s29, exec_lo, s40
	s_cbranch_execz .LBB4_4192
; %bb.3875:                             ;   in Loop: Header=BB4_2938 Depth=2
	v_cmp_eq_u16_sdwa s41, v40, v85 src0_sel:BYTE_0 src1_sel:DWORD
	s_mov_b32 s12, -1
	s_and_saveexec_b32 s40, s41
; %bb.3876:                             ;   in Loop: Header=BB4_2938 Depth=2
	s_xor_b32 s12, exec_lo, -1
; %bb.3877:                             ;   in Loop: Header=BB4_2938 Depth=2
	s_or_b32 exec_lo, exec_lo, s40
	s_and_b32 s12, s12, exec_lo
	s_or_saveexec_b32 s29, s29
	v_mov_b32_e32 v114, 0x7f800001
	s_xor_b32 exec_lo, exec_lo, s29
	s_cbranch_execnz .LBB4_4193
.LBB4_3878:                             ;   in Loop: Header=BB4_2938 Depth=2
	s_or_b32 exec_lo, exec_lo, s29
	s_and_saveexec_b32 s29, s12
	s_cbranch_execz .LBB4_3880
.LBB4_3879:                             ;   in Loop: Header=BB4_2938 Depth=2
	v_and_b32_e32 v114, 7, v40
	v_bfe_u32 v58, v40, 3, 4
	v_lshlrev_b32_e32 v63, 24, v40
	v_ffbh_u32_e32 v118, v114
	v_cmp_eq_u32_e32 vcc_lo, 0, v58
	v_min_u32_e32 v118, 32, v118
	v_subrev_nc_u32_e32 v45, 28, v118
	v_sub_nc_u32_e32 v118, 29, v118
	v_lshlrev_b32_e32 v45, v45, v40
	v_cndmask_b32_e32 v118, v58, v118, vcc_lo
	v_and_b32_e32 v45, 7, v45
	v_lshl_add_u32 v118, v118, 23, 0x3b800000
	v_cndmask_b32_e32 v114, v114, v45, vcc_lo
	v_and_b32_e32 v45, 0x80000000, v63
	v_lshlrev_b32_e32 v114, 20, v114
	v_or3_b32 v114, v45, v118, v114
.LBB4_3880:                             ;   in Loop: Header=BB4_2938 Depth=2
	s_or_b32 exec_lo, exec_lo, s29
	v_cmp_gt_i16_sdwa s29, v12, v84 src0_sel:BYTE_0 src1_sel:DWORD
	s_mov_b32 s12, 0
	s_and_saveexec_b32 s40, s29
	s_xor_b32 s29, exec_lo, s40
	s_cbranch_execz .LBB4_4194
; %bb.3881:                             ;   in Loop: Header=BB4_2938 Depth=2
	v_cmp_eq_u16_sdwa s41, v12, v85 src0_sel:BYTE_0 src1_sel:DWORD
	s_mov_b32 s12, -1
	s_and_saveexec_b32 s40, s41
; %bb.3882:                             ;   in Loop: Header=BB4_2938 Depth=2
	s_xor_b32 s12, exec_lo, -1
; %bb.3883:                             ;   in Loop: Header=BB4_2938 Depth=2
	s_or_b32 exec_lo, exec_lo, s40
	s_and_b32 s12, s12, exec_lo
	s_or_saveexec_b32 s29, s29
	v_mov_b32_e32 v118, 0x7f800001
	s_xor_b32 exec_lo, exec_lo, s29
	s_cbranch_execnz .LBB4_4195
.LBB4_3884:                             ;   in Loop: Header=BB4_2938 Depth=2
	s_or_b32 exec_lo, exec_lo, s29
	s_and_saveexec_b32 s29, s12
	s_cbranch_execz .LBB4_3886
.LBB4_3885:                             ;   in Loop: Header=BB4_2938 Depth=2
	v_and_b32_e32 v118, 7, v12
	v_bfe_u32 v63, v12, 3, 4
	v_lshlrev_b32_e32 v73, 24, v12
	v_ffbh_u32_e32 v45, v118
	v_cmp_eq_u32_e32 vcc_lo, 0, v63
	v_min_u32_e32 v45, 32, v45
	v_subrev_nc_u32_e32 v58, 28, v45
	v_sub_nc_u32_e32 v45, 29, v45
	v_lshlrev_b32_e32 v58, v58, v12
	v_cndmask_b32_e32 v45, v63, v45, vcc_lo
	v_and_b32_e32 v58, 7, v58
	v_lshl_add_u32 v45, v45, 23, 0x3b800000
	v_cndmask_b32_e32 v118, v118, v58, vcc_lo
	v_and_b32_e32 v58, 0x80000000, v73
	v_lshlrev_b32_e32 v118, 20, v118
	v_or3_b32 v118, v58, v45, v118
.LBB4_3886:                             ;   in Loop: Header=BB4_2938 Depth=2
	s_or_b32 exec_lo, exec_lo, s29
	v_add_f32_e32 v118, v114, v118
	v_and_b32_e32 v114, 0x7f800000, v118
	v_cmp_ne_u32_e32 vcc_lo, 0x7f800000, v114
	v_mov_b32_e32 v114, 0x80
	s_and_saveexec_b32 s29, vcc_lo
	s_cbranch_execz .LBB4_3894
; %bb.3887:                             ;   in Loop: Header=BB4_2938 Depth=2
	v_mov_b32_e32 v114, 0
	s_mov_b32 s40, exec_lo
	v_cmpx_ne_u32_e32 0, v118
	s_cbranch_execz .LBB4_3893
; %bb.3888:                             ;   in Loop: Header=BB4_2938 Depth=2
	v_bfe_u32 v114, v118, 23, 8
	v_and_b32_e32 v45, 0x7fffff, v118
	v_sub_nc_u32_e32 v58, 0x78, v114
	v_cmp_gt_u32_e32 vcc_lo, 0x79, v114
	v_or_b32_e32 v63, 0x800000, v45
	v_cndmask_b32_e32 v58, 0, v58, vcc_lo
	v_cmp_eq_u32_e32 vcc_lo, 0, v114
	v_add_nc_u32_e32 v114, 0xffffff89, v114
	v_cndmask_b32_e64 v58, v58, 0x77, vcc_lo
	v_cndmask_b32_e32 v45, v63, v45, vcc_lo
	v_cndmask_b32_e64 v114, v114, 0xffffff8a, vcc_lo
	v_lshl_add_u32 v63, 0x100000, v58, -1
	v_lshrrev_b32_e32 v73, v58, v45
	v_lshlrev_b32_e64 v75, v58, 0x80000
	v_add_nc_u32_e32 v58, v58, v114
	v_and_b32_e32 v45, v63, v45
	v_bfe_u32 v74, v73, 20, 1
	v_cmp_eq_u32_e64 s12, v45, v75
	v_add_nc_u32_e32 v63, -1, v74
	v_cndmask_b32_e64 v45, 0, v63, s12
	v_lshrrev_b32_e32 v63, 23, v73
	s_mov_b32 s12, exec_lo
	v_add_nc_u32_e32 v45, v45, v73
	v_xor_b32_e32 v63, 1, v63
	v_and_b32_e32 v114, 0xfffff, v45
	v_add_nc_u32_e32 v45, v114, v73
                                        ; implicit-def: $vgpr114
	v_cmpx_ne_u32_e64 v58, v63
	s_xor_b32 s12, exec_lo, s12
; %bb.3889:                             ;   in Loop: Header=BB4_2938 Depth=2
	v_cmp_lt_u32_e32 vcc_lo, 0xffffff, v45
	v_sub_nc_u32_e32 v114, v58, v63
	v_cndmask_b32_e64 v58, 0, 1, vcc_lo
	v_add_co_ci_u32_e64 v114, null, 0, v114, vcc_lo
	v_lshrrev_b32_e32 v45, v58, v45
; %bb.3890:                             ;   in Loop: Header=BB4_2938 Depth=2
	s_andn2_saveexec_b32 s12, s12
; %bb.3891:                             ;   in Loop: Header=BB4_2938 Depth=2
	v_bfe_u32 v114, v45, 23, 1
; %bb.3892:                             ;   in Loop: Header=BB4_2938 Depth=2
	s_or_b32 exec_lo, exec_lo, s12
	v_lshrrev_b32_e32 v45, 20, v45
	v_min_i32_e32 v58, 15, v114
	v_cmp_gt_i32_e32 vcc_lo, 16, v114
	v_and_b32_sdwa v118, v118, v85 dst_sel:DWORD dst_unused:UNUSED_PAD src0_sel:BYTE_3 src1_sel:DWORD
	v_lshlrev_b32_e32 v58, 3, v58
	v_cndmask_b32_e32 v45, 7, v45, vcc_lo
	v_and_b32_e32 v58, 0xf8, v58
	v_and_b32_e32 v63, 7, v45
	v_or_b32_e32 v114, v114, v45
	v_or3_b32 v118, v58, v118, v63
	v_cmp_ne_u32_e32 vcc_lo, 0, v114
	v_cndmask_b32_e32 v114, 0, v118, vcc_lo
.LBB4_3893:                             ;   in Loop: Header=BB4_2938 Depth=2
	s_or_b32 exec_lo, exec_lo, s40
.LBB4_3894:                             ;   in Loop: Header=BB4_2938 Depth=2
	s_or_b32 exec_lo, exec_lo, s29
	v_cmp_gt_i16_sdwa s29, v40, v84 src0_sel:BYTE_1 src1_sel:DWORD
	s_mov_b32 s12, 0
	s_and_saveexec_b32 s40, s29
	s_xor_b32 s29, exec_lo, s40
	s_cbranch_execz .LBB4_4196
; %bb.3895:                             ;   in Loop: Header=BB4_2938 Depth=2
	v_cmp_eq_u16_sdwa s41, v40, v85 src0_sel:BYTE_1 src1_sel:DWORD
	s_mov_b32 s12, -1
	s_and_saveexec_b32 s40, s41
; %bb.3896:                             ;   in Loop: Header=BB4_2938 Depth=2
	s_xor_b32 s12, exec_lo, -1
; %bb.3897:                             ;   in Loop: Header=BB4_2938 Depth=2
	s_or_b32 exec_lo, exec_lo, s40
	s_and_b32 s12, s12, exec_lo
	s_or_saveexec_b32 s29, s29
	v_mov_b32_e32 v118, 0x7f800001
	s_xor_b32 exec_lo, exec_lo, s29
	s_cbranch_execnz .LBB4_4197
.LBB4_3898:                             ;   in Loop: Header=BB4_2938 Depth=2
	s_or_b32 exec_lo, exec_lo, s29
	s_and_saveexec_b32 s29, s12
	s_cbranch_execz .LBB4_3900
.LBB4_3899:                             ;   in Loop: Header=BB4_2938 Depth=2
	v_and_b32_sdwa v118, v86, v40 dst_sel:DWORD dst_unused:UNUSED_PAD src0_sel:DWORD src1_sel:BYTE_1
	v_and_b32_e32 v45, 7, v118
	v_bfe_u32 v73, v118, 3, 4
	v_ffbh_u32_e32 v58, v45
	v_cmp_eq_u32_e32 vcc_lo, 0, v73
	v_min_u32_e32 v58, 32, v58
	v_subrev_nc_u32_e32 v63, 28, v58
	v_sub_nc_u32_e32 v58, 29, v58
	v_lshlrev_b32_e32 v118, v63, v118
	v_lshlrev_b32_sdwa v63, v87, v40 dst_sel:DWORD dst_unused:UNUSED_PAD src0_sel:DWORD src1_sel:BYTE_1
	v_cndmask_b32_e32 v58, v73, v58, vcc_lo
	v_and_b32_e32 v118, 7, v118
	v_lshl_add_u32 v58, v58, 23, 0x3b800000
	v_cndmask_b32_e32 v118, v45, v118, vcc_lo
	v_and_b32_e32 v45, 0x80000000, v63
	v_lshlrev_b32_e32 v118, 20, v118
	v_or3_b32 v118, v45, v58, v118
.LBB4_3900:                             ;   in Loop: Header=BB4_2938 Depth=2
	s_or_b32 exec_lo, exec_lo, s29
	v_cmp_gt_i16_sdwa s29, v12, v84 src0_sel:BYTE_1 src1_sel:DWORD
	s_mov_b32 s12, 0
	s_and_saveexec_b32 s40, s29
	s_xor_b32 s29, exec_lo, s40
	s_cbranch_execz .LBB4_4198
; %bb.3901:                             ;   in Loop: Header=BB4_2938 Depth=2
	v_cmp_eq_u16_sdwa s41, v12, v85 src0_sel:BYTE_1 src1_sel:DWORD
	s_mov_b32 s12, -1
	s_and_saveexec_b32 s40, s41
; %bb.3902:                             ;   in Loop: Header=BB4_2938 Depth=2
	s_xor_b32 s12, exec_lo, -1
; %bb.3903:                             ;   in Loop: Header=BB4_2938 Depth=2
	s_or_b32 exec_lo, exec_lo, s40
	s_and_b32 s12, s12, exec_lo
	s_or_saveexec_b32 s29, s29
	v_mov_b32_e32 v45, 0x7f800001
	s_xor_b32 exec_lo, exec_lo, s29
	s_cbranch_execnz .LBB4_4199
.LBB4_3904:                             ;   in Loop: Header=BB4_2938 Depth=2
	s_or_b32 exec_lo, exec_lo, s29
	s_and_saveexec_b32 s29, s12
	s_cbranch_execz .LBB4_3906
.LBB4_3905:                             ;   in Loop: Header=BB4_2938 Depth=2
	v_and_b32_sdwa v45, v86, v12 dst_sel:DWORD dst_unused:UNUSED_PAD src0_sel:DWORD src1_sel:BYTE_1
	v_and_b32_e32 v58, 7, v45
	v_bfe_u32 v74, v45, 3, 4
	v_ffbh_u32_e32 v63, v58
	v_cmp_eq_u32_e32 vcc_lo, 0, v74
	v_min_u32_e32 v63, 32, v63
	v_subrev_nc_u32_e32 v73, 28, v63
	v_sub_nc_u32_e32 v63, 29, v63
	v_lshlrev_b32_e32 v45, v73, v45
	v_lshlrev_b32_sdwa v73, v87, v12 dst_sel:DWORD dst_unused:UNUSED_PAD src0_sel:DWORD src1_sel:BYTE_1
	v_cndmask_b32_e32 v63, v74, v63, vcc_lo
	v_and_b32_e32 v45, 7, v45
	v_lshl_add_u32 v63, v63, 23, 0x3b800000
	v_cndmask_b32_e32 v45, v58, v45, vcc_lo
	v_and_b32_e32 v58, 0x80000000, v73
	v_lshlrev_b32_e32 v45, 20, v45
	v_or3_b32 v45, v58, v63, v45
.LBB4_3906:                             ;   in Loop: Header=BB4_2938 Depth=2
	s_or_b32 exec_lo, exec_lo, s29
	v_add_f32_e32 v45, v118, v45
	v_and_b32_e32 v118, 0x7f800000, v45
	v_cmp_ne_u32_e32 vcc_lo, 0x7f800000, v118
	v_mov_b32_e32 v118, 0x8000
	s_and_saveexec_b32 s29, vcc_lo
	s_cbranch_execz .LBB4_3914
; %bb.3907:                             ;   in Loop: Header=BB4_2938 Depth=2
	v_mov_b32_e32 v118, 0
	s_mov_b32 s40, exec_lo
	v_cmpx_ne_u32_e32 0, v45
	s_cbranch_execz .LBB4_3913
; %bb.3908:                             ;   in Loop: Header=BB4_2938 Depth=2
	v_bfe_u32 v118, v45, 23, 8
	v_and_b32_e32 v58, 0x7fffff, v45
	v_sub_nc_u32_e32 v63, 0x78, v118
	v_cmp_gt_u32_e32 vcc_lo, 0x79, v118
	v_or_b32_e32 v73, 0x800000, v58
	v_cndmask_b32_e32 v63, 0, v63, vcc_lo
	v_cmp_eq_u32_e32 vcc_lo, 0, v118
	v_add_nc_u32_e32 v118, 0xffffff89, v118
	v_cndmask_b32_e64 v63, v63, 0x77, vcc_lo
	v_cndmask_b32_e32 v58, v73, v58, vcc_lo
	v_cndmask_b32_e64 v118, v118, 0xffffff8a, vcc_lo
	v_lshl_add_u32 v73, 0x100000, v63, -1
	v_lshrrev_b32_e32 v74, v63, v58
	v_lshlrev_b32_e64 v76, v63, 0x80000
	v_add_nc_u32_e32 v63, v63, v118
	v_and_b32_e32 v58, v73, v58
	v_bfe_u32 v75, v74, 20, 1
	v_cmp_eq_u32_e64 s12, v58, v76
	v_add_nc_u32_e32 v73, -1, v75
	v_cndmask_b32_e64 v58, 0, v73, s12
	v_lshrrev_b32_e32 v73, 23, v74
	s_mov_b32 s12, exec_lo
	v_add_nc_u32_e32 v58, v58, v74
	v_xor_b32_e32 v73, 1, v73
	v_and_b32_e32 v118, 0xfffff, v58
	v_add_nc_u32_e32 v58, v118, v74
                                        ; implicit-def: $vgpr118
	v_cmpx_ne_u32_e64 v63, v73
	s_xor_b32 s12, exec_lo, s12
; %bb.3909:                             ;   in Loop: Header=BB4_2938 Depth=2
	v_cmp_lt_u32_e32 vcc_lo, 0xffffff, v58
	v_sub_nc_u32_e32 v118, v63, v73
	v_cndmask_b32_e64 v63, 0, 1, vcc_lo
	v_add_co_ci_u32_e64 v118, null, 0, v118, vcc_lo
	v_lshrrev_b32_e32 v58, v63, v58
; %bb.3910:                             ;   in Loop: Header=BB4_2938 Depth=2
	s_andn2_saveexec_b32 s12, s12
; %bb.3911:                             ;   in Loop: Header=BB4_2938 Depth=2
	v_bfe_u32 v118, v58, 23, 1
; %bb.3912:                             ;   in Loop: Header=BB4_2938 Depth=2
	s_or_b32 exec_lo, exec_lo, s12
	v_lshrrev_b32_e32 v58, 20, v58
	v_min_i32_e32 v63, 15, v118
	v_cmp_gt_i32_e32 vcc_lo, 16, v118
	v_and_b32_sdwa v45, v45, v85 dst_sel:DWORD dst_unused:UNUSED_PAD src0_sel:BYTE_3 src1_sel:DWORD
	v_lshlrev_b32_e32 v63, 3, v63
	v_cndmask_b32_e32 v58, 7, v58, vcc_lo
	v_and_b32_e32 v63, 0xf8, v63
	v_and_b32_e32 v73, 7, v58
	v_or_b32_e32 v118, v118, v58
	v_or3_b32 v45, v45, v63, v73
	v_cmp_ne_u32_e32 vcc_lo, 0, v118
	v_lshlrev_b32_e32 v45, 8, v45
	v_cndmask_b32_e32 v118, 0, v45, vcc_lo
.LBB4_3913:                             ;   in Loop: Header=BB4_2938 Depth=2
	s_or_b32 exec_lo, exec_lo, s40
.LBB4_3914:                             ;   in Loop: Header=BB4_2938 Depth=2
	s_or_b32 exec_lo, exec_lo, s29
	v_or_b32_e32 v116, v116, v112
	s_mov_b32 s12, 0
	v_cmp_gt_i16_sdwa s29, v116, v84 src0_sel:BYTE_0 src1_sel:DWORD
	s_and_saveexec_b32 s40, s29
	s_xor_b32 s29, exec_lo, s40
	s_cbranch_execz .LBB4_4200
; %bb.3915:                             ;   in Loop: Header=BB4_2938 Depth=2
	v_cmp_eq_u16_sdwa s41, v116, v85 src0_sel:BYTE_0 src1_sel:DWORD
	s_mov_b32 s12, -1
	s_and_saveexec_b32 s40, s41
; %bb.3916:                             ;   in Loop: Header=BB4_2938 Depth=2
	s_xor_b32 s12, exec_lo, -1
; %bb.3917:                             ;   in Loop: Header=BB4_2938 Depth=2
	s_or_b32 exec_lo, exec_lo, s40
	s_and_b32 s12, s12, exec_lo
	s_or_saveexec_b32 s29, s29
	v_mov_b32_e32 v112, 0x7f800001
	s_xor_b32 exec_lo, exec_lo, s29
	s_cbranch_execnz .LBB4_4201
.LBB4_3918:                             ;   in Loop: Header=BB4_2938 Depth=2
	s_or_b32 exec_lo, exec_lo, s29
	v_lshl_or_b32 v116, v116, 16, v40
	s_and_saveexec_b32 s29, s12
	s_cbranch_execz .LBB4_3920
.LBB4_3919:                             ;   in Loop: Header=BB4_2938 Depth=2
	v_bfe_u32 v112, v116, 16, 3
	v_bfe_u32 v58, v116, 19, 4
	v_lshlrev_b32_e32 v63, 8, v116
	v_ffbh_u32_e32 v40, v112
	v_cmp_eq_u32_e32 vcc_lo, 0, v58
	v_min_u32_e32 v40, 32, v40
	v_subrev_nc_u32_e32 v45, 28, v40
	v_sub_nc_u32_e32 v40, 29, v40
	v_lshlrev_b32_sdwa v45, v45, v116 dst_sel:DWORD dst_unused:UNUSED_PAD src0_sel:DWORD src1_sel:WORD_1
	v_cndmask_b32_e32 v40, v58, v40, vcc_lo
	v_and_b32_e32 v45, 7, v45
	v_lshl_add_u32 v40, v40, 23, 0x3b800000
	v_cndmask_b32_e32 v112, v112, v45, vcc_lo
	v_and_b32_e32 v45, 0x80000000, v63
	v_lshlrev_b32_e32 v112, 20, v112
	v_or3_b32 v112, v45, v40, v112
.LBB4_3920:                             ;   in Loop: Header=BB4_2938 Depth=2
	s_or_b32 exec_lo, exec_lo, s29
	v_and_b32_sdwa v45, v12, v96 dst_sel:DWORD dst_unused:UNUSED_PAD src0_sel:WORD_1 src1_sel:DWORD
	s_mov_b32 s12, 0
	s_mov_b32 s29, exec_lo
	v_cmpx_lt_i16_e32 0x7f, v45
	s_xor_b32 s29, exec_lo, s29
	s_cbranch_execz .LBB4_4202
; %bb.3921:                             ;   in Loop: Header=BB4_2938 Depth=2
	s_mov_b32 s12, -1
	s_mov_b32 s40, exec_lo
	v_cmpx_eq_u16_e32 0x80, v45
; %bb.3922:                             ;   in Loop: Header=BB4_2938 Depth=2
	s_xor_b32 s12, exec_lo, -1
; %bb.3923:                             ;   in Loop: Header=BB4_2938 Depth=2
	s_or_b32 exec_lo, exec_lo, s40
	s_and_b32 s12, s12, exec_lo
                                        ; implicit-def: $vgpr45
	s_or_saveexec_b32 s29, s29
	v_mov_b32_e32 v40, 0x7f800001
	s_xor_b32 exec_lo, exec_lo, s29
	s_cbranch_execnz .LBB4_4203
.LBB4_3924:                             ;   in Loop: Header=BB4_2938 Depth=2
	s_or_b32 exec_lo, exec_lo, s29
	s_and_saveexec_b32 s29, s12
	s_cbranch_execz .LBB4_3926
.LBB4_3925:                             ;   in Loop: Header=BB4_2938 Depth=2
	v_bfe_u32 v40, v12, 16, 3
	v_bfe_u32 v63, v12, 19, 4
	v_lshlrev_b32_e32 v73, 8, v12
	v_ffbh_u32_e32 v45, v40
	v_cmp_eq_u32_e32 vcc_lo, 0, v63
	v_min_u32_e32 v45, 32, v45
	v_subrev_nc_u32_e32 v58, 28, v45
	v_sub_nc_u32_e32 v45, 29, v45
	v_lshlrev_b32_sdwa v58, v58, v12 dst_sel:DWORD dst_unused:UNUSED_PAD src0_sel:DWORD src1_sel:WORD_1
	v_cndmask_b32_e32 v45, v63, v45, vcc_lo
	v_and_b32_e32 v58, 7, v58
	v_lshl_add_u32 v45, v45, 23, 0x3b800000
	v_cndmask_b32_e32 v40, v40, v58, vcc_lo
	v_and_b32_e32 v58, 0x80000000, v73
	v_lshlrev_b32_e32 v40, 20, v40
	v_or3_b32 v40, v58, v45, v40
.LBB4_3926:                             ;   in Loop: Header=BB4_2938 Depth=2
	s_or_b32 exec_lo, exec_lo, s29
	v_add_f32_e32 v40, v112, v40
	v_and_b32_e32 v112, 0x7f800000, v40
	v_cmp_ne_u32_e32 vcc_lo, 0x7f800000, v112
	v_mov_b32_e32 v112, 0x80
	s_and_saveexec_b32 s29, vcc_lo
	s_cbranch_execz .LBB4_3934
; %bb.3927:                             ;   in Loop: Header=BB4_2938 Depth=2
	v_mov_b32_e32 v112, 0
	s_mov_b32 s40, exec_lo
	v_cmpx_ne_u32_e32 0, v40
	s_cbranch_execz .LBB4_3933
; %bb.3928:                             ;   in Loop: Header=BB4_2938 Depth=2
	v_bfe_u32 v112, v40, 23, 8
	v_and_b32_e32 v45, 0x7fffff, v40
	v_sub_nc_u32_e32 v58, 0x78, v112
	v_cmp_gt_u32_e32 vcc_lo, 0x79, v112
	v_or_b32_e32 v63, 0x800000, v45
	v_cndmask_b32_e32 v58, 0, v58, vcc_lo
	v_cmp_eq_u32_e32 vcc_lo, 0, v112
	v_add_nc_u32_e32 v112, 0xffffff89, v112
	v_cndmask_b32_e64 v58, v58, 0x77, vcc_lo
	v_cndmask_b32_e32 v45, v63, v45, vcc_lo
	v_cndmask_b32_e64 v112, v112, 0xffffff8a, vcc_lo
	v_lshl_add_u32 v63, 0x100000, v58, -1
	v_lshrrev_b32_e32 v73, v58, v45
	v_lshlrev_b32_e64 v75, v58, 0x80000
	v_add_nc_u32_e32 v58, v58, v112
	v_and_b32_e32 v45, v63, v45
	v_bfe_u32 v74, v73, 20, 1
	v_cmp_eq_u32_e64 s12, v45, v75
	v_add_nc_u32_e32 v63, -1, v74
	v_cndmask_b32_e64 v45, 0, v63, s12
	v_lshrrev_b32_e32 v63, 23, v73
	s_mov_b32 s12, exec_lo
	v_add_nc_u32_e32 v45, v45, v73
	v_xor_b32_e32 v63, 1, v63
	v_and_b32_e32 v112, 0xfffff, v45
	v_add_nc_u32_e32 v45, v112, v73
                                        ; implicit-def: $vgpr112
	v_cmpx_ne_u32_e64 v58, v63
	s_xor_b32 s12, exec_lo, s12
; %bb.3929:                             ;   in Loop: Header=BB4_2938 Depth=2
	v_cmp_lt_u32_e32 vcc_lo, 0xffffff, v45
	v_sub_nc_u32_e32 v112, v58, v63
	v_cndmask_b32_e64 v58, 0, 1, vcc_lo
	v_add_co_ci_u32_e64 v112, null, 0, v112, vcc_lo
	v_lshrrev_b32_e32 v45, v58, v45
; %bb.3930:                             ;   in Loop: Header=BB4_2938 Depth=2
	s_andn2_saveexec_b32 s12, s12
; %bb.3931:                             ;   in Loop: Header=BB4_2938 Depth=2
	v_bfe_u32 v112, v45, 23, 1
; %bb.3932:                             ;   in Loop: Header=BB4_2938 Depth=2
	s_or_b32 exec_lo, exec_lo, s12
	v_lshrrev_b32_e32 v45, 20, v45
	v_min_i32_e32 v58, 15, v112
	v_cmp_gt_i32_e32 vcc_lo, 16, v112
	v_and_b32_sdwa v40, v40, v85 dst_sel:DWORD dst_unused:UNUSED_PAD src0_sel:BYTE_3 src1_sel:DWORD
	v_lshlrev_b32_e32 v58, 3, v58
	v_cndmask_b32_e32 v45, 7, v45, vcc_lo
	v_and_b32_e32 v58, 0xf8, v58
	v_and_b32_e32 v63, 7, v45
	v_or_b32_e32 v112, v112, v45
	v_or3_b32 v40, v58, v40, v63
	v_cmp_ne_u32_e32 vcc_lo, 0, v112
	v_cndmask_b32_e32 v112, 0, v40, vcc_lo
.LBB4_3933:                             ;   in Loop: Header=BB4_2938 Depth=2
	s_or_b32 exec_lo, exec_lo, s40
.LBB4_3934:                             ;   in Loop: Header=BB4_2938 Depth=2
	s_or_b32 exec_lo, exec_lo, s29
	v_cmp_gt_i16_sdwa s29, v116, v84 src0_sel:BYTE_3 src1_sel:DWORD
	s_mov_b32 s12, 0
	s_and_saveexec_b32 s40, s29
	s_xor_b32 s29, exec_lo, s40
	s_cbranch_execz .LBB4_4204
; %bb.3935:                             ;   in Loop: Header=BB4_2938 Depth=2
	v_cmp_eq_u16_sdwa s41, v116, v85 src0_sel:BYTE_3 src1_sel:DWORD
	s_mov_b32 s12, -1
	s_and_saveexec_b32 s40, s41
; %bb.3936:                             ;   in Loop: Header=BB4_2938 Depth=2
	s_xor_b32 s12, exec_lo, -1
; %bb.3937:                             ;   in Loop: Header=BB4_2938 Depth=2
	s_or_b32 exec_lo, exec_lo, s40
	s_and_b32 s12, s12, exec_lo
	s_or_saveexec_b32 s29, s29
	v_mov_b32_e32 v40, 0x7f800001
	s_xor_b32 exec_lo, exec_lo, s29
	s_cbranch_execnz .LBB4_4205
.LBB4_3938:                             ;   in Loop: Header=BB4_2938 Depth=2
	s_or_b32 exec_lo, exec_lo, s29
	s_and_saveexec_b32 s29, s12
	s_cbranch_execz .LBB4_3940
.LBB4_3939:                             ;   in Loop: Header=BB4_2938 Depth=2
	v_bfe_u32 v40, v116, 24, 3
	v_bfe_u32 v63, v116, 27, 4
	v_ffbh_u32_e32 v45, v40
	v_cmp_eq_u32_e32 vcc_lo, 0, v63
	v_min_u32_e32 v45, 32, v45
	v_subrev_nc_u32_e32 v58, 28, v45
	v_sub_nc_u32_e32 v45, 29, v45
	v_lshlrev_b32_sdwa v58, v58, v116 dst_sel:DWORD dst_unused:UNUSED_PAD src0_sel:DWORD src1_sel:BYTE_3
	v_cndmask_b32_e32 v45, v63, v45, vcc_lo
	v_and_b32_e32 v116, 0x80000000, v116
	v_and_b32_e32 v58, 7, v58
	v_lshl_add_u32 v45, v45, 23, 0x3b800000
	v_cndmask_b32_e32 v40, v40, v58, vcc_lo
	v_lshlrev_b32_e32 v40, 20, v40
	v_or3_b32 v40, v116, v45, v40
.LBB4_3940:                             ;   in Loop: Header=BB4_2938 Depth=2
	s_or_b32 exec_lo, exec_lo, s29
	v_cmp_gt_i16_sdwa s29, v12, v84 src0_sel:BYTE_3 src1_sel:DWORD
	s_mov_b32 s12, 0
	s_and_saveexec_b32 s40, s29
	s_xor_b32 s29, exec_lo, s40
	s_cbranch_execz .LBB4_4206
; %bb.3941:                             ;   in Loop: Header=BB4_2938 Depth=2
	v_cmp_eq_u16_sdwa s41, v12, v85 src0_sel:BYTE_3 src1_sel:DWORD
	s_mov_b32 s12, -1
	s_and_saveexec_b32 s40, s41
; %bb.3942:                             ;   in Loop: Header=BB4_2938 Depth=2
	s_xor_b32 s12, exec_lo, -1
; %bb.3943:                             ;   in Loop: Header=BB4_2938 Depth=2
	s_or_b32 exec_lo, exec_lo, s40
	s_and_b32 s12, s12, exec_lo
	s_or_saveexec_b32 s29, s29
	v_mov_b32_e32 v116, 0x7f800001
	s_xor_b32 exec_lo, exec_lo, s29
	s_cbranch_execnz .LBB4_4207
.LBB4_3944:                             ;   in Loop: Header=BB4_2938 Depth=2
	s_or_b32 exec_lo, exec_lo, s29
	s_and_saveexec_b32 s29, s12
	s_cbranch_execz .LBB4_3946
.LBB4_3945:                             ;   in Loop: Header=BB4_2938 Depth=2
	v_bfe_u32 v116, v12, 24, 3
	v_bfe_u32 v63, v12, 27, 4
	v_ffbh_u32_e32 v45, v116
	v_cmp_eq_u32_e32 vcc_lo, 0, v63
	v_min_u32_e32 v45, 32, v45
	v_subrev_nc_u32_e32 v58, 28, v45
	v_sub_nc_u32_e32 v45, 29, v45
	v_lshlrev_b32_sdwa v58, v58, v12 dst_sel:DWORD dst_unused:UNUSED_PAD src0_sel:DWORD src1_sel:BYTE_3
	v_cndmask_b32_e32 v45, v63, v45, vcc_lo
	v_and_b32_e32 v12, 0x80000000, v12
	v_and_b32_e32 v58, 7, v58
	v_lshl_add_u32 v45, v45, 23, 0x3b800000
	v_cndmask_b32_e32 v116, v116, v58, vcc_lo
	v_lshlrev_b32_e32 v116, 20, v116
	v_or3_b32 v116, v12, v45, v116
.LBB4_3946:                             ;   in Loop: Header=BB4_2938 Depth=2
	s_or_b32 exec_lo, exec_lo, s29
	v_add_f32_e32 v116, v40, v116
	v_and_b32_e32 v12, 0x7f800000, v116
	v_cmp_ne_u32_e32 vcc_lo, 0x7f800000, v12
	v_mov_b32_e32 v12, 0x8000
	s_and_saveexec_b32 s29, vcc_lo
	s_cbranch_execz .LBB4_3954
; %bb.3947:                             ;   in Loop: Header=BB4_2938 Depth=2
	v_mov_b32_e32 v12, 0
	s_mov_b32 s40, exec_lo
	v_cmpx_ne_u32_e32 0, v116
	s_cbranch_execz .LBB4_3953
; %bb.3948:                             ;   in Loop: Header=BB4_2938 Depth=2
	v_bfe_u32 v12, v116, 23, 8
	v_and_b32_e32 v40, 0x7fffff, v116
	v_sub_nc_u32_e32 v45, 0x78, v12
	v_cmp_gt_u32_e32 vcc_lo, 0x79, v12
	v_or_b32_e32 v58, 0x800000, v40
	v_cndmask_b32_e32 v45, 0, v45, vcc_lo
	v_cmp_eq_u32_e32 vcc_lo, 0, v12
	v_add_nc_u32_e32 v12, 0xffffff89, v12
	v_cndmask_b32_e64 v45, v45, 0x77, vcc_lo
	v_cndmask_b32_e32 v40, v58, v40, vcc_lo
	v_cndmask_b32_e64 v12, v12, 0xffffff8a, vcc_lo
	v_lshl_add_u32 v58, 0x100000, v45, -1
	v_lshrrev_b32_e32 v63, v45, v40
	v_lshlrev_b32_e64 v74, v45, 0x80000
	v_add_nc_u32_e32 v45, v45, v12
	v_and_b32_e32 v40, v58, v40
	v_bfe_u32 v73, v63, 20, 1
	v_cmp_eq_u32_e64 s12, v40, v74
	v_add_nc_u32_e32 v58, -1, v73
	v_cndmask_b32_e64 v40, 0, v58, s12
	v_lshrrev_b32_e32 v58, 23, v63
	s_mov_b32 s12, exec_lo
	v_add_nc_u32_e32 v40, v40, v63
	v_xor_b32_e32 v58, 1, v58
	v_and_b32_e32 v12, 0xfffff, v40
	v_add_nc_u32_e32 v40, v12, v63
                                        ; implicit-def: $vgpr12
	v_cmpx_ne_u32_e64 v45, v58
	s_xor_b32 s12, exec_lo, s12
; %bb.3949:                             ;   in Loop: Header=BB4_2938 Depth=2
	v_cmp_lt_u32_e32 vcc_lo, 0xffffff, v40
	v_sub_nc_u32_e32 v12, v45, v58
	v_cndmask_b32_e64 v45, 0, 1, vcc_lo
	v_add_co_ci_u32_e64 v12, null, 0, v12, vcc_lo
	v_lshrrev_b32_e32 v40, v45, v40
; %bb.3950:                             ;   in Loop: Header=BB4_2938 Depth=2
	s_andn2_saveexec_b32 s12, s12
; %bb.3951:                             ;   in Loop: Header=BB4_2938 Depth=2
	v_bfe_u32 v12, v40, 23, 1
; %bb.3952:                             ;   in Loop: Header=BB4_2938 Depth=2
	s_or_b32 exec_lo, exec_lo, s12
	v_lshrrev_b32_e32 v40, 20, v40
	v_min_i32_e32 v45, 15, v12
	v_cmp_gt_i32_e32 vcc_lo, 16, v12
	v_and_b32_sdwa v116, v116, v85 dst_sel:DWORD dst_unused:UNUSED_PAD src0_sel:BYTE_3 src1_sel:DWORD
	v_lshlrev_b32_e32 v45, 3, v45
	v_cndmask_b32_e32 v40, 7, v40, vcc_lo
	v_and_b32_e32 v45, 0xf8, v45
	v_and_b32_e32 v58, 7, v40
	v_or_b32_e32 v12, v12, v40
	v_or3_b32 v116, v116, v45, v58
	v_cmp_ne_u32_e32 vcc_lo, 0, v12
	v_lshlrev_b32_e32 v116, 8, v116
	v_cndmask_b32_e32 v12, 0, v116, vcc_lo
.LBB4_3953:                             ;   in Loop: Header=BB4_2938 Depth=2
	s_or_b32 exec_lo, exec_lo, s40
.LBB4_3954:                             ;   in Loop: Header=BB4_2938 Depth=2
	s_or_b32 exec_lo, exec_lo, s29
	v_or_b32_e32 v113, v113, v101
	s_mov_b32 s12, 0
	v_cmp_gt_i16_sdwa s29, v113, v84 src0_sel:BYTE_0 src1_sel:DWORD
	s_and_saveexec_b32 s40, s29
	s_xor_b32 s29, exec_lo, s40
	s_cbranch_execz .LBB4_4208
; %bb.3955:                             ;   in Loop: Header=BB4_2938 Depth=2
	v_cmp_eq_u16_sdwa s41, v113, v85 src0_sel:BYTE_0 src1_sel:DWORD
	s_mov_b32 s12, -1
	s_and_saveexec_b32 s40, s41
; %bb.3956:                             ;   in Loop: Header=BB4_2938 Depth=2
	s_xor_b32 s12, exec_lo, -1
; %bb.3957:                             ;   in Loop: Header=BB4_2938 Depth=2
	s_or_b32 exec_lo, exec_lo, s40
	s_and_b32 s12, s12, exec_lo
	s_or_saveexec_b32 s29, s29
	v_mov_b32_e32 v101, 0x7f800001
	s_xor_b32 exec_lo, exec_lo, s29
	s_cbranch_execnz .LBB4_4209
.LBB4_3958:                             ;   in Loop: Header=BB4_2938 Depth=2
	s_or_b32 exec_lo, exec_lo, s29
	s_and_saveexec_b32 s29, s12
	s_cbranch_execz .LBB4_3960
.LBB4_3959:                             ;   in Loop: Header=BB4_2938 Depth=2
	v_and_b32_e32 v101, 7, v113
	v_bfe_u32 v45, v113, 3, 4
	v_lshlrev_b32_e32 v58, 24, v113
	v_ffbh_u32_e32 v116, v101
	v_cmp_eq_u32_e32 vcc_lo, 0, v45
	v_min_u32_e32 v116, 32, v116
	v_subrev_nc_u32_e32 v40, 28, v116
	v_sub_nc_u32_e32 v116, 29, v116
	v_lshlrev_b32_e32 v40, v40, v113
	v_cndmask_b32_e32 v116, v45, v116, vcc_lo
	v_and_b32_e32 v40, 7, v40
	v_lshl_add_u32 v116, v116, 23, 0x3b800000
	v_cndmask_b32_e32 v101, v101, v40, vcc_lo
	v_and_b32_e32 v40, 0x80000000, v58
	v_lshlrev_b32_e32 v101, 20, v101
	v_or3_b32 v101, v40, v116, v101
.LBB4_3960:                             ;   in Loop: Header=BB4_2938 Depth=2
	s_or_b32 exec_lo, exec_lo, s29
	v_cmp_gt_i16_sdwa s29, v13, v84 src0_sel:BYTE_0 src1_sel:DWORD
	s_mov_b32 s12, 0
	s_and_saveexec_b32 s40, s29
	s_xor_b32 s29, exec_lo, s40
	s_cbranch_execz .LBB4_4210
; %bb.3961:                             ;   in Loop: Header=BB4_2938 Depth=2
	v_cmp_eq_u16_sdwa s41, v13, v85 src0_sel:BYTE_0 src1_sel:DWORD
	s_mov_b32 s12, -1
	s_and_saveexec_b32 s40, s41
; %bb.3962:                             ;   in Loop: Header=BB4_2938 Depth=2
	s_xor_b32 s12, exec_lo, -1
; %bb.3963:                             ;   in Loop: Header=BB4_2938 Depth=2
	s_or_b32 exec_lo, exec_lo, s40
	s_and_b32 s12, s12, exec_lo
	s_or_saveexec_b32 s29, s29
	v_mov_b32_e32 v116, 0x7f800001
	s_xor_b32 exec_lo, exec_lo, s29
	s_cbranch_execnz .LBB4_4211
.LBB4_3964:                             ;   in Loop: Header=BB4_2938 Depth=2
	s_or_b32 exec_lo, exec_lo, s29
	s_and_saveexec_b32 s29, s12
	s_cbranch_execz .LBB4_3966
.LBB4_3965:                             ;   in Loop: Header=BB4_2938 Depth=2
	v_and_b32_e32 v116, 7, v13
	v_bfe_u32 v58, v13, 3, 4
	v_lshlrev_b32_e32 v63, 24, v13
	v_ffbh_u32_e32 v40, v116
	v_cmp_eq_u32_e32 vcc_lo, 0, v58
	v_min_u32_e32 v40, 32, v40
	v_subrev_nc_u32_e32 v45, 28, v40
	v_sub_nc_u32_e32 v40, 29, v40
	v_lshlrev_b32_e32 v45, v45, v13
	v_cndmask_b32_e32 v40, v58, v40, vcc_lo
	v_and_b32_e32 v45, 7, v45
	v_lshl_add_u32 v40, v40, 23, 0x3b800000
	v_cndmask_b32_e32 v116, v116, v45, vcc_lo
	v_and_b32_e32 v45, 0x80000000, v63
	v_lshlrev_b32_e32 v116, 20, v116
	v_or3_b32 v116, v45, v40, v116
.LBB4_3966:                             ;   in Loop: Header=BB4_2938 Depth=2
	s_or_b32 exec_lo, exec_lo, s29
	v_add_f32_e32 v116, v101, v116
	v_and_b32_e32 v101, 0x7f800000, v116
	v_cmp_ne_u32_e32 vcc_lo, 0x7f800000, v101
	v_mov_b32_e32 v101, 0x80
	s_and_saveexec_b32 s29, vcc_lo
	s_cbranch_execz .LBB4_3974
; %bb.3967:                             ;   in Loop: Header=BB4_2938 Depth=2
	v_mov_b32_e32 v101, 0
	s_mov_b32 s40, exec_lo
	v_cmpx_ne_u32_e32 0, v116
	s_cbranch_execz .LBB4_3973
; %bb.3968:                             ;   in Loop: Header=BB4_2938 Depth=2
	v_bfe_u32 v101, v116, 23, 8
	v_and_b32_e32 v40, 0x7fffff, v116
	v_sub_nc_u32_e32 v45, 0x78, v101
	v_cmp_gt_u32_e32 vcc_lo, 0x79, v101
	v_or_b32_e32 v58, 0x800000, v40
	v_cndmask_b32_e32 v45, 0, v45, vcc_lo
	v_cmp_eq_u32_e32 vcc_lo, 0, v101
	v_add_nc_u32_e32 v101, 0xffffff89, v101
	v_cndmask_b32_e64 v45, v45, 0x77, vcc_lo
	v_cndmask_b32_e32 v40, v58, v40, vcc_lo
	v_cndmask_b32_e64 v101, v101, 0xffffff8a, vcc_lo
	v_lshl_add_u32 v58, 0x100000, v45, -1
	v_lshrrev_b32_e32 v63, v45, v40
	v_lshlrev_b32_e64 v74, v45, 0x80000
	v_add_nc_u32_e32 v45, v45, v101
	v_and_b32_e32 v40, v58, v40
	v_bfe_u32 v73, v63, 20, 1
	v_cmp_eq_u32_e64 s12, v40, v74
	v_add_nc_u32_e32 v58, -1, v73
	v_cndmask_b32_e64 v40, 0, v58, s12
	v_lshrrev_b32_e32 v58, 23, v63
	s_mov_b32 s12, exec_lo
	v_add_nc_u32_e32 v40, v40, v63
	v_xor_b32_e32 v58, 1, v58
	v_and_b32_e32 v101, 0xfffff, v40
	v_add_nc_u32_e32 v40, v101, v63
                                        ; implicit-def: $vgpr101
	v_cmpx_ne_u32_e64 v45, v58
	s_xor_b32 s12, exec_lo, s12
; %bb.3969:                             ;   in Loop: Header=BB4_2938 Depth=2
	v_cmp_lt_u32_e32 vcc_lo, 0xffffff, v40
	v_sub_nc_u32_e32 v101, v45, v58
	v_cndmask_b32_e64 v45, 0, 1, vcc_lo
	v_add_co_ci_u32_e64 v101, null, 0, v101, vcc_lo
	v_lshrrev_b32_e32 v40, v45, v40
; %bb.3970:                             ;   in Loop: Header=BB4_2938 Depth=2
	s_andn2_saveexec_b32 s12, s12
; %bb.3971:                             ;   in Loop: Header=BB4_2938 Depth=2
	v_bfe_u32 v101, v40, 23, 1
; %bb.3972:                             ;   in Loop: Header=BB4_2938 Depth=2
	s_or_b32 exec_lo, exec_lo, s12
	v_lshrrev_b32_e32 v40, 20, v40
	v_min_i32_e32 v45, 15, v101
	v_cmp_gt_i32_e32 vcc_lo, 16, v101
	v_and_b32_sdwa v116, v116, v85 dst_sel:DWORD dst_unused:UNUSED_PAD src0_sel:BYTE_3 src1_sel:DWORD
	v_lshlrev_b32_e32 v45, 3, v45
	v_cndmask_b32_e32 v40, 7, v40, vcc_lo
	v_and_b32_e32 v45, 0xf8, v45
	v_and_b32_e32 v58, 7, v40
	v_or_b32_e32 v101, v101, v40
	v_or3_b32 v116, v45, v116, v58
	v_cmp_ne_u32_e32 vcc_lo, 0, v101
	v_cndmask_b32_e32 v101, 0, v116, vcc_lo
.LBB4_3973:                             ;   in Loop: Header=BB4_2938 Depth=2
	s_or_b32 exec_lo, exec_lo, s40
.LBB4_3974:                             ;   in Loop: Header=BB4_2938 Depth=2
	s_or_b32 exec_lo, exec_lo, s29
	v_cmp_gt_i16_sdwa s29, v113, v84 src0_sel:BYTE_1 src1_sel:DWORD
	s_mov_b32 s12, 0
	s_and_saveexec_b32 s40, s29
	s_xor_b32 s29, exec_lo, s40
	s_cbranch_execz .LBB4_4212
; %bb.3975:                             ;   in Loop: Header=BB4_2938 Depth=2
	v_cmp_eq_u16_sdwa s41, v113, v85 src0_sel:BYTE_1 src1_sel:DWORD
	s_mov_b32 s12, -1
	s_and_saveexec_b32 s40, s41
; %bb.3976:                             ;   in Loop: Header=BB4_2938 Depth=2
	s_xor_b32 s12, exec_lo, -1
; %bb.3977:                             ;   in Loop: Header=BB4_2938 Depth=2
	s_or_b32 exec_lo, exec_lo, s40
	s_and_b32 s12, s12, exec_lo
	s_or_saveexec_b32 s29, s29
	v_mov_b32_e32 v116, 0x7f800001
	s_xor_b32 exec_lo, exec_lo, s29
	s_cbranch_execnz .LBB4_4213
.LBB4_3978:                             ;   in Loop: Header=BB4_2938 Depth=2
	s_or_b32 exec_lo, exec_lo, s29
	s_and_saveexec_b32 s29, s12
	s_cbranch_execz .LBB4_3980
.LBB4_3979:                             ;   in Loop: Header=BB4_2938 Depth=2
	v_and_b32_sdwa v116, v86, v113 dst_sel:DWORD dst_unused:UNUSED_PAD src0_sel:DWORD src1_sel:BYTE_1
	v_and_b32_e32 v40, 7, v116
	v_bfe_u32 v63, v116, 3, 4
	v_ffbh_u32_e32 v45, v40
	v_cmp_eq_u32_e32 vcc_lo, 0, v63
	v_min_u32_e32 v45, 32, v45
	v_subrev_nc_u32_e32 v58, 28, v45
	v_sub_nc_u32_e32 v45, 29, v45
	v_lshlrev_b32_e32 v116, v58, v116
	v_lshlrev_b32_sdwa v58, v87, v113 dst_sel:DWORD dst_unused:UNUSED_PAD src0_sel:DWORD src1_sel:BYTE_1
	v_cndmask_b32_e32 v45, v63, v45, vcc_lo
	v_and_b32_e32 v116, 7, v116
	v_lshl_add_u32 v45, v45, 23, 0x3b800000
	v_cndmask_b32_e32 v116, v40, v116, vcc_lo
	v_and_b32_e32 v40, 0x80000000, v58
	v_lshlrev_b32_e32 v116, 20, v116
	v_or3_b32 v116, v40, v45, v116
.LBB4_3980:                             ;   in Loop: Header=BB4_2938 Depth=2
	s_or_b32 exec_lo, exec_lo, s29
	v_cmp_gt_i16_sdwa s29, v13, v84 src0_sel:BYTE_1 src1_sel:DWORD
	s_mov_b32 s12, 0
	s_and_saveexec_b32 s40, s29
	s_xor_b32 s29, exec_lo, s40
	s_cbranch_execz .LBB4_4214
; %bb.3981:                             ;   in Loop: Header=BB4_2938 Depth=2
	v_cmp_eq_u16_sdwa s41, v13, v85 src0_sel:BYTE_1 src1_sel:DWORD
	s_mov_b32 s12, -1
	s_and_saveexec_b32 s40, s41
; %bb.3982:                             ;   in Loop: Header=BB4_2938 Depth=2
	s_xor_b32 s12, exec_lo, -1
; %bb.3983:                             ;   in Loop: Header=BB4_2938 Depth=2
	s_or_b32 exec_lo, exec_lo, s40
	s_and_b32 s12, s12, exec_lo
	s_or_saveexec_b32 s29, s29
	v_mov_b32_e32 v40, 0x7f800001
	s_xor_b32 exec_lo, exec_lo, s29
	s_cbranch_execnz .LBB4_4215
.LBB4_3984:                             ;   in Loop: Header=BB4_2938 Depth=2
	s_or_b32 exec_lo, exec_lo, s29
	s_and_saveexec_b32 s29, s12
	s_cbranch_execz .LBB4_3986
.LBB4_3985:                             ;   in Loop: Header=BB4_2938 Depth=2
	v_and_b32_sdwa v40, v86, v13 dst_sel:DWORD dst_unused:UNUSED_PAD src0_sel:DWORD src1_sel:BYTE_1
	v_and_b32_e32 v45, 7, v40
	v_bfe_u32 v73, v40, 3, 4
	v_ffbh_u32_e32 v58, v45
	v_cmp_eq_u32_e32 vcc_lo, 0, v73
	v_min_u32_e32 v58, 32, v58
	v_subrev_nc_u32_e32 v63, 28, v58
	v_sub_nc_u32_e32 v58, 29, v58
	v_lshlrev_b32_e32 v40, v63, v40
	v_lshlrev_b32_sdwa v63, v87, v13 dst_sel:DWORD dst_unused:UNUSED_PAD src0_sel:DWORD src1_sel:BYTE_1
	v_cndmask_b32_e32 v58, v73, v58, vcc_lo
	v_and_b32_e32 v40, 7, v40
	v_lshl_add_u32 v58, v58, 23, 0x3b800000
	v_cndmask_b32_e32 v40, v45, v40, vcc_lo
	v_and_b32_e32 v45, 0x80000000, v63
	v_lshlrev_b32_e32 v40, 20, v40
	v_or3_b32 v40, v45, v58, v40
.LBB4_3986:                             ;   in Loop: Header=BB4_2938 Depth=2
	s_or_b32 exec_lo, exec_lo, s29
	v_add_f32_e32 v40, v116, v40
	v_and_b32_e32 v116, 0x7f800000, v40
	v_cmp_ne_u32_e32 vcc_lo, 0x7f800000, v116
	v_mov_b32_e32 v116, 0x8000
	s_and_saveexec_b32 s29, vcc_lo
	s_cbranch_execz .LBB4_3994
; %bb.3987:                             ;   in Loop: Header=BB4_2938 Depth=2
	v_mov_b32_e32 v116, 0
	s_mov_b32 s40, exec_lo
	v_cmpx_ne_u32_e32 0, v40
	s_cbranch_execz .LBB4_3993
; %bb.3988:                             ;   in Loop: Header=BB4_2938 Depth=2
	v_bfe_u32 v116, v40, 23, 8
	v_and_b32_e32 v45, 0x7fffff, v40
	v_sub_nc_u32_e32 v58, 0x78, v116
	v_cmp_gt_u32_e32 vcc_lo, 0x79, v116
	v_or_b32_e32 v63, 0x800000, v45
	v_cndmask_b32_e32 v58, 0, v58, vcc_lo
	v_cmp_eq_u32_e32 vcc_lo, 0, v116
	v_add_nc_u32_e32 v116, 0xffffff89, v116
	v_cndmask_b32_e64 v58, v58, 0x77, vcc_lo
	v_cndmask_b32_e32 v45, v63, v45, vcc_lo
	v_cndmask_b32_e64 v116, v116, 0xffffff8a, vcc_lo
	v_lshl_add_u32 v63, 0x100000, v58, -1
	v_lshrrev_b32_e32 v73, v58, v45
	v_lshlrev_b32_e64 v75, v58, 0x80000
	v_add_nc_u32_e32 v58, v58, v116
	v_and_b32_e32 v45, v63, v45
	v_bfe_u32 v74, v73, 20, 1
	v_cmp_eq_u32_e64 s12, v45, v75
	v_add_nc_u32_e32 v63, -1, v74
	v_cndmask_b32_e64 v45, 0, v63, s12
	v_lshrrev_b32_e32 v63, 23, v73
	s_mov_b32 s12, exec_lo
	v_add_nc_u32_e32 v45, v45, v73
	v_xor_b32_e32 v63, 1, v63
	v_and_b32_e32 v116, 0xfffff, v45
	v_add_nc_u32_e32 v45, v116, v73
                                        ; implicit-def: $vgpr116
	v_cmpx_ne_u32_e64 v58, v63
	s_xor_b32 s12, exec_lo, s12
; %bb.3989:                             ;   in Loop: Header=BB4_2938 Depth=2
	v_cmp_lt_u32_e32 vcc_lo, 0xffffff, v45
	v_sub_nc_u32_e32 v116, v58, v63
	v_cndmask_b32_e64 v58, 0, 1, vcc_lo
	v_add_co_ci_u32_e64 v116, null, 0, v116, vcc_lo
	v_lshrrev_b32_e32 v45, v58, v45
; %bb.3990:                             ;   in Loop: Header=BB4_2938 Depth=2
	s_andn2_saveexec_b32 s12, s12
; %bb.3991:                             ;   in Loop: Header=BB4_2938 Depth=2
	v_bfe_u32 v116, v45, 23, 1
; %bb.3992:                             ;   in Loop: Header=BB4_2938 Depth=2
	s_or_b32 exec_lo, exec_lo, s12
	v_lshrrev_b32_e32 v45, 20, v45
	v_min_i32_e32 v58, 15, v116
	v_cmp_gt_i32_e32 vcc_lo, 16, v116
	v_and_b32_sdwa v40, v40, v85 dst_sel:DWORD dst_unused:UNUSED_PAD src0_sel:BYTE_3 src1_sel:DWORD
	v_lshlrev_b32_e32 v58, 3, v58
	v_cndmask_b32_e32 v45, 7, v45, vcc_lo
	v_and_b32_e32 v58, 0xf8, v58
	v_and_b32_e32 v63, 7, v45
	v_or_b32_e32 v116, v116, v45
	v_or3_b32 v40, v40, v58, v63
	v_cmp_ne_u32_e32 vcc_lo, 0, v116
	v_lshlrev_b32_e32 v40, 8, v40
	v_cndmask_b32_e32 v116, 0, v40, vcc_lo
.LBB4_3993:                             ;   in Loop: Header=BB4_2938 Depth=2
	s_or_b32 exec_lo, exec_lo, s40
.LBB4_3994:                             ;   in Loop: Header=BB4_2938 Depth=2
	s_or_b32 exec_lo, exec_lo, s29
	v_or_b32_e32 v102, v102, v100
	s_mov_b32 s12, 0
	v_cmp_gt_i16_sdwa s29, v102, v84 src0_sel:BYTE_0 src1_sel:DWORD
	s_and_saveexec_b32 s40, s29
	s_xor_b32 s29, exec_lo, s40
	s_cbranch_execz .LBB4_4216
; %bb.3995:                             ;   in Loop: Header=BB4_2938 Depth=2
	v_cmp_eq_u16_sdwa s41, v102, v85 src0_sel:BYTE_0 src1_sel:DWORD
	s_mov_b32 s12, -1
	s_and_saveexec_b32 s40, s41
; %bb.3996:                             ;   in Loop: Header=BB4_2938 Depth=2
	s_xor_b32 s12, exec_lo, -1
; %bb.3997:                             ;   in Loop: Header=BB4_2938 Depth=2
	s_or_b32 exec_lo, exec_lo, s40
	s_and_b32 s12, s12, exec_lo
	s_or_saveexec_b32 s29, s29
	v_mov_b32_e32 v100, 0x7f800001
	s_xor_b32 exec_lo, exec_lo, s29
	s_cbranch_execnz .LBB4_4217
.LBB4_3998:                             ;   in Loop: Header=BB4_2938 Depth=2
	s_or_b32 exec_lo, exec_lo, s29
	v_lshl_or_b32 v102, v102, 16, v113
	s_and_saveexec_b32 s29, s12
	s_cbranch_execz .LBB4_4000
.LBB4_3999:                             ;   in Loop: Header=BB4_2938 Depth=2
	v_bfe_u32 v100, v102, 16, 3
	v_bfe_u32 v45, v102, 19, 4
	v_lshlrev_b32_e32 v58, 8, v102
	v_ffbh_u32_e32 v113, v100
	v_cmp_eq_u32_e32 vcc_lo, 0, v45
	v_min_u32_e32 v113, 32, v113
	v_subrev_nc_u32_e32 v40, 28, v113
	v_sub_nc_u32_e32 v113, 29, v113
	v_lshlrev_b32_sdwa v40, v40, v102 dst_sel:DWORD dst_unused:UNUSED_PAD src0_sel:DWORD src1_sel:WORD_1
	v_cndmask_b32_e32 v113, v45, v113, vcc_lo
	v_and_b32_e32 v40, 7, v40
	v_lshl_add_u32 v113, v113, 23, 0x3b800000
	v_cndmask_b32_e32 v100, v100, v40, vcc_lo
	v_and_b32_e32 v40, 0x80000000, v58
	v_lshlrev_b32_e32 v100, 20, v100
	v_or3_b32 v100, v40, v113, v100
.LBB4_4000:                             ;   in Loop: Header=BB4_2938 Depth=2
	s_or_b32 exec_lo, exec_lo, s29
	v_and_b32_sdwa v40, v13, v96 dst_sel:DWORD dst_unused:UNUSED_PAD src0_sel:WORD_1 src1_sel:DWORD
	s_mov_b32 s12, 0
	s_mov_b32 s29, exec_lo
	v_cmpx_lt_i16_e32 0x7f, v40
	s_xor_b32 s29, exec_lo, s29
	s_cbranch_execz .LBB4_4218
; %bb.4001:                             ;   in Loop: Header=BB4_2938 Depth=2
	s_mov_b32 s12, -1
	s_mov_b32 s40, exec_lo
	v_cmpx_eq_u16_e32 0x80, v40
; %bb.4002:                             ;   in Loop: Header=BB4_2938 Depth=2
	s_xor_b32 s12, exec_lo, -1
; %bb.4003:                             ;   in Loop: Header=BB4_2938 Depth=2
	s_or_b32 exec_lo, exec_lo, s40
	s_and_b32 s12, s12, exec_lo
                                        ; implicit-def: $vgpr40
	s_or_saveexec_b32 s29, s29
	v_mov_b32_e32 v113, 0x7f800001
	s_xor_b32 exec_lo, exec_lo, s29
	s_cbranch_execnz .LBB4_4219
.LBB4_4004:                             ;   in Loop: Header=BB4_2938 Depth=2
	s_or_b32 exec_lo, exec_lo, s29
	s_and_saveexec_b32 s29, s12
	s_cbranch_execz .LBB4_4006
.LBB4_4005:                             ;   in Loop: Header=BB4_2938 Depth=2
	v_bfe_u32 v113, v13, 16, 3
	v_bfe_u32 v58, v13, 19, 4
	v_lshlrev_b32_e32 v63, 8, v13
	v_ffbh_u32_e32 v40, v113
	v_cmp_eq_u32_e32 vcc_lo, 0, v58
	v_min_u32_e32 v40, 32, v40
	v_subrev_nc_u32_e32 v45, 28, v40
	v_sub_nc_u32_e32 v40, 29, v40
	v_lshlrev_b32_sdwa v45, v45, v13 dst_sel:DWORD dst_unused:UNUSED_PAD src0_sel:DWORD src1_sel:WORD_1
	v_cndmask_b32_e32 v40, v58, v40, vcc_lo
	v_and_b32_e32 v45, 7, v45
	v_lshl_add_u32 v40, v40, 23, 0x3b800000
	v_cndmask_b32_e32 v113, v113, v45, vcc_lo
	v_and_b32_e32 v45, 0x80000000, v63
	v_lshlrev_b32_e32 v113, 20, v113
	v_or3_b32 v113, v45, v40, v113
.LBB4_4006:                             ;   in Loop: Header=BB4_2938 Depth=2
	s_or_b32 exec_lo, exec_lo, s29
	v_add_f32_e32 v113, v100, v113
	v_and_b32_e32 v100, 0x7f800000, v113
	v_cmp_ne_u32_e32 vcc_lo, 0x7f800000, v100
	v_mov_b32_e32 v100, 0x80
	s_and_saveexec_b32 s29, vcc_lo
	s_cbranch_execz .LBB4_4014
; %bb.4007:                             ;   in Loop: Header=BB4_2938 Depth=2
	v_mov_b32_e32 v100, 0
	s_mov_b32 s40, exec_lo
	v_cmpx_ne_u32_e32 0, v113
	s_cbranch_execz .LBB4_4013
; %bb.4008:                             ;   in Loop: Header=BB4_2938 Depth=2
	v_bfe_u32 v100, v113, 23, 8
	v_and_b32_e32 v40, 0x7fffff, v113
	v_sub_nc_u32_e32 v45, 0x78, v100
	v_cmp_gt_u32_e32 vcc_lo, 0x79, v100
	v_or_b32_e32 v58, 0x800000, v40
	v_cndmask_b32_e32 v45, 0, v45, vcc_lo
	v_cmp_eq_u32_e32 vcc_lo, 0, v100
	v_add_nc_u32_e32 v100, 0xffffff89, v100
	v_cndmask_b32_e64 v45, v45, 0x77, vcc_lo
	v_cndmask_b32_e32 v40, v58, v40, vcc_lo
	v_cndmask_b32_e64 v100, v100, 0xffffff8a, vcc_lo
	v_lshl_add_u32 v58, 0x100000, v45, -1
	v_lshrrev_b32_e32 v63, v45, v40
	v_lshlrev_b32_e64 v74, v45, 0x80000
	v_add_nc_u32_e32 v45, v45, v100
	v_and_b32_e32 v40, v58, v40
	v_bfe_u32 v73, v63, 20, 1
	v_cmp_eq_u32_e64 s12, v40, v74
	v_add_nc_u32_e32 v58, -1, v73
	v_cndmask_b32_e64 v40, 0, v58, s12
	v_lshrrev_b32_e32 v58, 23, v63
	s_mov_b32 s12, exec_lo
	v_add_nc_u32_e32 v40, v40, v63
	v_xor_b32_e32 v58, 1, v58
	v_and_b32_e32 v100, 0xfffff, v40
	v_add_nc_u32_e32 v40, v100, v63
                                        ; implicit-def: $vgpr100
	v_cmpx_ne_u32_e64 v45, v58
	s_xor_b32 s12, exec_lo, s12
; %bb.4009:                             ;   in Loop: Header=BB4_2938 Depth=2
	v_cmp_lt_u32_e32 vcc_lo, 0xffffff, v40
	v_sub_nc_u32_e32 v100, v45, v58
	v_cndmask_b32_e64 v45, 0, 1, vcc_lo
	v_add_co_ci_u32_e64 v100, null, 0, v100, vcc_lo
	v_lshrrev_b32_e32 v40, v45, v40
; %bb.4010:                             ;   in Loop: Header=BB4_2938 Depth=2
	s_andn2_saveexec_b32 s12, s12
; %bb.4011:                             ;   in Loop: Header=BB4_2938 Depth=2
	v_bfe_u32 v100, v40, 23, 1
; %bb.4012:                             ;   in Loop: Header=BB4_2938 Depth=2
	s_or_b32 exec_lo, exec_lo, s12
	v_lshrrev_b32_e32 v40, 20, v40
	v_min_i32_e32 v45, 15, v100
	v_cmp_gt_i32_e32 vcc_lo, 16, v100
	v_and_b32_sdwa v113, v113, v85 dst_sel:DWORD dst_unused:UNUSED_PAD src0_sel:BYTE_3 src1_sel:DWORD
	v_lshlrev_b32_e32 v45, 3, v45
	v_cndmask_b32_e32 v40, 7, v40, vcc_lo
	v_and_b32_e32 v45, 0xf8, v45
	v_and_b32_e32 v58, 7, v40
	v_or_b32_e32 v100, v100, v40
	v_or3_b32 v113, v45, v113, v58
	v_cmp_ne_u32_e32 vcc_lo, 0, v100
	v_cndmask_b32_e32 v100, 0, v113, vcc_lo
.LBB4_4013:                             ;   in Loop: Header=BB4_2938 Depth=2
	s_or_b32 exec_lo, exec_lo, s40
.LBB4_4014:                             ;   in Loop: Header=BB4_2938 Depth=2
	s_or_b32 exec_lo, exec_lo, s29
	v_cmp_gt_i16_sdwa s29, v102, v84 src0_sel:BYTE_3 src1_sel:DWORD
	s_mov_b32 s12, 0
	s_and_saveexec_b32 s40, s29
	s_xor_b32 s29, exec_lo, s40
	s_cbranch_execz .LBB4_4220
; %bb.4015:                             ;   in Loop: Header=BB4_2938 Depth=2
	v_cmp_eq_u16_sdwa s41, v102, v85 src0_sel:BYTE_3 src1_sel:DWORD
	s_mov_b32 s12, -1
	s_and_saveexec_b32 s40, s41
; %bb.4016:                             ;   in Loop: Header=BB4_2938 Depth=2
	s_xor_b32 s12, exec_lo, -1
; %bb.4017:                             ;   in Loop: Header=BB4_2938 Depth=2
	s_or_b32 exec_lo, exec_lo, s40
	s_and_b32 s12, s12, exec_lo
	s_or_saveexec_b32 s29, s29
	v_mov_b32_e32 v113, 0x7f800001
	s_xor_b32 exec_lo, exec_lo, s29
	s_cbranch_execnz .LBB4_4221
.LBB4_4018:                             ;   in Loop: Header=BB4_2938 Depth=2
	s_or_b32 exec_lo, exec_lo, s29
	s_and_saveexec_b32 s29, s12
	s_cbranch_execz .LBB4_4020
.LBB4_4019:                             ;   in Loop: Header=BB4_2938 Depth=2
	v_bfe_u32 v113, v102, 24, 3
	v_bfe_u32 v58, v102, 27, 4
	v_ffbh_u32_e32 v40, v113
	v_cmp_eq_u32_e32 vcc_lo, 0, v58
	v_min_u32_e32 v40, 32, v40
	v_subrev_nc_u32_e32 v45, 28, v40
	v_sub_nc_u32_e32 v40, 29, v40
	v_lshlrev_b32_sdwa v45, v45, v102 dst_sel:DWORD dst_unused:UNUSED_PAD src0_sel:DWORD src1_sel:BYTE_3
	v_cndmask_b32_e32 v40, v58, v40, vcc_lo
	v_and_b32_e32 v102, 0x80000000, v102
	v_and_b32_e32 v45, 7, v45
	v_lshl_add_u32 v40, v40, 23, 0x3b800000
	v_cndmask_b32_e32 v113, v113, v45, vcc_lo
	v_lshlrev_b32_e32 v113, 20, v113
	v_or3_b32 v113, v102, v40, v113
.LBB4_4020:                             ;   in Loop: Header=BB4_2938 Depth=2
	s_or_b32 exec_lo, exec_lo, s29
	v_cmp_gt_i16_sdwa s29, v13, v84 src0_sel:BYTE_3 src1_sel:DWORD
	s_mov_b32 s12, 0
	s_and_saveexec_b32 s40, s29
	s_xor_b32 s29, exec_lo, s40
	s_cbranch_execz .LBB4_4222
; %bb.4021:                             ;   in Loop: Header=BB4_2938 Depth=2
	v_cmp_eq_u16_sdwa s41, v13, v85 src0_sel:BYTE_3 src1_sel:DWORD
	s_mov_b32 s12, -1
	s_and_saveexec_b32 s40, s41
; %bb.4022:                             ;   in Loop: Header=BB4_2938 Depth=2
	s_xor_b32 s12, exec_lo, -1
; %bb.4023:                             ;   in Loop: Header=BB4_2938 Depth=2
	s_or_b32 exec_lo, exec_lo, s40
	s_and_b32 s12, s12, exec_lo
	s_or_saveexec_b32 s29, s29
	v_mov_b32_e32 v102, 0x7f800001
	s_xor_b32 exec_lo, exec_lo, s29
	s_cbranch_execnz .LBB4_4223
.LBB4_4024:                             ;   in Loop: Header=BB4_2938 Depth=2
	s_or_b32 exec_lo, exec_lo, s29
	s_and_saveexec_b32 s29, s12
	s_cbranch_execz .LBB4_4026
.LBB4_4025:                             ;   in Loop: Header=BB4_2938 Depth=2
	v_bfe_u32 v102, v13, 24, 3
	v_bfe_u32 v58, v13, 27, 4
	v_ffbh_u32_e32 v40, v102
	v_cmp_eq_u32_e32 vcc_lo, 0, v58
	v_min_u32_e32 v40, 32, v40
	v_subrev_nc_u32_e32 v45, 28, v40
	v_sub_nc_u32_e32 v40, 29, v40
	v_lshlrev_b32_sdwa v45, v45, v13 dst_sel:DWORD dst_unused:UNUSED_PAD src0_sel:DWORD src1_sel:BYTE_3
	v_cndmask_b32_e32 v40, v58, v40, vcc_lo
	v_and_b32_e32 v13, 0x80000000, v13
	v_and_b32_e32 v45, 7, v45
	v_lshl_add_u32 v40, v40, 23, 0x3b800000
	v_cndmask_b32_e32 v102, v102, v45, vcc_lo
	v_lshlrev_b32_e32 v102, 20, v102
	v_or3_b32 v102, v13, v40, v102
.LBB4_4026:                             ;   in Loop: Header=BB4_2938 Depth=2
	s_or_b32 exec_lo, exec_lo, s29
	v_add_f32_e32 v13, v113, v102
	v_and_b32_e32 v102, 0x7f800000, v13
	v_cmp_ne_u32_e32 vcc_lo, 0x7f800000, v102
	v_mov_b32_e32 v102, 0x8000
	s_and_saveexec_b32 s29, vcc_lo
	s_cbranch_execz .LBB4_2937
; %bb.4027:                             ;   in Loop: Header=BB4_2938 Depth=2
	v_mov_b32_e32 v102, 0
	s_mov_b32 s40, exec_lo
	v_cmpx_ne_u32_e32 0, v13
	s_cbranch_execz .LBB4_2936
; %bb.4028:                             ;   in Loop: Header=BB4_2938 Depth=2
	v_bfe_u32 v102, v13, 23, 8
	v_and_b32_e32 v113, 0x7fffff, v13
	v_sub_nc_u32_e32 v40, 0x78, v102
	v_cmp_gt_u32_e32 vcc_lo, 0x79, v102
	v_or_b32_e32 v45, 0x800000, v113
	v_cndmask_b32_e32 v40, 0, v40, vcc_lo
	v_cmp_eq_u32_e32 vcc_lo, 0, v102
	v_add_nc_u32_e32 v102, 0xffffff89, v102
	v_cndmask_b32_e64 v40, v40, 0x77, vcc_lo
	v_cndmask_b32_e32 v113, v45, v113, vcc_lo
	v_cndmask_b32_e64 v102, v102, 0xffffff8a, vcc_lo
	v_lshl_add_u32 v45, 0x100000, v40, -1
	v_lshrrev_b32_e32 v58, v40, v113
	v_lshlrev_b32_e64 v73, v40, 0x80000
	v_add_nc_u32_e32 v40, v40, v102
	v_and_b32_e32 v113, v45, v113
	v_bfe_u32 v63, v58, 20, 1
	v_cmp_eq_u32_e64 s12, v113, v73
	v_add_nc_u32_e32 v45, -1, v63
	v_cndmask_b32_e64 v113, 0, v45, s12
	v_lshrrev_b32_e32 v45, 23, v58
	s_mov_b32 s12, exec_lo
	v_add_nc_u32_e32 v113, v113, v58
	v_xor_b32_e32 v45, 1, v45
	v_and_b32_e32 v102, 0xfffff, v113
	v_add_nc_u32_e32 v113, v102, v58
                                        ; implicit-def: $vgpr102
	v_cmpx_ne_u32_e64 v40, v45
	s_xor_b32 s12, exec_lo, s12
; %bb.4029:                             ;   in Loop: Header=BB4_2938 Depth=2
	v_cmp_lt_u32_e32 vcc_lo, 0xffffff, v113
	v_sub_nc_u32_e32 v102, v40, v45
	v_cndmask_b32_e64 v40, 0, 1, vcc_lo
	v_add_co_ci_u32_e64 v102, null, 0, v102, vcc_lo
	v_lshrrev_b32_e32 v113, v40, v113
; %bb.4030:                             ;   in Loop: Header=BB4_2938 Depth=2
	s_andn2_saveexec_b32 s12, s12
	s_cbranch_execz .LBB4_2935
; %bb.4031:                             ;   in Loop: Header=BB4_2938 Depth=2
	v_bfe_u32 v102, v113, 23, 1
	s_branch .LBB4_2935
.LBB4_4032:                             ;   in Loop: Header=BB4_2938 Depth=2
	s_or_saveexec_b32 s40, s40
	v_mov_b32_e32 v14, 0x7f800001
	s_xor_b32 exec_lo, exec_lo, s40
	s_cbranch_execz .LBB4_2950
.LBB4_4033:                             ;   in Loop: Header=BB4_2938 Depth=2
	v_cmp_ne_u16_sdwa s41, v10, v35 src0_sel:BYTE_0 src1_sel:DWORD
	v_mov_b32_e32 v14, 0
	s_andn2_b32 s12, s12, exec_lo
	s_and_b32 s41, s41, exec_lo
	s_or_b32 s12, s12, s41
	s_or_b32 exec_lo, exec_lo, s40
	s_and_saveexec_b32 s40, s12
	s_cbranch_execnz .LBB4_2951
	s_branch .LBB4_2952
.LBB4_4034:                             ;   in Loop: Header=BB4_2938 Depth=2
	s_or_saveexec_b32 s40, s40
	v_mov_b32_e32 v14, 0x7f800001
	s_xor_b32 exec_lo, exec_lo, s40
	s_cbranch_execz .LBB4_2964
.LBB4_4035:                             ;   in Loop: Header=BB4_2938 Depth=2
	v_cmp_ne_u16_sdwa s41, v10, v35 src0_sel:BYTE_1 src1_sel:DWORD
	v_mov_b32_e32 v14, 0
	s_andn2_b32 s12, s12, exec_lo
	s_and_b32 s41, s41, exec_lo
	s_or_b32 s12, s12, s41
	s_or_b32 exec_lo, exec_lo, s40
	s_and_saveexec_b32 s40, s12
	s_cbranch_execnz .LBB4_2965
	s_branch .LBB4_2966
.LBB4_4036:                             ;   in Loop: Header=BB4_2938 Depth=2
	s_or_saveexec_b32 s40, s40
	v_mov_b32_e32 v14, 0x7f800001
	s_xor_b32 exec_lo, exec_lo, s40
	s_cbranch_execz .LBB4_2978
.LBB4_4037:                             ;   in Loop: Header=BB4_2938 Depth=2
	v_cmp_ne_u16_e32 vcc_lo, 0, v15
	v_mov_b32_e32 v14, 0
	s_andn2_b32 s12, s12, exec_lo
	s_and_b32 s41, vcc_lo, exec_lo
	s_or_b32 s12, s12, s41
	s_or_b32 exec_lo, exec_lo, s40
	s_and_saveexec_b32 s40, s12
	s_cbranch_execnz .LBB4_2979
	s_branch .LBB4_2980
.LBB4_4038:                             ;   in Loop: Header=BB4_2938 Depth=2
	s_or_saveexec_b32 s40, s40
	v_mov_b32_e32 v14, 0x7f800001
	s_xor_b32 exec_lo, exec_lo, s40
	s_cbranch_execz .LBB4_2992
.LBB4_4039:                             ;   in Loop: Header=BB4_2938 Depth=2
	v_cmp_ne_u16_sdwa s41, v10, v35 src0_sel:BYTE_3 src1_sel:DWORD
	v_mov_b32_e32 v14, 0
	s_andn2_b32 s12, s12, exec_lo
	s_and_b32 s41, s41, exec_lo
	s_or_b32 s12, s12, s41
	s_or_b32 exec_lo, exec_lo, s40
	s_and_saveexec_b32 s40, s12
	s_cbranch_execnz .LBB4_2993
	s_branch .LBB4_2994
.LBB4_4040:                             ;   in Loop: Header=BB4_2938 Depth=2
	s_or_saveexec_b32 s40, s40
	v_mov_b32_e32 v10, 0x7f800001
	s_xor_b32 exec_lo, exec_lo, s40
	s_cbranch_execz .LBB4_3006
.LBB4_4041:                             ;   in Loop: Header=BB4_2938 Depth=2
	v_cmp_ne_u16_sdwa s41, v11, v35 src0_sel:BYTE_0 src1_sel:DWORD
	v_mov_b32_e32 v10, 0
	s_andn2_b32 s12, s12, exec_lo
	s_and_b32 s41, s41, exec_lo
	s_or_b32 s12, s12, s41
	s_or_b32 exec_lo, exec_lo, s40
	s_and_saveexec_b32 s40, s12
	s_cbranch_execnz .LBB4_3007
	s_branch .LBB4_3008
.LBB4_4042:                             ;   in Loop: Header=BB4_2938 Depth=2
	s_or_saveexec_b32 s40, s40
	v_mov_b32_e32 v10, 0x7f800001
	s_xor_b32 exec_lo, exec_lo, s40
	s_cbranch_execz .LBB4_3020
.LBB4_4043:                             ;   in Loop: Header=BB4_2938 Depth=2
	v_cmp_ne_u16_sdwa s41, v11, v35 src0_sel:BYTE_1 src1_sel:DWORD
	v_mov_b32_e32 v10, 0
	s_andn2_b32 s12, s12, exec_lo
	s_and_b32 s41, s41, exec_lo
	s_or_b32 s12, s12, s41
	s_or_b32 exec_lo, exec_lo, s40
	s_and_saveexec_b32 s40, s12
	s_cbranch_execnz .LBB4_3021
	s_branch .LBB4_3022
.LBB4_4044:                             ;   in Loop: Header=BB4_2938 Depth=2
	s_or_saveexec_b32 s40, s40
	v_mov_b32_e32 v10, 0x7f800001
	s_xor_b32 exec_lo, exec_lo, s40
	s_cbranch_execz .LBB4_3034
.LBB4_4045:                             ;   in Loop: Header=BB4_2938 Depth=2
	v_cmp_ne_u16_e32 vcc_lo, 0, v14
	v_mov_b32_e32 v10, 0
	s_andn2_b32 s12, s12, exec_lo
	s_and_b32 s41, vcc_lo, exec_lo
	s_or_b32 s12, s12, s41
	s_or_b32 exec_lo, exec_lo, s40
	s_and_saveexec_b32 s40, s12
	s_cbranch_execnz .LBB4_3035
	s_branch .LBB4_3036
.LBB4_4046:                             ;   in Loop: Header=BB4_2938 Depth=2
	s_or_saveexec_b32 s40, s40
	v_mov_b32_e32 v10, 0x7f800001
	s_xor_b32 exec_lo, exec_lo, s40
	s_cbranch_execz .LBB4_3048
.LBB4_4047:                             ;   in Loop: Header=BB4_2938 Depth=2
	v_cmp_ne_u16_sdwa s41, v11, v35 src0_sel:BYTE_3 src1_sel:DWORD
	v_mov_b32_e32 v10, 0
	s_andn2_b32 s12, s12, exec_lo
	s_and_b32 s41, s41, exec_lo
	s_or_b32 s12, s12, s41
	s_or_b32 exec_lo, exec_lo, s40
	s_and_saveexec_b32 s40, s12
	s_cbranch_execnz .LBB4_3049
	s_branch .LBB4_3050
.LBB4_4048:                             ;   in Loop: Header=BB4_2938 Depth=2
	s_or_saveexec_b32 s40, s40
	v_mov_b32_e32 v10, 0x7f800001
	s_xor_b32 exec_lo, exec_lo, s40
	s_cbranch_execz .LBB4_3062
.LBB4_4049:                             ;   in Loop: Header=BB4_2938 Depth=2
	v_cmp_ne_u16_sdwa s41, v12, v35 src0_sel:BYTE_0 src1_sel:DWORD
	v_mov_b32_e32 v10, 0
	s_andn2_b32 s12, s12, exec_lo
	s_and_b32 s41, s41, exec_lo
	s_or_b32 s12, s12, s41
	s_or_b32 exec_lo, exec_lo, s40
	s_and_saveexec_b32 s40, s12
	s_cbranch_execnz .LBB4_3063
	s_branch .LBB4_3064
.LBB4_4050:                             ;   in Loop: Header=BB4_2938 Depth=2
	s_or_saveexec_b32 s40, s40
	v_mov_b32_e32 v10, 0x7f800001
	s_xor_b32 exec_lo, exec_lo, s40
	s_cbranch_execz .LBB4_3076
.LBB4_4051:                             ;   in Loop: Header=BB4_2938 Depth=2
	v_cmp_ne_u16_sdwa s41, v12, v35 src0_sel:BYTE_1 src1_sel:DWORD
	v_mov_b32_e32 v10, 0
	s_andn2_b32 s12, s12, exec_lo
	s_and_b32 s41, s41, exec_lo
	s_or_b32 s12, s12, s41
	s_or_b32 exec_lo, exec_lo, s40
	s_and_saveexec_b32 s40, s12
	s_cbranch_execnz .LBB4_3077
	s_branch .LBB4_3078
.LBB4_4052:                             ;   in Loop: Header=BB4_2938 Depth=2
	s_or_saveexec_b32 s40, s40
	v_mov_b32_e32 v10, 0x7f800001
	s_xor_b32 exec_lo, exec_lo, s40
	s_cbranch_execz .LBB4_3090
.LBB4_4053:                             ;   in Loop: Header=BB4_2938 Depth=2
	v_cmp_ne_u16_e32 vcc_lo, 0, v11
	v_mov_b32_e32 v10, 0
	s_andn2_b32 s12, s12, exec_lo
	s_and_b32 s41, vcc_lo, exec_lo
	s_or_b32 s12, s12, s41
	s_or_b32 exec_lo, exec_lo, s40
	s_and_saveexec_b32 s40, s12
	s_cbranch_execnz .LBB4_3091
	s_branch .LBB4_3092
.LBB4_4054:                             ;   in Loop: Header=BB4_2938 Depth=2
	s_or_saveexec_b32 s40, s40
	v_mov_b32_e32 v10, 0x7f800001
	s_xor_b32 exec_lo, exec_lo, s40
	s_cbranch_execz .LBB4_3104
.LBB4_4055:                             ;   in Loop: Header=BB4_2938 Depth=2
	v_cmp_ne_u16_sdwa s41, v12, v35 src0_sel:BYTE_3 src1_sel:DWORD
	v_mov_b32_e32 v10, 0
	s_andn2_b32 s12, s12, exec_lo
	s_and_b32 s41, s41, exec_lo
	s_or_b32 s12, s12, s41
	s_or_b32 exec_lo, exec_lo, s40
	s_and_saveexec_b32 s40, s12
	s_cbranch_execnz .LBB4_3105
	s_branch .LBB4_3106
.LBB4_4056:                             ;   in Loop: Header=BB4_2938 Depth=2
	s_or_saveexec_b32 s40, s40
	v_mov_b32_e32 v10, 0x7f800001
	s_xor_b32 exec_lo, exec_lo, s40
	s_cbranch_execz .LBB4_3118
.LBB4_4057:                             ;   in Loop: Header=BB4_2938 Depth=2
	v_cmp_ne_u16_sdwa s41, v13, v35 src0_sel:BYTE_0 src1_sel:DWORD
	v_mov_b32_e32 v10, 0
	s_andn2_b32 s12, s12, exec_lo
	s_and_b32 s41, s41, exec_lo
	s_or_b32 s12, s12, s41
	s_or_b32 exec_lo, exec_lo, s40
	s_and_saveexec_b32 s40, s12
	s_cbranch_execnz .LBB4_3119
	s_branch .LBB4_3120
.LBB4_4058:                             ;   in Loop: Header=BB4_2938 Depth=2
	s_or_saveexec_b32 s40, s40
	v_mov_b32_e32 v10, 0x7f800001
	s_xor_b32 exec_lo, exec_lo, s40
	s_cbranch_execz .LBB4_3132
.LBB4_4059:                             ;   in Loop: Header=BB4_2938 Depth=2
	v_cmp_ne_u16_sdwa s41, v13, v35 src0_sel:BYTE_1 src1_sel:DWORD
	v_mov_b32_e32 v10, 0
	s_andn2_b32 s12, s12, exec_lo
	s_and_b32 s41, s41, exec_lo
	s_or_b32 s12, s12, s41
	s_or_b32 exec_lo, exec_lo, s40
	s_and_saveexec_b32 s40, s12
	s_cbranch_execnz .LBB4_3133
	s_branch .LBB4_3134
.LBB4_4060:                             ;   in Loop: Header=BB4_2938 Depth=2
	s_or_saveexec_b32 s40, s40
	v_mov_b32_e32 v10, 0x7f800001
	s_xor_b32 exec_lo, exec_lo, s40
	s_cbranch_execz .LBB4_3146
.LBB4_4061:                             ;   in Loop: Header=BB4_2938 Depth=2
	v_cmp_ne_u16_e32 vcc_lo, 0, v11
	v_mov_b32_e32 v10, 0
	s_andn2_b32 s12, s12, exec_lo
	s_and_b32 s41, vcc_lo, exec_lo
	s_or_b32 s12, s12, s41
	s_or_b32 exec_lo, exec_lo, s40
	s_and_saveexec_b32 s40, s12
	s_cbranch_execnz .LBB4_3147
	s_branch .LBB4_3148
.LBB4_4062:                             ;   in Loop: Header=BB4_2938 Depth=2
	s_or_saveexec_b32 s40, s40
	v_mov_b32_e32 v10, 0x7f800001
	s_xor_b32 exec_lo, exec_lo, s40
	s_cbranch_execz .LBB4_3160
.LBB4_4063:                             ;   in Loop: Header=BB4_2938 Depth=2
	v_cmp_ne_u16_sdwa s41, v13, v35 src0_sel:BYTE_3 src1_sel:DWORD
	v_mov_b32_e32 v10, 0
	s_andn2_b32 s12, s12, exec_lo
	s_and_b32 s41, s41, exec_lo
	s_or_b32 s12, s12, s41
	s_or_b32 exec_lo, exec_lo, s40
	s_and_saveexec_b32 s40, s12
	s_cbranch_execnz .LBB4_3161
	s_branch .LBB4_3162
.LBB4_4064:                             ;   in Loop: Header=BB4_2938 Depth=2
	s_or_saveexec_b32 s40, s40
	v_mov_b32_e32 v14, 0x7f800001
	s_xor_b32 exec_lo, exec_lo, s40
	s_cbranch_execz .LBB4_3174
.LBB4_4065:                             ;   in Loop: Header=BB4_2938 Depth=2
	v_cmp_ne_u16_sdwa s41, v10, v35 src0_sel:BYTE_0 src1_sel:DWORD
	v_mov_b32_e32 v14, 0
	s_andn2_b32 s12, s12, exec_lo
	s_and_b32 s41, s41, exec_lo
	s_or_b32 s12, s12, s41
	s_or_b32 exec_lo, exec_lo, s40
	s_and_saveexec_b32 s40, s12
	s_cbranch_execnz .LBB4_3175
	s_branch .LBB4_3176
.LBB4_4066:                             ;   in Loop: Header=BB4_2938 Depth=2
	s_or_saveexec_b32 s40, s40
	v_mov_b32_e32 v14, 0x7f800001
	s_xor_b32 exec_lo, exec_lo, s40
	s_cbranch_execz .LBB4_3188
.LBB4_4067:                             ;   in Loop: Header=BB4_2938 Depth=2
	v_cmp_ne_u16_sdwa s41, v10, v35 src0_sel:BYTE_1 src1_sel:DWORD
	v_mov_b32_e32 v14, 0
	s_andn2_b32 s12, s12, exec_lo
	s_and_b32 s41, s41, exec_lo
	s_or_b32 s12, s12, s41
	s_or_b32 exec_lo, exec_lo, s40
	s_and_saveexec_b32 s40, s12
	s_cbranch_execnz .LBB4_3189
	s_branch .LBB4_3190
.LBB4_4068:                             ;   in Loop: Header=BB4_2938 Depth=2
	s_or_saveexec_b32 s40, s40
	v_mov_b32_e32 v14, 0x7f800001
	s_xor_b32 exec_lo, exec_lo, s40
	s_cbranch_execz .LBB4_3202
.LBB4_4069:                             ;   in Loop: Header=BB4_2938 Depth=2
	v_cmp_ne_u16_e32 vcc_lo, 0, v15
	v_mov_b32_e32 v14, 0
	s_andn2_b32 s12, s12, exec_lo
	s_and_b32 s41, vcc_lo, exec_lo
	s_or_b32 s12, s12, s41
	s_or_b32 exec_lo, exec_lo, s40
	s_and_saveexec_b32 s40, s12
	s_cbranch_execnz .LBB4_3203
	s_branch .LBB4_3204
.LBB4_4070:                             ;   in Loop: Header=BB4_2938 Depth=2
	s_or_saveexec_b32 s40, s40
	v_mov_b32_e32 v14, 0x7f800001
	s_xor_b32 exec_lo, exec_lo, s40
	s_cbranch_execz .LBB4_3216
.LBB4_4071:                             ;   in Loop: Header=BB4_2938 Depth=2
	v_cmp_ne_u16_sdwa s41, v10, v35 src0_sel:BYTE_3 src1_sel:DWORD
	v_mov_b32_e32 v14, 0
	s_andn2_b32 s12, s12, exec_lo
	s_and_b32 s41, s41, exec_lo
	s_or_b32 s12, s12, s41
	s_or_b32 exec_lo, exec_lo, s40
	s_and_saveexec_b32 s40, s12
	s_cbranch_execnz .LBB4_3217
	s_branch .LBB4_3218
.LBB4_4072:                             ;   in Loop: Header=BB4_2938 Depth=2
	s_or_saveexec_b32 s40, s40
	v_mov_b32_e32 v10, 0x7f800001
	s_xor_b32 exec_lo, exec_lo, s40
	s_cbranch_execz .LBB4_3230
.LBB4_4073:                             ;   in Loop: Header=BB4_2938 Depth=2
	v_cmp_ne_u16_sdwa s41, v11, v35 src0_sel:BYTE_0 src1_sel:DWORD
	v_mov_b32_e32 v10, 0
	s_andn2_b32 s12, s12, exec_lo
	s_and_b32 s41, s41, exec_lo
	s_or_b32 s12, s12, s41
	s_or_b32 exec_lo, exec_lo, s40
	s_and_saveexec_b32 s40, s12
	s_cbranch_execnz .LBB4_3231
	s_branch .LBB4_3232
.LBB4_4074:                             ;   in Loop: Header=BB4_2938 Depth=2
	s_or_saveexec_b32 s40, s40
	v_mov_b32_e32 v10, 0x7f800001
	s_xor_b32 exec_lo, exec_lo, s40
	s_cbranch_execz .LBB4_3244
.LBB4_4075:                             ;   in Loop: Header=BB4_2938 Depth=2
	v_cmp_ne_u16_sdwa s41, v11, v35 src0_sel:BYTE_1 src1_sel:DWORD
	v_mov_b32_e32 v10, 0
	s_andn2_b32 s12, s12, exec_lo
	s_and_b32 s41, s41, exec_lo
	s_or_b32 s12, s12, s41
	s_or_b32 exec_lo, exec_lo, s40
	s_and_saveexec_b32 s40, s12
	s_cbranch_execnz .LBB4_3245
	s_branch .LBB4_3246
.LBB4_4076:                             ;   in Loop: Header=BB4_2938 Depth=2
	s_or_saveexec_b32 s40, s40
	v_mov_b32_e32 v10, 0x7f800001
	s_xor_b32 exec_lo, exec_lo, s40
	s_cbranch_execz .LBB4_3258
.LBB4_4077:                             ;   in Loop: Header=BB4_2938 Depth=2
	v_cmp_ne_u16_e32 vcc_lo, 0, v14
	v_mov_b32_e32 v10, 0
	s_andn2_b32 s12, s12, exec_lo
	s_and_b32 s41, vcc_lo, exec_lo
	s_or_b32 s12, s12, s41
	s_or_b32 exec_lo, exec_lo, s40
	s_and_saveexec_b32 s40, s12
	s_cbranch_execnz .LBB4_3259
	s_branch .LBB4_3260
.LBB4_4078:                             ;   in Loop: Header=BB4_2938 Depth=2
	s_or_saveexec_b32 s40, s40
	v_mov_b32_e32 v10, 0x7f800001
	s_xor_b32 exec_lo, exec_lo, s40
	s_cbranch_execz .LBB4_3272
.LBB4_4079:                             ;   in Loop: Header=BB4_2938 Depth=2
	v_cmp_ne_u16_sdwa s41, v11, v35 src0_sel:BYTE_3 src1_sel:DWORD
	v_mov_b32_e32 v10, 0
	s_andn2_b32 s12, s12, exec_lo
	s_and_b32 s41, s41, exec_lo
	s_or_b32 s12, s12, s41
	s_or_b32 exec_lo, exec_lo, s40
	s_and_saveexec_b32 s40, s12
	s_cbranch_execnz .LBB4_3273
	s_branch .LBB4_3274
.LBB4_4080:                             ;   in Loop: Header=BB4_2938 Depth=2
	s_or_saveexec_b32 s40, s40
	v_mov_b32_e32 v10, 0x7f800001
	s_xor_b32 exec_lo, exec_lo, s40
	s_cbranch_execz .LBB4_3286
.LBB4_4081:                             ;   in Loop: Header=BB4_2938 Depth=2
	v_cmp_ne_u16_sdwa s41, v12, v35 src0_sel:BYTE_0 src1_sel:DWORD
	v_mov_b32_e32 v10, 0
	s_andn2_b32 s12, s12, exec_lo
	s_and_b32 s41, s41, exec_lo
	s_or_b32 s12, s12, s41
	s_or_b32 exec_lo, exec_lo, s40
	s_and_saveexec_b32 s40, s12
	s_cbranch_execnz .LBB4_3287
	s_branch .LBB4_3288
.LBB4_4082:                             ;   in Loop: Header=BB4_2938 Depth=2
	s_or_saveexec_b32 s40, s40
	v_mov_b32_e32 v10, 0x7f800001
	s_xor_b32 exec_lo, exec_lo, s40
	s_cbranch_execz .LBB4_3300
.LBB4_4083:                             ;   in Loop: Header=BB4_2938 Depth=2
	v_cmp_ne_u16_sdwa s41, v12, v35 src0_sel:BYTE_1 src1_sel:DWORD
	v_mov_b32_e32 v10, 0
	s_andn2_b32 s12, s12, exec_lo
	s_and_b32 s41, s41, exec_lo
	s_or_b32 s12, s12, s41
	s_or_b32 exec_lo, exec_lo, s40
	s_and_saveexec_b32 s40, s12
	s_cbranch_execnz .LBB4_3301
	s_branch .LBB4_3302
.LBB4_4084:                             ;   in Loop: Header=BB4_2938 Depth=2
	s_or_saveexec_b32 s40, s40
	v_mov_b32_e32 v10, 0x7f800001
	s_xor_b32 exec_lo, exec_lo, s40
	s_cbranch_execz .LBB4_3314
.LBB4_4085:                             ;   in Loop: Header=BB4_2938 Depth=2
	v_cmp_ne_u16_e32 vcc_lo, 0, v11
	v_mov_b32_e32 v10, 0
	s_andn2_b32 s12, s12, exec_lo
	s_and_b32 s41, vcc_lo, exec_lo
	s_or_b32 s12, s12, s41
	s_or_b32 exec_lo, exec_lo, s40
	s_and_saveexec_b32 s40, s12
	s_cbranch_execnz .LBB4_3315
	s_branch .LBB4_3316
.LBB4_4086:                             ;   in Loop: Header=BB4_2938 Depth=2
	s_or_saveexec_b32 s40, s40
	v_mov_b32_e32 v10, 0x7f800001
	s_xor_b32 exec_lo, exec_lo, s40
	s_cbranch_execz .LBB4_3328
.LBB4_4087:                             ;   in Loop: Header=BB4_2938 Depth=2
	v_cmp_ne_u16_sdwa s41, v12, v35 src0_sel:BYTE_3 src1_sel:DWORD
	v_mov_b32_e32 v10, 0
	s_andn2_b32 s12, s12, exec_lo
	s_and_b32 s41, s41, exec_lo
	s_or_b32 s12, s12, s41
	s_or_b32 exec_lo, exec_lo, s40
	s_and_saveexec_b32 s40, s12
	s_cbranch_execnz .LBB4_3329
	s_branch .LBB4_3330
.LBB4_4088:                             ;   in Loop: Header=BB4_2938 Depth=2
	s_or_saveexec_b32 s40, s40
	v_mov_b32_e32 v10, 0x7f800001
	s_xor_b32 exec_lo, exec_lo, s40
	s_cbranch_execz .LBB4_3342
.LBB4_4089:                             ;   in Loop: Header=BB4_2938 Depth=2
	v_cmp_ne_u16_sdwa s41, v13, v35 src0_sel:BYTE_0 src1_sel:DWORD
	v_mov_b32_e32 v10, 0
	s_andn2_b32 s12, s12, exec_lo
	s_and_b32 s41, s41, exec_lo
	s_or_b32 s12, s12, s41
	s_or_b32 exec_lo, exec_lo, s40
	s_and_saveexec_b32 s40, s12
	s_cbranch_execnz .LBB4_3343
	s_branch .LBB4_3344
.LBB4_4090:                             ;   in Loop: Header=BB4_2938 Depth=2
	s_or_saveexec_b32 s40, s40
	v_mov_b32_e32 v10, 0x7f800001
	s_xor_b32 exec_lo, exec_lo, s40
	s_cbranch_execz .LBB4_3356
.LBB4_4091:                             ;   in Loop: Header=BB4_2938 Depth=2
	v_cmp_ne_u16_sdwa s41, v13, v35 src0_sel:BYTE_1 src1_sel:DWORD
	v_mov_b32_e32 v10, 0
	s_andn2_b32 s12, s12, exec_lo
	s_and_b32 s41, s41, exec_lo
	s_or_b32 s12, s12, s41
	s_or_b32 exec_lo, exec_lo, s40
	s_and_saveexec_b32 s40, s12
	s_cbranch_execnz .LBB4_3357
	s_branch .LBB4_3358
.LBB4_4092:                             ;   in Loop: Header=BB4_2938 Depth=2
	s_or_saveexec_b32 s40, s40
	v_mov_b32_e32 v10, 0x7f800001
	s_xor_b32 exec_lo, exec_lo, s40
	s_cbranch_execz .LBB4_3370
.LBB4_4093:                             ;   in Loop: Header=BB4_2938 Depth=2
	v_cmp_ne_u16_e32 vcc_lo, 0, v11
	v_mov_b32_e32 v10, 0
	s_andn2_b32 s12, s12, exec_lo
	s_and_b32 s41, vcc_lo, exec_lo
	s_or_b32 s12, s12, s41
	s_or_b32 exec_lo, exec_lo, s40
	s_and_saveexec_b32 s40, s12
	s_cbranch_execnz .LBB4_3371
	s_branch .LBB4_3372
.LBB4_4094:                             ;   in Loop: Header=BB4_2938 Depth=2
	s_or_saveexec_b32 s40, s40
	v_mov_b32_e32 v10, 0x7f800001
	s_xor_b32 exec_lo, exec_lo, s40
	s_cbranch_execz .LBB4_3384
.LBB4_4095:                             ;   in Loop: Header=BB4_2938 Depth=2
	v_cmp_ne_u16_sdwa s41, v13, v35 src0_sel:BYTE_3 src1_sel:DWORD
	v_mov_b32_e32 v10, 0
	s_andn2_b32 s12, s12, exec_lo
	s_and_b32 s41, s41, exec_lo
	s_or_b32 s12, s12, s41
	s_or_b32 exec_lo, exec_lo, s40
	s_and_saveexec_b32 s40, s12
	s_cbranch_execnz .LBB4_3385
	s_branch .LBB4_3386
.LBB4_4096:                             ;   in Loop: Header=BB4_2938 Depth=2
	s_or_saveexec_b32 s29, s29
	v_mov_b32_e32 v99, 0x7f800001
	s_xor_b32 exec_lo, exec_lo, s29
	s_cbranch_execz .LBB4_3398
.LBB4_4097:                             ;   in Loop: Header=BB4_2938 Depth=2
	v_cmp_ne_u16_sdwa s40, v75, v35 src0_sel:BYTE_0 src1_sel:DWORD
	v_mov_b32_e32 v99, 0
	s_andn2_b32 s12, s12, exec_lo
	s_and_b32 s40, s40, exec_lo
	s_or_b32 s12, s12, s40
	s_or_b32 exec_lo, exec_lo, s29
	s_and_saveexec_b32 s29, s12
	s_cbranch_execnz .LBB4_3399
	s_branch .LBB4_3400
.LBB4_4098:                             ;   in Loop: Header=BB4_2938 Depth=2
	s_or_saveexec_b32 s29, s29
	v_mov_b32_e32 v103, 0x7f800001
	s_xor_b32 exec_lo, exec_lo, s29
	s_cbranch_execz .LBB4_3404
.LBB4_4099:                             ;   in Loop: Header=BB4_2938 Depth=2
	v_cmp_ne_u16_sdwa s40, v14, v35 src0_sel:BYTE_0 src1_sel:DWORD
	v_mov_b32_e32 v103, 0
	s_andn2_b32 s12, s12, exec_lo
	s_and_b32 s40, s40, exec_lo
	s_or_b32 s12, s12, s40
	s_or_b32 exec_lo, exec_lo, s29
	s_and_saveexec_b32 s29, s12
	s_cbranch_execnz .LBB4_3405
	s_branch .LBB4_3406
.LBB4_4100:                             ;   in Loop: Header=BB4_2938 Depth=2
	s_or_saveexec_b32 s29, s29
	v_mov_b32_e32 v103, 0x7f800001
	s_xor_b32 exec_lo, exec_lo, s29
	s_cbranch_execz .LBB4_3418
.LBB4_4101:                             ;   in Loop: Header=BB4_2938 Depth=2
	v_cmp_ne_u16_sdwa s40, v75, v35 src0_sel:BYTE_1 src1_sel:DWORD
	v_mov_b32_e32 v103, 0
	s_andn2_b32 s12, s12, exec_lo
	s_and_b32 s40, s40, exec_lo
	s_or_b32 s12, s12, s40
	s_or_b32 exec_lo, exec_lo, s29
	s_and_saveexec_b32 s29, s12
	s_cbranch_execnz .LBB4_3419
	s_branch .LBB4_3420
.LBB4_4102:                             ;   in Loop: Header=BB4_2938 Depth=2
	s_or_saveexec_b32 s29, s29
	v_mov_b32_e32 v76, 0x7f800001
	s_xor_b32 exec_lo, exec_lo, s29
	s_cbranch_execz .LBB4_3424
.LBB4_4103:                             ;   in Loop: Header=BB4_2938 Depth=2
	v_cmp_ne_u16_sdwa s40, v14, v35 src0_sel:BYTE_1 src1_sel:DWORD
	v_mov_b32_e32 v76, 0
	s_andn2_b32 s12, s12, exec_lo
	s_and_b32 s40, s40, exec_lo
	s_or_b32 s12, s12, s40
	s_or_b32 exec_lo, exec_lo, s29
	s_and_saveexec_b32 s29, s12
	s_cbranch_execnz .LBB4_3425
	s_branch .LBB4_3426
.LBB4_4104:                             ;   in Loop: Header=BB4_2938 Depth=2
	s_or_saveexec_b32 s29, s29
	v_mov_b32_e32 v115, 0x7f800001
	s_xor_b32 exec_lo, exec_lo, s29
	s_cbranch_execz .LBB4_3438
.LBB4_4105:                             ;   in Loop: Header=BB4_2938 Depth=2
	v_cmp_ne_u16_sdwa s40, v74, v35 src0_sel:BYTE_0 src1_sel:DWORD
	v_mov_b32_e32 v115, 0
	s_andn2_b32 s12, s12, exec_lo
	s_and_b32 s40, s40, exec_lo
	s_or_b32 s12, s12, s40
	s_or_b32 exec_lo, exec_lo, s29
	v_lshl_or_b32 v74, v74, 16, v75
	s_and_saveexec_b32 s29, s12
	s_cbranch_execnz .LBB4_3439
	s_branch .LBB4_3440
.LBB4_4106:                             ;   in Loop: Header=BB4_2938 Depth=2
	s_or_saveexec_b32 s29, s29
	v_mov_b32_e32 v75, 0x7f800001
	s_xor_b32 exec_lo, exec_lo, s29
	s_cbranch_execz .LBB4_3444
.LBB4_4107:                             ;   in Loop: Header=BB4_2938 Depth=2
	v_cmp_ne_u16_e32 vcc_lo, 0, v76
	v_mov_b32_e32 v75, 0
	s_andn2_b32 s12, s12, exec_lo
	s_and_b32 s40, vcc_lo, exec_lo
	s_or_b32 s12, s12, s40
	s_or_b32 exec_lo, exec_lo, s29
	s_and_saveexec_b32 s29, s12
	s_cbranch_execnz .LBB4_3445
	s_branch .LBB4_3446
.LBB4_4108:                             ;   in Loop: Header=BB4_2938 Depth=2
	s_or_saveexec_b32 s29, s29
	v_mov_b32_e32 v75, 0x7f800001
	s_xor_b32 exec_lo, exec_lo, s29
	s_cbranch_execz .LBB4_3458
.LBB4_4109:                             ;   in Loop: Header=BB4_2938 Depth=2
	v_cmp_ne_u16_sdwa s40, v74, v35 src0_sel:BYTE_3 src1_sel:DWORD
	v_mov_b32_e32 v75, 0
	s_andn2_b32 s12, s12, exec_lo
	s_and_b32 s40, s40, exec_lo
	s_or_b32 s12, s12, s40
	s_or_b32 exec_lo, exec_lo, s29
	s_and_saveexec_b32 s29, s12
	s_cbranch_execnz .LBB4_3459
	s_branch .LBB4_3460
.LBB4_4110:                             ;   in Loop: Header=BB4_2938 Depth=2
	s_or_saveexec_b32 s29, s29
	v_mov_b32_e32 v74, 0x7f800001
	s_xor_b32 exec_lo, exec_lo, s29
	s_cbranch_execz .LBB4_3464
.LBB4_4111:                             ;   in Loop: Header=BB4_2938 Depth=2
	v_cmp_ne_u16_sdwa s40, v14, v35 src0_sel:BYTE_3 src1_sel:DWORD
	v_mov_b32_e32 v74, 0
	s_andn2_b32 s12, s12, exec_lo
	s_and_b32 s40, s40, exec_lo
	s_or_b32 s12, s12, s40
	s_or_b32 exec_lo, exec_lo, s29
	s_and_saveexec_b32 s29, s12
	s_cbranch_execnz .LBB4_3465
	s_branch .LBB4_3466
.LBB4_4112:                             ;   in Loop: Header=BB4_2938 Depth=2
	s_or_saveexec_b32 s29, s29
	v_mov_b32_e32 v43, 0x7f800001
	s_xor_b32 exec_lo, exec_lo, s29
	s_cbranch_execz .LBB4_3478
.LBB4_4113:                             ;   in Loop: Header=BB4_2938 Depth=2
	v_cmp_ne_u16_sdwa s40, v74, v35 src0_sel:BYTE_0 src1_sel:DWORD
	v_mov_b32_e32 v43, 0
	s_andn2_b32 s12, s12, exec_lo
	s_and_b32 s40, s40, exec_lo
	s_or_b32 s12, s12, s40
	s_or_b32 exec_lo, exec_lo, s29
	s_and_saveexec_b32 s29, s12
	s_cbranch_execnz .LBB4_3479
	s_branch .LBB4_3480
.LBB4_4114:                             ;   in Loop: Header=BB4_2938 Depth=2
	s_or_saveexec_b32 s29, s29
	v_mov_b32_e32 v47, 0x7f800001
	s_xor_b32 exec_lo, exec_lo, s29
	s_cbranch_execz .LBB4_3484
.LBB4_4115:                             ;   in Loop: Header=BB4_2938 Depth=2
	v_cmp_ne_u16_sdwa s40, v15, v35 src0_sel:BYTE_0 src1_sel:DWORD
	v_mov_b32_e32 v47, 0
	s_andn2_b32 s12, s12, exec_lo
	s_and_b32 s40, s40, exec_lo
	s_or_b32 s12, s12, s40
	s_or_b32 exec_lo, exec_lo, s29
	s_and_saveexec_b32 s29, s12
	s_cbranch_execnz .LBB4_3485
	s_branch .LBB4_3486
.LBB4_4116:                             ;   in Loop: Header=BB4_2938 Depth=2
	s_or_saveexec_b32 s29, s29
	v_mov_b32_e32 v47, 0x7f800001
	s_xor_b32 exec_lo, exec_lo, s29
	s_cbranch_execz .LBB4_3498
.LBB4_4117:                             ;   in Loop: Header=BB4_2938 Depth=2
	v_cmp_ne_u16_sdwa s40, v74, v35 src0_sel:BYTE_1 src1_sel:DWORD
	v_mov_b32_e32 v47, 0
	s_andn2_b32 s12, s12, exec_lo
	s_and_b32 s40, s40, exec_lo
	s_or_b32 s12, s12, s40
	s_or_b32 exec_lo, exec_lo, s29
	s_and_saveexec_b32 s29, s12
	s_cbranch_execnz .LBB4_3499
	s_branch .LBB4_3500
.LBB4_4118:                             ;   in Loop: Header=BB4_2938 Depth=2
	s_or_saveexec_b32 s29, s29
	v_mov_b32_e32 v75, 0x7f800001
	s_xor_b32 exec_lo, exec_lo, s29
	s_cbranch_execz .LBB4_3504
.LBB4_4119:                             ;   in Loop: Header=BB4_2938 Depth=2
	v_cmp_ne_u16_sdwa s40, v15, v35 src0_sel:BYTE_1 src1_sel:DWORD
	v_mov_b32_e32 v75, 0
	s_andn2_b32 s12, s12, exec_lo
	s_and_b32 s40, s40, exec_lo
	s_or_b32 s12, s12, s40
	s_or_b32 exec_lo, exec_lo, s29
	s_and_saveexec_b32 s29, s12
	s_cbranch_execnz .LBB4_3505
	s_branch .LBB4_3506
.LBB4_4120:                             ;   in Loop: Header=BB4_2938 Depth=2
	s_or_saveexec_b32 s29, s29
	v_mov_b32_e32 v59, 0x7f800001
	s_xor_b32 exec_lo, exec_lo, s29
	s_cbranch_execz .LBB4_3518
.LBB4_4121:                             ;   in Loop: Header=BB4_2938 Depth=2
	v_cmp_ne_u16_sdwa s40, v73, v35 src0_sel:BYTE_0 src1_sel:DWORD
	v_mov_b32_e32 v59, 0
	s_andn2_b32 s12, s12, exec_lo
	s_and_b32 s40, s40, exec_lo
	s_or_b32 s12, s12, s40
	s_or_b32 exec_lo, exec_lo, s29
	v_lshl_or_b32 v73, v73, 16, v74
	s_and_saveexec_b32 s29, s12
	s_cbranch_execnz .LBB4_3519
	s_branch .LBB4_3520
.LBB4_4122:                             ;   in Loop: Header=BB4_2938 Depth=2
	s_or_saveexec_b32 s29, s29
	v_mov_b32_e32 v74, 0x7f800001
	s_xor_b32 exec_lo, exec_lo, s29
	s_cbranch_execz .LBB4_3524
.LBB4_4123:                             ;   in Loop: Header=BB4_2938 Depth=2
	v_cmp_ne_u16_e32 vcc_lo, 0, v75
	v_mov_b32_e32 v74, 0
	s_andn2_b32 s12, s12, exec_lo
	s_and_b32 s40, vcc_lo, exec_lo
	s_or_b32 s12, s12, s40
	s_or_b32 exec_lo, exec_lo, s29
	s_and_saveexec_b32 s29, s12
	s_cbranch_execnz .LBB4_3525
	s_branch .LBB4_3526
.LBB4_4124:                             ;   in Loop: Header=BB4_2938 Depth=2
	s_or_saveexec_b32 s29, s29
	v_mov_b32_e32 v74, 0x7f800001
	s_xor_b32 exec_lo, exec_lo, s29
	s_cbranch_execz .LBB4_3538
.LBB4_4125:                             ;   in Loop: Header=BB4_2938 Depth=2
	v_cmp_ne_u16_sdwa s40, v73, v35 src0_sel:BYTE_3 src1_sel:DWORD
	v_mov_b32_e32 v74, 0
	s_andn2_b32 s12, s12, exec_lo
	s_and_b32 s40, s40, exec_lo
	s_or_b32 s12, s12, s40
	s_or_b32 exec_lo, exec_lo, s29
	s_and_saveexec_b32 s29, s12
	s_cbranch_execnz .LBB4_3539
	s_branch .LBB4_3540
.LBB4_4126:                             ;   in Loop: Header=BB4_2938 Depth=2
	s_or_saveexec_b32 s29, s29
	v_mov_b32_e32 v73, 0x7f800001
	s_xor_b32 exec_lo, exec_lo, s29
	s_cbranch_execz .LBB4_3544
.LBB4_4127:                             ;   in Loop: Header=BB4_2938 Depth=2
	v_cmp_ne_u16_sdwa s40, v15, v35 src0_sel:BYTE_3 src1_sel:DWORD
	v_mov_b32_e32 v73, 0
	s_andn2_b32 s12, s12, exec_lo
	s_and_b32 s40, s40, exec_lo
	s_or_b32 s12, s12, s40
	s_or_b32 exec_lo, exec_lo, s29
	s_and_saveexec_b32 s29, s12
	s_cbranch_execnz .LBB4_3545
	s_branch .LBB4_3546
.LBB4_4128:                             ;   in Loop: Header=BB4_2938 Depth=2
	s_or_saveexec_b32 s29, s29
	v_mov_b32_e32 v62, 0x7f800001
	s_xor_b32 exec_lo, exec_lo, s29
	s_cbranch_execz .LBB4_3558
.LBB4_4129:                             ;   in Loop: Header=BB4_2938 Depth=2
	v_cmp_ne_u16_sdwa s40, v73, v35 src0_sel:BYTE_0 src1_sel:DWORD
	v_mov_b32_e32 v62, 0
	s_andn2_b32 s12, s12, exec_lo
	s_and_b32 s40, s40, exec_lo
	s_or_b32 s12, s12, s40
	s_or_b32 exec_lo, exec_lo, s29
	s_and_saveexec_b32 s29, s12
	s_cbranch_execnz .LBB4_3559
	s_branch .LBB4_3560
.LBB4_4130:                             ;   in Loop: Header=BB4_2938 Depth=2
	s_or_saveexec_b32 s29, s29
	v_mov_b32_e32 v72, 0x7f800001
	s_xor_b32 exec_lo, exec_lo, s29
	s_cbranch_execz .LBB4_3564
.LBB4_4131:                             ;   in Loop: Header=BB4_2938 Depth=2
	v_cmp_ne_u16_sdwa s40, v16, v35 src0_sel:BYTE_0 src1_sel:DWORD
	v_mov_b32_e32 v72, 0
	s_andn2_b32 s12, s12, exec_lo
	s_and_b32 s40, s40, exec_lo
	s_or_b32 s12, s12, s40
	s_or_b32 exec_lo, exec_lo, s29
	s_and_saveexec_b32 s29, s12
	s_cbranch_execnz .LBB4_3565
	s_branch .LBB4_3566
.LBB4_4132:                             ;   in Loop: Header=BB4_2938 Depth=2
	s_or_saveexec_b32 s29, s29
	v_mov_b32_e32 v72, 0x7f800001
	s_xor_b32 exec_lo, exec_lo, s29
	s_cbranch_execz .LBB4_3578
.LBB4_4133:                             ;   in Loop: Header=BB4_2938 Depth=2
	v_cmp_ne_u16_sdwa s40, v73, v35 src0_sel:BYTE_1 src1_sel:DWORD
	v_mov_b32_e32 v72, 0
	s_andn2_b32 s12, s12, exec_lo
	s_and_b32 s40, s40, exec_lo
	s_or_b32 s12, s12, s40
	s_or_b32 exec_lo, exec_lo, s29
	s_and_saveexec_b32 s29, s12
	s_cbranch_execnz .LBB4_3579
	s_branch .LBB4_3580
.LBB4_4134:                             ;   in Loop: Header=BB4_2938 Depth=2
	s_or_saveexec_b32 s29, s29
	v_mov_b32_e32 v74, 0x7f800001
	s_xor_b32 exec_lo, exec_lo, s29
	s_cbranch_execz .LBB4_3584
.LBB4_4135:                             ;   in Loop: Header=BB4_2938 Depth=2
	v_cmp_ne_u16_sdwa s40, v16, v35 src0_sel:BYTE_1 src1_sel:DWORD
	v_mov_b32_e32 v74, 0
	s_andn2_b32 s12, s12, exec_lo
	s_and_b32 s40, s40, exec_lo
	s_or_b32 s12, s12, s40
	s_or_b32 exec_lo, exec_lo, s29
	s_and_saveexec_b32 s29, s12
	s_cbranch_execnz .LBB4_3585
	s_branch .LBB4_3586
.LBB4_4136:                             ;   in Loop: Header=BB4_2938 Depth=2
	s_or_saveexec_b32 s29, s29
	v_mov_b32_e32 v60, 0x7f800001
	s_xor_b32 exec_lo, exec_lo, s29
	s_cbranch_execz .LBB4_3598
.LBB4_4137:                             ;   in Loop: Header=BB4_2938 Depth=2
	v_cmp_ne_u16_sdwa s40, v63, v35 src0_sel:BYTE_0 src1_sel:DWORD
	v_mov_b32_e32 v60, 0
	s_andn2_b32 s12, s12, exec_lo
	s_and_b32 s40, s40, exec_lo
	s_or_b32 s12, s12, s40
	s_or_b32 exec_lo, exec_lo, s29
	v_lshl_or_b32 v63, v63, 16, v73
	s_and_saveexec_b32 s29, s12
	s_cbranch_execnz .LBB4_3599
	s_branch .LBB4_3600
.LBB4_4138:                             ;   in Loop: Header=BB4_2938 Depth=2
	s_or_saveexec_b32 s29, s29
	v_mov_b32_e32 v73, 0x7f800001
	s_xor_b32 exec_lo, exec_lo, s29
	s_cbranch_execz .LBB4_3604
.LBB4_4139:                             ;   in Loop: Header=BB4_2938 Depth=2
	v_cmp_ne_u16_e32 vcc_lo, 0, v74
	v_mov_b32_e32 v73, 0
	s_andn2_b32 s12, s12, exec_lo
	s_and_b32 s40, vcc_lo, exec_lo
	s_or_b32 s12, s12, s40
	s_or_b32 exec_lo, exec_lo, s29
	s_and_saveexec_b32 s29, s12
	s_cbranch_execnz .LBB4_3605
	s_branch .LBB4_3606
.LBB4_4140:                             ;   in Loop: Header=BB4_2938 Depth=2
	s_or_saveexec_b32 s29, s29
	v_mov_b32_e32 v73, 0x7f800001
	s_xor_b32 exec_lo, exec_lo, s29
	s_cbranch_execz .LBB4_3618
.LBB4_4141:                             ;   in Loop: Header=BB4_2938 Depth=2
	v_cmp_ne_u16_sdwa s40, v63, v35 src0_sel:BYTE_3 src1_sel:DWORD
	v_mov_b32_e32 v73, 0
	s_andn2_b32 s12, s12, exec_lo
	s_and_b32 s40, s40, exec_lo
	s_or_b32 s12, s12, s40
	s_or_b32 exec_lo, exec_lo, s29
	s_and_saveexec_b32 s29, s12
	s_cbranch_execnz .LBB4_3619
	s_branch .LBB4_3620
.LBB4_4142:                             ;   in Loop: Header=BB4_2938 Depth=2
	s_or_saveexec_b32 s29, s29
	v_mov_b32_e32 v63, 0x7f800001
	s_xor_b32 exec_lo, exec_lo, s29
	s_cbranch_execz .LBB4_3624
.LBB4_4143:                             ;   in Loop: Header=BB4_2938 Depth=2
	v_cmp_ne_u16_sdwa s40, v16, v35 src0_sel:BYTE_3 src1_sel:DWORD
	v_mov_b32_e32 v63, 0
	s_andn2_b32 s12, s12, exec_lo
	s_and_b32 s40, s40, exec_lo
	s_or_b32 s12, s12, s40
	s_or_b32 exec_lo, exec_lo, s29
	s_and_saveexec_b32 s29, s12
	s_cbranch_execnz .LBB4_3625
	s_branch .LBB4_3626
.LBB4_4144:                             ;   in Loop: Header=BB4_2938 Depth=2
	s_or_saveexec_b32 s29, s29
	v_mov_b32_e32 v57, 0x7f800001
	s_xor_b32 exec_lo, exec_lo, s29
	s_cbranch_execz .LBB4_3638
.LBB4_4145:                             ;   in Loop: Header=BB4_2938 Depth=2
	v_cmp_ne_u16_sdwa s40, v63, v35 src0_sel:BYTE_0 src1_sel:DWORD
	v_mov_b32_e32 v57, 0
	s_andn2_b32 s12, s12, exec_lo
	s_and_b32 s40, s40, exec_lo
	s_or_b32 s12, s12, s40
	s_or_b32 exec_lo, exec_lo, s29
	s_and_saveexec_b32 s29, s12
	s_cbranch_execnz .LBB4_3639
	s_branch .LBB4_3640
.LBB4_4146:                             ;   in Loop: Header=BB4_2938 Depth=2
	s_or_saveexec_b32 s29, s29
	v_mov_b32_e32 v61, 0x7f800001
	s_xor_b32 exec_lo, exec_lo, s29
	s_cbranch_execz .LBB4_3644
.LBB4_4147:                             ;   in Loop: Header=BB4_2938 Depth=2
	v_cmp_ne_u16_sdwa s40, v17, v35 src0_sel:BYTE_0 src1_sel:DWORD
	v_mov_b32_e32 v61, 0
	s_andn2_b32 s12, s12, exec_lo
	s_and_b32 s40, s40, exec_lo
	s_or_b32 s12, s12, s40
	s_or_b32 exec_lo, exec_lo, s29
	s_and_saveexec_b32 s29, s12
	s_cbranch_execnz .LBB4_3645
	s_branch .LBB4_3646
.LBB4_4148:                             ;   in Loop: Header=BB4_2938 Depth=2
	s_or_saveexec_b32 s29, s29
	v_mov_b32_e32 v61, 0x7f800001
	s_xor_b32 exec_lo, exec_lo, s29
	s_cbranch_execz .LBB4_3658
.LBB4_4149:                             ;   in Loop: Header=BB4_2938 Depth=2
	v_cmp_ne_u16_sdwa s40, v63, v35 src0_sel:BYTE_1 src1_sel:DWORD
	v_mov_b32_e32 v61, 0
	s_andn2_b32 s12, s12, exec_lo
	s_and_b32 s40, s40, exec_lo
	s_or_b32 s12, s12, s40
	s_or_b32 exec_lo, exec_lo, s29
	s_and_saveexec_b32 s29, s12
	s_cbranch_execnz .LBB4_3659
	s_branch .LBB4_3660
.LBB4_4150:                             ;   in Loop: Header=BB4_2938 Depth=2
	s_or_saveexec_b32 s29, s29
	v_mov_b32_e32 v73, 0x7f800001
	s_xor_b32 exec_lo, exec_lo, s29
	s_cbranch_execz .LBB4_3664
.LBB4_4151:                             ;   in Loop: Header=BB4_2938 Depth=2
	v_cmp_ne_u16_sdwa s40, v17, v35 src0_sel:BYTE_1 src1_sel:DWORD
	v_mov_b32_e32 v73, 0
	s_andn2_b32 s12, s12, exec_lo
	s_and_b32 s40, s40, exec_lo
	s_or_b32 s12, s12, s40
	s_or_b32 exec_lo, exec_lo, s29
	s_and_saveexec_b32 s29, s12
	s_cbranch_execnz .LBB4_3665
	s_branch .LBB4_3666
.LBB4_4152:                             ;   in Loop: Header=BB4_2938 Depth=2
	s_or_saveexec_b32 s29, s29
	v_mov_b32_e32 v46, 0x7f800001
	s_xor_b32 exec_lo, exec_lo, s29
	s_cbranch_execz .LBB4_3678
.LBB4_4153:                             ;   in Loop: Header=BB4_2938 Depth=2
	v_cmp_ne_u16_sdwa s40, v58, v35 src0_sel:BYTE_0 src1_sel:DWORD
	v_mov_b32_e32 v46, 0
	s_andn2_b32 s12, s12, exec_lo
	s_and_b32 s40, s40, exec_lo
	s_or_b32 s12, s12, s40
	s_or_b32 exec_lo, exec_lo, s29
	v_lshl_or_b32 v58, v58, 16, v63
	s_and_saveexec_b32 s29, s12
	s_cbranch_execnz .LBB4_3679
	s_branch .LBB4_3680
.LBB4_4154:                             ;   in Loop: Header=BB4_2938 Depth=2
	s_or_saveexec_b32 s29, s29
	v_mov_b32_e32 v63, 0x7f800001
	s_xor_b32 exec_lo, exec_lo, s29
	s_cbranch_execz .LBB4_3684
.LBB4_4155:                             ;   in Loop: Header=BB4_2938 Depth=2
	v_cmp_ne_u16_e32 vcc_lo, 0, v73
	v_mov_b32_e32 v63, 0
	s_andn2_b32 s12, s12, exec_lo
	s_and_b32 s40, vcc_lo, exec_lo
	s_or_b32 s12, s12, s40
	s_or_b32 exec_lo, exec_lo, s29
	s_and_saveexec_b32 s29, s12
	s_cbranch_execnz .LBB4_3685
	s_branch .LBB4_3686
.LBB4_4156:                             ;   in Loop: Header=BB4_2938 Depth=2
	s_or_saveexec_b32 s29, s29
	v_mov_b32_e32 v63, 0x7f800001
	s_xor_b32 exec_lo, exec_lo, s29
	s_cbranch_execz .LBB4_3698
.LBB4_4157:                             ;   in Loop: Header=BB4_2938 Depth=2
	v_cmp_ne_u16_sdwa s40, v58, v35 src0_sel:BYTE_3 src1_sel:DWORD
	v_mov_b32_e32 v63, 0
	s_andn2_b32 s12, s12, exec_lo
	s_and_b32 s40, s40, exec_lo
	s_or_b32 s12, s12, s40
	s_or_b32 exec_lo, exec_lo, s29
	s_and_saveexec_b32 s29, s12
	s_cbranch_execnz .LBB4_3699
	s_branch .LBB4_3700
.LBB4_4158:                             ;   in Loop: Header=BB4_2938 Depth=2
	s_or_saveexec_b32 s29, s29
	v_mov_b32_e32 v58, 0x7f800001
	s_xor_b32 exec_lo, exec_lo, s29
	s_cbranch_execz .LBB4_3704
.LBB4_4159:                             ;   in Loop: Header=BB4_2938 Depth=2
	v_cmp_ne_u16_sdwa s40, v17, v35 src0_sel:BYTE_3 src1_sel:DWORD
	v_mov_b32_e32 v58, 0
	s_andn2_b32 s12, s12, exec_lo
	s_and_b32 s40, s40, exec_lo
	s_or_b32 s12, s12, s40
	s_or_b32 exec_lo, exec_lo, s29
	s_and_saveexec_b32 s29, s12
	s_cbranch_execnz .LBB4_3705
	s_branch .LBB4_3706
.LBB4_4160:                             ;   in Loop: Header=BB4_2938 Depth=2
	s_or_saveexec_b32 s29, s29
	v_mov_b32_e32 v44, 0x7f800001
	s_xor_b32 exec_lo, exec_lo, s29
	s_cbranch_execz .LBB4_3718
.LBB4_4161:                             ;   in Loop: Header=BB4_2938 Depth=2
	v_cmp_ne_u16_sdwa s40, v58, v35 src0_sel:BYTE_0 src1_sel:DWORD
	v_mov_b32_e32 v44, 0
	s_andn2_b32 s12, s12, exec_lo
	s_and_b32 s40, s40, exec_lo
	s_or_b32 s12, s12, s40
	s_or_b32 exec_lo, exec_lo, s29
	s_and_saveexec_b32 s29, s12
	s_cbranch_execnz .LBB4_3719
	s_branch .LBB4_3720
.LBB4_4162:                             ;   in Loop: Header=BB4_2938 Depth=2
	s_or_saveexec_b32 s29, s29
	v_mov_b32_e32 v56, 0x7f800001
	s_xor_b32 exec_lo, exec_lo, s29
	s_cbranch_execz .LBB4_3724
.LBB4_4163:                             ;   in Loop: Header=BB4_2938 Depth=2
	v_cmp_ne_u16_sdwa s40, v10, v35 src0_sel:BYTE_0 src1_sel:DWORD
	v_mov_b32_e32 v56, 0
	s_andn2_b32 s12, s12, exec_lo
	s_and_b32 s40, s40, exec_lo
	s_or_b32 s12, s12, s40
	s_or_b32 exec_lo, exec_lo, s29
	s_and_saveexec_b32 s29, s12
	s_cbranch_execnz .LBB4_3725
	s_branch .LBB4_3726
.LBB4_4164:                             ;   in Loop: Header=BB4_2938 Depth=2
	s_or_saveexec_b32 s29, s29
	v_mov_b32_e32 v56, 0x7f800001
	s_xor_b32 exec_lo, exec_lo, s29
	s_cbranch_execz .LBB4_3738
.LBB4_4165:                             ;   in Loop: Header=BB4_2938 Depth=2
	v_cmp_ne_u16_sdwa s40, v58, v35 src0_sel:BYTE_1 src1_sel:DWORD
	v_mov_b32_e32 v56, 0
	s_andn2_b32 s12, s12, exec_lo
	s_and_b32 s40, s40, exec_lo
	s_or_b32 s12, s12, s40
	s_or_b32 exec_lo, exec_lo, s29
	s_and_saveexec_b32 s29, s12
	s_cbranch_execnz .LBB4_3739
	s_branch .LBB4_3740
.LBB4_4166:                             ;   in Loop: Header=BB4_2938 Depth=2
	s_or_saveexec_b32 s29, s29
	v_mov_b32_e32 v63, 0x7f800001
	s_xor_b32 exec_lo, exec_lo, s29
	s_cbranch_execz .LBB4_3744
.LBB4_4167:                             ;   in Loop: Header=BB4_2938 Depth=2
	v_cmp_ne_u16_sdwa s40, v10, v35 src0_sel:BYTE_1 src1_sel:DWORD
	v_mov_b32_e32 v63, 0
	s_andn2_b32 s12, s12, exec_lo
	s_and_b32 s40, s40, exec_lo
	s_or_b32 s12, s12, s40
	s_or_b32 exec_lo, exec_lo, s29
	s_and_saveexec_b32 s29, s12
	s_cbranch_execnz .LBB4_3745
	s_branch .LBB4_3746
.LBB4_4168:                             ;   in Loop: Header=BB4_2938 Depth=2
	s_or_saveexec_b32 s29, s29
	v_mov_b32_e32 v41, 0x7f800001
	s_xor_b32 exec_lo, exec_lo, s29
	s_cbranch_execz .LBB4_3758
.LBB4_4169:                             ;   in Loop: Header=BB4_2938 Depth=2
	v_cmp_ne_u16_sdwa s40, v45, v35 src0_sel:BYTE_0 src1_sel:DWORD
	v_mov_b32_e32 v41, 0
	s_andn2_b32 s12, s12, exec_lo
	s_and_b32 s40, s40, exec_lo
	s_or_b32 s12, s12, s40
	s_or_b32 exec_lo, exec_lo, s29
	v_lshl_or_b32 v45, v45, 16, v58
	s_and_saveexec_b32 s29, s12
	s_cbranch_execnz .LBB4_3759
	s_branch .LBB4_3760
.LBB4_4170:                             ;   in Loop: Header=BB4_2938 Depth=2
	s_or_saveexec_b32 s29, s29
	v_mov_b32_e32 v58, 0x7f800001
	s_xor_b32 exec_lo, exec_lo, s29
	s_cbranch_execz .LBB4_3764
.LBB4_4171:                             ;   in Loop: Header=BB4_2938 Depth=2
	v_cmp_ne_u16_e32 vcc_lo, 0, v63
	v_mov_b32_e32 v58, 0
	s_andn2_b32 s12, s12, exec_lo
	s_and_b32 s40, vcc_lo, exec_lo
	s_or_b32 s12, s12, s40
	s_or_b32 exec_lo, exec_lo, s29
	s_and_saveexec_b32 s29, s12
	s_cbranch_execnz .LBB4_3765
	s_branch .LBB4_3766
.LBB4_4172:                             ;   in Loop: Header=BB4_2938 Depth=2
	s_or_saveexec_b32 s29, s29
	v_mov_b32_e32 v58, 0x7f800001
	s_xor_b32 exec_lo, exec_lo, s29
	s_cbranch_execz .LBB4_3778
.LBB4_4173:                             ;   in Loop: Header=BB4_2938 Depth=2
	v_cmp_ne_u16_sdwa s40, v45, v35 src0_sel:BYTE_3 src1_sel:DWORD
	v_mov_b32_e32 v58, 0
	s_andn2_b32 s12, s12, exec_lo
	s_and_b32 s40, s40, exec_lo
	s_or_b32 s12, s12, s40
	s_or_b32 exec_lo, exec_lo, s29
	s_and_saveexec_b32 s29, s12
	s_cbranch_execnz .LBB4_3779
	s_branch .LBB4_3780
.LBB4_4174:                             ;   in Loop: Header=BB4_2938 Depth=2
	s_or_saveexec_b32 s29, s29
	v_mov_b32_e32 v45, 0x7f800001
	s_xor_b32 exec_lo, exec_lo, s29
	s_cbranch_execz .LBB4_3784
.LBB4_4175:                             ;   in Loop: Header=BB4_2938 Depth=2
	v_cmp_ne_u16_sdwa s40, v10, v35 src0_sel:BYTE_3 src1_sel:DWORD
	v_mov_b32_e32 v45, 0
	s_andn2_b32 s12, s12, exec_lo
	s_and_b32 s40, s40, exec_lo
	s_or_b32 s12, s12, s40
	s_or_b32 exec_lo, exec_lo, s29
	s_and_saveexec_b32 s29, s12
	s_cbranch_execnz .LBB4_3785
	s_branch .LBB4_3786
.LBB4_4176:                             ;   in Loop: Header=BB4_2938 Depth=2
	s_or_saveexec_b32 s29, s29
	v_mov_b32_e32 v119, 0x7f800001
	s_xor_b32 exec_lo, exec_lo, s29
	s_cbranch_execz .LBB4_3798
.LBB4_4177:                             ;   in Loop: Header=BB4_2938 Depth=2
	v_cmp_ne_u16_sdwa s40, v45, v35 src0_sel:BYTE_0 src1_sel:DWORD
	v_mov_b32_e32 v119, 0
	s_andn2_b32 s12, s12, exec_lo
	s_and_b32 s40, s40, exec_lo
	s_or_b32 s12, s12, s40
	s_or_b32 exec_lo, exec_lo, s29
	s_and_saveexec_b32 s29, s12
	s_cbranch_execnz .LBB4_3799
	s_branch .LBB4_3800
.LBB4_4178:                             ;   in Loop: Header=BB4_2938 Depth=2
	s_or_saveexec_b32 s29, s29
	v_mov_b32_e32 v42, 0x7f800001
	s_xor_b32 exec_lo, exec_lo, s29
	s_cbranch_execz .LBB4_3804
.LBB4_4179:                             ;   in Loop: Header=BB4_2938 Depth=2
	v_cmp_ne_u16_sdwa s40, v11, v35 src0_sel:BYTE_0 src1_sel:DWORD
	v_mov_b32_e32 v42, 0
	s_andn2_b32 s12, s12, exec_lo
	s_and_b32 s40, s40, exec_lo
	s_or_b32 s12, s12, s40
	s_or_b32 exec_lo, exec_lo, s29
	s_and_saveexec_b32 s29, s12
	s_cbranch_execnz .LBB4_3805
	s_branch .LBB4_3806
.LBB4_4180:                             ;   in Loop: Header=BB4_2938 Depth=2
	s_or_saveexec_b32 s29, s29
	v_mov_b32_e32 v42, 0x7f800001
	s_xor_b32 exec_lo, exec_lo, s29
	s_cbranch_execz .LBB4_3818
.LBB4_4181:                             ;   in Loop: Header=BB4_2938 Depth=2
	v_cmp_ne_u16_sdwa s40, v45, v35 src0_sel:BYTE_1 src1_sel:DWORD
	v_mov_b32_e32 v42, 0
	s_andn2_b32 s12, s12, exec_lo
	s_and_b32 s40, s40, exec_lo
	s_or_b32 s12, s12, s40
	s_or_b32 exec_lo, exec_lo, s29
	s_and_saveexec_b32 s29, s12
	s_cbranch_execnz .LBB4_3819
	s_branch .LBB4_3820
.LBB4_4182:                             ;   in Loop: Header=BB4_2938 Depth=2
	s_or_saveexec_b32 s29, s29
	v_mov_b32_e32 v58, 0x7f800001
	s_xor_b32 exec_lo, exec_lo, s29
	s_cbranch_execz .LBB4_3824
.LBB4_4183:                             ;   in Loop: Header=BB4_2938 Depth=2
	v_cmp_ne_u16_sdwa s40, v11, v35 src0_sel:BYTE_1 src1_sel:DWORD
	v_mov_b32_e32 v58, 0
	s_andn2_b32 s12, s12, exec_lo
	s_and_b32 s40, s40, exec_lo
	s_or_b32 s12, s12, s40
	s_or_b32 exec_lo, exec_lo, s29
	s_and_saveexec_b32 s29, s12
	s_cbranch_execnz .LBB4_3825
	s_branch .LBB4_3826
.LBB4_4184:                             ;   in Loop: Header=BB4_2938 Depth=2
	s_or_saveexec_b32 s29, s29
	v_mov_b32_e32 v117, 0x7f800001
	s_xor_b32 exec_lo, exec_lo, s29
	s_cbranch_execz .LBB4_3838
.LBB4_4185:                             ;   in Loop: Header=BB4_2938 Depth=2
	v_cmp_ne_u16_sdwa s40, v40, v35 src0_sel:BYTE_0 src1_sel:DWORD
	v_mov_b32_e32 v117, 0
	s_andn2_b32 s12, s12, exec_lo
	s_and_b32 s40, s40, exec_lo
	s_or_b32 s12, s12, s40
	s_or_b32 exec_lo, exec_lo, s29
	v_lshl_or_b32 v40, v40, 16, v45
	s_and_saveexec_b32 s29, s12
	s_cbranch_execnz .LBB4_3839
	s_branch .LBB4_3840
.LBB4_4186:                             ;   in Loop: Header=BB4_2938 Depth=2
	s_or_saveexec_b32 s29, s29
	v_mov_b32_e32 v45, 0x7f800001
	s_xor_b32 exec_lo, exec_lo, s29
	s_cbranch_execz .LBB4_3844
.LBB4_4187:                             ;   in Loop: Header=BB4_2938 Depth=2
	v_cmp_ne_u16_e32 vcc_lo, 0, v58
	v_mov_b32_e32 v45, 0
	s_andn2_b32 s12, s12, exec_lo
	s_and_b32 s40, vcc_lo, exec_lo
	s_or_b32 s12, s12, s40
	s_or_b32 exec_lo, exec_lo, s29
	s_and_saveexec_b32 s29, s12
	s_cbranch_execnz .LBB4_3845
	s_branch .LBB4_3846
.LBB4_4188:                             ;   in Loop: Header=BB4_2938 Depth=2
	s_or_saveexec_b32 s29, s29
	v_mov_b32_e32 v45, 0x7f800001
	s_xor_b32 exec_lo, exec_lo, s29
	s_cbranch_execz .LBB4_3858
.LBB4_4189:                             ;   in Loop: Header=BB4_2938 Depth=2
	v_cmp_ne_u16_sdwa s40, v40, v35 src0_sel:BYTE_3 src1_sel:DWORD
	v_mov_b32_e32 v45, 0
	s_andn2_b32 s12, s12, exec_lo
	s_and_b32 s40, s40, exec_lo
	s_or_b32 s12, s12, s40
	s_or_b32 exec_lo, exec_lo, s29
	s_and_saveexec_b32 s29, s12
	s_cbranch_execnz .LBB4_3859
	s_branch .LBB4_3860
.LBB4_4190:                             ;   in Loop: Header=BB4_2938 Depth=2
	s_or_saveexec_b32 s29, s29
	v_mov_b32_e32 v40, 0x7f800001
	s_xor_b32 exec_lo, exec_lo, s29
	s_cbranch_execz .LBB4_3864
.LBB4_4191:                             ;   in Loop: Header=BB4_2938 Depth=2
	v_cmp_ne_u16_sdwa s40, v11, v35 src0_sel:BYTE_3 src1_sel:DWORD
	v_mov_b32_e32 v40, 0
	s_andn2_b32 s12, s12, exec_lo
	s_and_b32 s40, s40, exec_lo
	s_or_b32 s12, s12, s40
	s_or_b32 exec_lo, exec_lo, s29
	s_and_saveexec_b32 s29, s12
	s_cbranch_execnz .LBB4_3865
	s_branch .LBB4_3866
.LBB4_4192:                             ;   in Loop: Header=BB4_2938 Depth=2
	s_or_saveexec_b32 s29, s29
	v_mov_b32_e32 v114, 0x7f800001
	s_xor_b32 exec_lo, exec_lo, s29
	s_cbranch_execz .LBB4_3878
.LBB4_4193:                             ;   in Loop: Header=BB4_2938 Depth=2
	v_cmp_ne_u16_sdwa s40, v40, v35 src0_sel:BYTE_0 src1_sel:DWORD
	v_mov_b32_e32 v114, 0
	s_andn2_b32 s12, s12, exec_lo
	s_and_b32 s40, s40, exec_lo
	s_or_b32 s12, s12, s40
	s_or_b32 exec_lo, exec_lo, s29
	s_and_saveexec_b32 s29, s12
	s_cbranch_execnz .LBB4_3879
	s_branch .LBB4_3880
.LBB4_4194:                             ;   in Loop: Header=BB4_2938 Depth=2
	s_or_saveexec_b32 s29, s29
	v_mov_b32_e32 v118, 0x7f800001
	s_xor_b32 exec_lo, exec_lo, s29
	s_cbranch_execz .LBB4_3884
.LBB4_4195:                             ;   in Loop: Header=BB4_2938 Depth=2
	v_cmp_ne_u16_sdwa s40, v12, v35 src0_sel:BYTE_0 src1_sel:DWORD
	v_mov_b32_e32 v118, 0
	s_andn2_b32 s12, s12, exec_lo
	s_and_b32 s40, s40, exec_lo
	s_or_b32 s12, s12, s40
	s_or_b32 exec_lo, exec_lo, s29
	s_and_saveexec_b32 s29, s12
	s_cbranch_execnz .LBB4_3885
	s_branch .LBB4_3886
.LBB4_4196:                             ;   in Loop: Header=BB4_2938 Depth=2
	s_or_saveexec_b32 s29, s29
	v_mov_b32_e32 v118, 0x7f800001
	s_xor_b32 exec_lo, exec_lo, s29
	s_cbranch_execz .LBB4_3898
.LBB4_4197:                             ;   in Loop: Header=BB4_2938 Depth=2
	v_cmp_ne_u16_sdwa s40, v40, v35 src0_sel:BYTE_1 src1_sel:DWORD
	v_mov_b32_e32 v118, 0
	s_andn2_b32 s12, s12, exec_lo
	s_and_b32 s40, s40, exec_lo
	s_or_b32 s12, s12, s40
	s_or_b32 exec_lo, exec_lo, s29
	s_and_saveexec_b32 s29, s12
	s_cbranch_execnz .LBB4_3899
	s_branch .LBB4_3900
.LBB4_4198:                             ;   in Loop: Header=BB4_2938 Depth=2
	s_or_saveexec_b32 s29, s29
	v_mov_b32_e32 v45, 0x7f800001
	s_xor_b32 exec_lo, exec_lo, s29
	s_cbranch_execz .LBB4_3904
.LBB4_4199:                             ;   in Loop: Header=BB4_2938 Depth=2
	v_cmp_ne_u16_sdwa s40, v12, v35 src0_sel:BYTE_1 src1_sel:DWORD
	v_mov_b32_e32 v45, 0
	s_andn2_b32 s12, s12, exec_lo
	s_and_b32 s40, s40, exec_lo
	s_or_b32 s12, s12, s40
	s_or_b32 exec_lo, exec_lo, s29
	s_and_saveexec_b32 s29, s12
	s_cbranch_execnz .LBB4_3905
	s_branch .LBB4_3906
.LBB4_4200:                             ;   in Loop: Header=BB4_2938 Depth=2
	s_or_saveexec_b32 s29, s29
	v_mov_b32_e32 v112, 0x7f800001
	s_xor_b32 exec_lo, exec_lo, s29
	s_cbranch_execz .LBB4_3918
.LBB4_4201:                             ;   in Loop: Header=BB4_2938 Depth=2
	v_cmp_ne_u16_sdwa s40, v116, v35 src0_sel:BYTE_0 src1_sel:DWORD
	v_mov_b32_e32 v112, 0
	s_andn2_b32 s12, s12, exec_lo
	s_and_b32 s40, s40, exec_lo
	s_or_b32 s12, s12, s40
	s_or_b32 exec_lo, exec_lo, s29
	v_lshl_or_b32 v116, v116, 16, v40
	s_and_saveexec_b32 s29, s12
	s_cbranch_execnz .LBB4_3919
	s_branch .LBB4_3920
.LBB4_4202:                             ;   in Loop: Header=BB4_2938 Depth=2
	s_or_saveexec_b32 s29, s29
	v_mov_b32_e32 v40, 0x7f800001
	s_xor_b32 exec_lo, exec_lo, s29
	s_cbranch_execz .LBB4_3924
.LBB4_4203:                             ;   in Loop: Header=BB4_2938 Depth=2
	v_cmp_ne_u16_e32 vcc_lo, 0, v45
	v_mov_b32_e32 v40, 0
	s_andn2_b32 s12, s12, exec_lo
	s_and_b32 s40, vcc_lo, exec_lo
	s_or_b32 s12, s12, s40
	s_or_b32 exec_lo, exec_lo, s29
	s_and_saveexec_b32 s29, s12
	s_cbranch_execnz .LBB4_3925
	s_branch .LBB4_3926
.LBB4_4204:                             ;   in Loop: Header=BB4_2938 Depth=2
	s_or_saveexec_b32 s29, s29
	v_mov_b32_e32 v40, 0x7f800001
	s_xor_b32 exec_lo, exec_lo, s29
	s_cbranch_execz .LBB4_3938
.LBB4_4205:                             ;   in Loop: Header=BB4_2938 Depth=2
	v_cmp_ne_u16_sdwa s40, v116, v35 src0_sel:BYTE_3 src1_sel:DWORD
	v_mov_b32_e32 v40, 0
	s_andn2_b32 s12, s12, exec_lo
	s_and_b32 s40, s40, exec_lo
	s_or_b32 s12, s12, s40
	s_or_b32 exec_lo, exec_lo, s29
	s_and_saveexec_b32 s29, s12
	s_cbranch_execnz .LBB4_3939
	s_branch .LBB4_3940
.LBB4_4206:                             ;   in Loop: Header=BB4_2938 Depth=2
	s_or_saveexec_b32 s29, s29
	v_mov_b32_e32 v116, 0x7f800001
	s_xor_b32 exec_lo, exec_lo, s29
	s_cbranch_execz .LBB4_3944
.LBB4_4207:                             ;   in Loop: Header=BB4_2938 Depth=2
	v_cmp_ne_u16_sdwa s40, v12, v35 src0_sel:BYTE_3 src1_sel:DWORD
	v_mov_b32_e32 v116, 0
	s_andn2_b32 s12, s12, exec_lo
	s_and_b32 s40, s40, exec_lo
	s_or_b32 s12, s12, s40
	s_or_b32 exec_lo, exec_lo, s29
	s_and_saveexec_b32 s29, s12
	s_cbranch_execnz .LBB4_3945
	s_branch .LBB4_3946
.LBB4_4208:                             ;   in Loop: Header=BB4_2938 Depth=2
	s_or_saveexec_b32 s29, s29
	v_mov_b32_e32 v101, 0x7f800001
	s_xor_b32 exec_lo, exec_lo, s29
	s_cbranch_execz .LBB4_3958
.LBB4_4209:                             ;   in Loop: Header=BB4_2938 Depth=2
	v_cmp_ne_u16_sdwa s40, v113, v35 src0_sel:BYTE_0 src1_sel:DWORD
	v_mov_b32_e32 v101, 0
	s_andn2_b32 s12, s12, exec_lo
	s_and_b32 s40, s40, exec_lo
	s_or_b32 s12, s12, s40
	s_or_b32 exec_lo, exec_lo, s29
	s_and_saveexec_b32 s29, s12
	s_cbranch_execnz .LBB4_3959
	s_branch .LBB4_3960
.LBB4_4210:                             ;   in Loop: Header=BB4_2938 Depth=2
	s_or_saveexec_b32 s29, s29
	v_mov_b32_e32 v116, 0x7f800001
	s_xor_b32 exec_lo, exec_lo, s29
	s_cbranch_execz .LBB4_3964
.LBB4_4211:                             ;   in Loop: Header=BB4_2938 Depth=2
	v_cmp_ne_u16_sdwa s40, v13, v35 src0_sel:BYTE_0 src1_sel:DWORD
	v_mov_b32_e32 v116, 0
	s_andn2_b32 s12, s12, exec_lo
	s_and_b32 s40, s40, exec_lo
	s_or_b32 s12, s12, s40
	s_or_b32 exec_lo, exec_lo, s29
	s_and_saveexec_b32 s29, s12
	s_cbranch_execnz .LBB4_3965
	s_branch .LBB4_3966
.LBB4_4212:                             ;   in Loop: Header=BB4_2938 Depth=2
	s_or_saveexec_b32 s29, s29
	v_mov_b32_e32 v116, 0x7f800001
	s_xor_b32 exec_lo, exec_lo, s29
	s_cbranch_execz .LBB4_3978
.LBB4_4213:                             ;   in Loop: Header=BB4_2938 Depth=2
	v_cmp_ne_u16_sdwa s40, v113, v35 src0_sel:BYTE_1 src1_sel:DWORD
	v_mov_b32_e32 v116, 0
	s_andn2_b32 s12, s12, exec_lo
	s_and_b32 s40, s40, exec_lo
	s_or_b32 s12, s12, s40
	s_or_b32 exec_lo, exec_lo, s29
	s_and_saveexec_b32 s29, s12
	s_cbranch_execnz .LBB4_3979
	s_branch .LBB4_3980
.LBB4_4214:                             ;   in Loop: Header=BB4_2938 Depth=2
	s_or_saveexec_b32 s29, s29
	v_mov_b32_e32 v40, 0x7f800001
	s_xor_b32 exec_lo, exec_lo, s29
	s_cbranch_execz .LBB4_3984
.LBB4_4215:                             ;   in Loop: Header=BB4_2938 Depth=2
	v_cmp_ne_u16_sdwa s40, v13, v35 src0_sel:BYTE_1 src1_sel:DWORD
	v_mov_b32_e32 v40, 0
	s_andn2_b32 s12, s12, exec_lo
	s_and_b32 s40, s40, exec_lo
	s_or_b32 s12, s12, s40
	s_or_b32 exec_lo, exec_lo, s29
	s_and_saveexec_b32 s29, s12
	s_cbranch_execnz .LBB4_3985
	s_branch .LBB4_3986
.LBB4_4216:                             ;   in Loop: Header=BB4_2938 Depth=2
	s_or_saveexec_b32 s29, s29
	v_mov_b32_e32 v100, 0x7f800001
	s_xor_b32 exec_lo, exec_lo, s29
	s_cbranch_execz .LBB4_3998
.LBB4_4217:                             ;   in Loop: Header=BB4_2938 Depth=2
	v_cmp_ne_u16_sdwa s40, v102, v35 src0_sel:BYTE_0 src1_sel:DWORD
	v_mov_b32_e32 v100, 0
	s_andn2_b32 s12, s12, exec_lo
	s_and_b32 s40, s40, exec_lo
	s_or_b32 s12, s12, s40
	s_or_b32 exec_lo, exec_lo, s29
	v_lshl_or_b32 v102, v102, 16, v113
	s_and_saveexec_b32 s29, s12
	s_cbranch_execnz .LBB4_3999
	s_branch .LBB4_4000
.LBB4_4218:                             ;   in Loop: Header=BB4_2938 Depth=2
	s_or_saveexec_b32 s29, s29
	v_mov_b32_e32 v113, 0x7f800001
	s_xor_b32 exec_lo, exec_lo, s29
	s_cbranch_execz .LBB4_4004
.LBB4_4219:                             ;   in Loop: Header=BB4_2938 Depth=2
	v_cmp_ne_u16_e32 vcc_lo, 0, v40
	v_mov_b32_e32 v113, 0
	s_andn2_b32 s12, s12, exec_lo
	s_and_b32 s40, vcc_lo, exec_lo
	s_or_b32 s12, s12, s40
	s_or_b32 exec_lo, exec_lo, s29
	s_and_saveexec_b32 s29, s12
	s_cbranch_execnz .LBB4_4005
	s_branch .LBB4_4006
.LBB4_4220:                             ;   in Loop: Header=BB4_2938 Depth=2
	s_or_saveexec_b32 s29, s29
	v_mov_b32_e32 v113, 0x7f800001
	s_xor_b32 exec_lo, exec_lo, s29
	s_cbranch_execz .LBB4_4018
.LBB4_4221:                             ;   in Loop: Header=BB4_2938 Depth=2
	v_cmp_ne_u16_sdwa s40, v102, v35 src0_sel:BYTE_3 src1_sel:DWORD
	v_mov_b32_e32 v113, 0
	s_andn2_b32 s12, s12, exec_lo
	s_and_b32 s40, s40, exec_lo
	s_or_b32 s12, s12, s40
	s_or_b32 exec_lo, exec_lo, s29
	s_and_saveexec_b32 s29, s12
	s_cbranch_execnz .LBB4_4019
	s_branch .LBB4_4020
.LBB4_4222:                             ;   in Loop: Header=BB4_2938 Depth=2
	s_or_saveexec_b32 s29, s29
	v_mov_b32_e32 v102, 0x7f800001
	s_xor_b32 exec_lo, exec_lo, s29
	s_cbranch_execz .LBB4_4024
.LBB4_4223:                             ;   in Loop: Header=BB4_2938 Depth=2
	v_cmp_ne_u16_sdwa s40, v13, v35 src0_sel:BYTE_3 src1_sel:DWORD
	v_mov_b32_e32 v102, 0
	s_andn2_b32 s12, s12, exec_lo
	s_and_b32 s40, s40, exec_lo
	s_or_b32 s12, s12, s40
	s_or_b32 exec_lo, exec_lo, s29
	s_and_saveexec_b32 s29, s12
	s_cbranch_execnz .LBB4_4025
	s_branch .LBB4_4026
.LBB4_4224:                             ;   in Loop: Header=BB4_2861 Depth=1
	s_or_b32 exec_lo, exec_lo, s25
.LBB4_4225:                             ;   in Loop: Header=BB4_2861 Depth=1
	s_or_b32 exec_lo, exec_lo, s13
	v_and_b32_e32 v10, 0x3ffffc00, v34
	v_mov_b32_e32 v52, 0
	s_mov_b32 s12, 0
	s_mov_b32 s25, exec_lo
                                        ; implicit-def: $vgpr53
                                        ; implicit-def: $vgpr54
	v_cmpx_ne_u32_e64 v34, v10
	s_cbranch_execz .LBB4_4879
; %bb.4226:                             ;   in Loop: Header=BB4_2861 Depth=1
	v_lshlrev_b32_e32 v11, 5, v98
	v_and_b32_e32 v55, 0x1ff, v34
	v_bfe_u32 v14, v34, 9, 1
	s_mov_b32 s26, exec_lo
	v_sub_nc_u32_e32 v11, v67, v11
	v_cmp_lt_u32_e64 s12, 15, v55
	v_ashrrev_i32_e32 v12, 31, v11
	v_add_co_ci_u32_e64 v14, null, 0, v14, s12
	v_lshrrev_b32_e32 v12, 27, v12
	v_add_nc_u32_e32 v12, v11, v12
	v_and_b32_e32 v13, 0xffffffe0, v12
	v_ashrrev_i32_e32 v12, 5, v12
	v_sub_nc_u32_e32 v54, v11, v13
	v_and_b32_e32 v13, 0x3ff, v34
	v_sub_nc_u32_e32 v64, v14, v12
	v_lshlrev_b32_e32 v11, 4, v54
	v_lshl_add_u32 v11, v12, 9, v11
	v_sub_nc_u32_e32 v65, v13, v11
	v_cmpx_lt_i32_e32 15, v65
	s_cbranch_execz .LBB4_4878
; %bb.4227:                             ;   in Loop: Header=BB4_2861 Depth=1
	s_trap 2
	ds_read_b64 v[12:13], v0
	v_add_nc_u32_e32 v10, v11, v10
	v_ashrrev_i32_e32 v11, 31, v10
	v_add_co_u32 v14, vcc_lo, v10, v48
	v_add_co_ci_u32_e64 v15, null, v11, v49, vcc_lo
	v_add_co_u32 v16, vcc_lo, v10, v50
	v_add_co_ci_u32_e64 v17, null, v11, v51, vcc_lo
	s_waitcnt lgkmcnt(0)
	v_readfirstlane_b32 s13, v12
	v_add_co_u32 v52, vcc_lo, v12, v10
	v_add_co_ci_u32_e64 v53, null, v13, v11, vcc_lo
	s_and_b32 s27, s13, 7
	s_bfe_u32 s40, s13, 0x40003
	s_flbit_i32_b32 s28, s27
	s_min_u32 s28, s28, 32
	s_sub_i32 s29, s28, 28
	s_sub_i32 s28, 29, s28
	s_lshl_b32 s29, s13, s29
	s_and_b32 s29, s29, 7
	s_cmp_eq_u32 s40, 0
	s_cselect_b32 s28, s28, s40
	s_cselect_b32 s27, s29, s27
	s_lshl_b32 s29, s13, 24
	s_lshl_b32 s28, s28, 23
	s_and_b32 s29, s29, 0x80000000
	s_add_i32 s28, s28, 0x3b800000
	s_lshl_b32 s40, s27, 20
	s_or_b32 s28, s29, s28
	s_mov_b32 s27, 0
	s_or_b32 s28, s28, s40
	s_and_b32 s29, s13, 0xff
	s_branch .LBB4_4231
.LBB4_4228:                             ;   in Loop: Header=BB4_4231 Depth=2
	s_or_b32 exec_lo, exec_lo, s13
	v_lshrrev_b32_e32 v112, 20, v112
	v_min_i32_e32 v119, 15, v102
	v_cmp_gt_i32_e32 vcc_lo, 16, v102
	v_and_b32_sdwa v13, v13, v85 dst_sel:DWORD dst_unused:UNUSED_PAD src0_sel:BYTE_3 src1_sel:DWORD
	v_lshlrev_b32_e32 v119, 3, v119
	v_cndmask_b32_e32 v112, 7, v112, vcc_lo
	v_and_b32_e32 v119, 0xf8, v119
	v_and_b32_e32 v41, 7, v112
	v_or_b32_e32 v102, v102, v112
	v_or3_b32 v13, v13, v119, v41
	v_cmp_ne_u32_e32 vcc_lo, 0, v102
	v_lshlrev_b32_e32 v13, 8, v13
	v_cndmask_b32_e32 v102, 0, v13, vcc_lo
.LBB4_4229:                             ;   in Loop: Header=BB4_4231 Depth=2
	s_or_b32 exec_lo, exec_lo, s41
.LBB4_4230:                             ;   in Loop: Header=BB4_4231 Depth=2
	s_or_b32 exec_lo, exec_lo, s40
	v_or_b32_sdwa v11, v11, v116 dst_sel:WORD_1 dst_unused:UNUSED_PAD src0_sel:DWORD src1_sel:DWORD
	v_or_b32_sdwa v10, v10, v114 dst_sel:WORD_1 dst_unused:UNUSED_PAD src0_sel:DWORD src1_sel:DWORD
	;; [unrolled: 1-line block ×4, first 2 shown]
	v_sub_nc_u32_e32 v65, v65, v81
	v_or3_b32 v11, v40, v118, v11
	v_or3_b32 v10, v101, v98, v10
	;; [unrolled: 1-line block ×4, first 2 shown]
	v_add_co_u32 v14, vcc_lo, v14, v81
	v_add_co_ci_u32_e64 v15, null, 0, v15, vcc_lo
	v_add_co_u32 v52, vcc_lo, v52, v81
	global_store_dwordx4 v[16:17], v[10:13], off glc slc
	v_add_co_ci_u32_e64 v53, null, 0, v53, vcc_lo
	v_cmp_gt_i32_e32 vcc_lo, 16, v65
	v_add_co_u32 v16, s13, v16, v81
	v_add_co_ci_u32_e64 v17, null, 0, v17, s13
	v_sub_nc_u32_e32 v64, v64, v70
	s_or_b32 s27, vcc_lo, s27
	s_andn2_b32 exec_lo, exec_lo, s27
	s_cbranch_execz .LBB4_4877
.LBB4_4231:                             ;   Parent Loop BB4_2861 Depth=1
                                        ; =>  This Inner Loop Header: Depth=2
	s_cmpk_lt_i32 s29, 0x80
	s_cbranch_scc1 .LBB4_4235
; %bb.4232:                             ;   in Loop: Header=BB4_4231 Depth=2
	s_and_b32 s13, 0xffff, s29
	s_cmpk_eq_i32 s13, 0x80
	s_mov_b32 s13, -1
	s_cbranch_scc0 .LBB4_4234
; %bb.4233:                             ;   in Loop: Header=BB4_4231 Depth=2
	s_mov_b32 s13, 0
.LBB4_4234:                             ;   in Loop: Header=BB4_4231 Depth=2
	s_mov_b32 s40, 0x7f800001
	s_branch .LBB4_4237
.LBB4_4235:                             ;   in Loop: Header=BB4_4231 Depth=2
	s_mov_b32 s13, 0
	s_mov_b32 s40, 0x7f800001
	s_cbranch_execz .LBB4_4237
; %bb.4236:                             ;   in Loop: Header=BB4_4231 Depth=2
	s_and_b32 s13, 0xffff, s29
	s_mov_b32 s40, 0
	s_cmp_lg_u32 s13, 0
	s_cselect_b32 s13, -1, 0
.LBB4_4237:                             ;   in Loop: Header=BB4_4231 Depth=2
	s_andn2_b32 vcc_lo, exec_lo, s13
	s_cbranch_vccnz .LBB4_4239
; %bb.4238:                             ;   in Loop: Header=BB4_4231 Depth=2
	s_mov_b32 s40, s28
.LBB4_4239:                             ;   in Loop: Header=BB4_4231 Depth=2
	global_load_dwordx4 v[10:13], v[14:15], off slc
	s_mov_b32 s13, 0
	s_waitcnt vmcnt(0)
	v_cmp_gt_i16_sdwa s41, v10, v84 src0_sel:BYTE_0 src1_sel:DWORD
	s_and_saveexec_b32 s42, s41
	s_xor_b32 s41, exec_lo, s42
	s_cbranch_execz .LBB4_4781
; %bb.4240:                             ;   in Loop: Header=BB4_4231 Depth=2
	v_cmp_eq_u16_sdwa s43, v10, v85 src0_sel:BYTE_0 src1_sel:DWORD
	s_mov_b32 s13, -1
	s_and_saveexec_b32 s42, s43
; %bb.4241:                             ;   in Loop: Header=BB4_4231 Depth=2
	s_xor_b32 s13, exec_lo, -1
; %bb.4242:                             ;   in Loop: Header=BB4_4231 Depth=2
	s_or_b32 exec_lo, exec_lo, s42
	s_and_b32 s13, s13, exec_lo
	s_or_saveexec_b32 s41, s41
	v_mov_b32_e32 v98, 0x7f800001
	s_xor_b32 exec_lo, exec_lo, s41
	s_cbranch_execnz .LBB4_4782
.LBB4_4243:                             ;   in Loop: Header=BB4_4231 Depth=2
	s_or_b32 exec_lo, exec_lo, s41
	s_and_saveexec_b32 s41, s13
	s_cbranch_execz .LBB4_4245
.LBB4_4244:                             ;   in Loop: Header=BB4_4231 Depth=2
	v_and_b32_e32 v98, 7, v10
	v_bfe_u32 v101, v10, 3, 4
	v_lshlrev_b32_e32 v102, 24, v10
	v_ffbh_u32_e32 v99, v98
	v_cmp_eq_u32_e32 vcc_lo, 0, v101
	v_min_u32_e32 v99, 32, v99
	v_subrev_nc_u32_e32 v100, 28, v99
	v_sub_nc_u32_e32 v99, 29, v99
	v_lshlrev_b32_e32 v100, v100, v10
	v_cndmask_b32_e32 v99, v101, v99, vcc_lo
	v_and_b32_e32 v100, 7, v100
	v_lshl_add_u32 v99, v99, 23, 0x3b800000
	v_cndmask_b32_e32 v98, v98, v100, vcc_lo
	v_and_b32_e32 v100, 0x80000000, v102
	v_lshlrev_b32_e32 v98, 20, v98
	v_or3_b32 v98, v100, v99, v98
.LBB4_4245:                             ;   in Loop: Header=BB4_4231 Depth=2
	s_or_b32 exec_lo, exec_lo, s41
	v_mul_f32_e32 v99, s40, v98
	v_and_b32_e32 v98, 0x7f800000, v99
	v_cmp_ne_u32_e32 vcc_lo, 0x7f800000, v98
	v_mov_b32_e32 v98, 0x80
	s_and_saveexec_b32 s41, vcc_lo
	s_cbranch_execz .LBB4_4253
; %bb.4246:                             ;   in Loop: Header=BB4_4231 Depth=2
	v_mov_b32_e32 v98, 0
	s_mov_b32 s42, exec_lo
	v_cmpx_ne_u32_e32 0, v99
	s_cbranch_execz .LBB4_4252
; %bb.4247:                             ;   in Loop: Header=BB4_4231 Depth=2
	v_bfe_u32 v98, v99, 23, 8
	v_and_b32_e32 v100, 0x7fffff, v99
	v_sub_nc_u32_e32 v101, 0x78, v98
	v_cmp_gt_u32_e32 vcc_lo, 0x79, v98
	v_or_b32_e32 v102, 0x800000, v100
	v_cndmask_b32_e32 v101, 0, v101, vcc_lo
	v_cmp_eq_u32_e32 vcc_lo, 0, v98
	v_add_nc_u32_e32 v98, 0xffffff89, v98
	v_cndmask_b32_e64 v101, v101, 0x77, vcc_lo
	v_cndmask_b32_e32 v100, v102, v100, vcc_lo
	v_cndmask_b32_e64 v98, v98, 0xffffff8a, vcc_lo
	v_lshl_add_u32 v102, 0x100000, v101, -1
	v_lshrrev_b32_e32 v103, v101, v100
	v_lshlrev_b32_e64 v113, v101, 0x80000
	v_add_nc_u32_e32 v101, v101, v98
	v_and_b32_e32 v100, v102, v100
	v_bfe_u32 v112, v103, 20, 1
	v_cmp_eq_u32_e64 s13, v100, v113
	v_add_nc_u32_e32 v102, -1, v112
	v_cndmask_b32_e64 v100, 0, v102, s13
	v_lshrrev_b32_e32 v102, 23, v103
	s_mov_b32 s13, exec_lo
	v_add_nc_u32_e32 v100, v100, v103
	v_xor_b32_e32 v102, 1, v102
	v_and_b32_e32 v98, 0xfffff, v100
	v_add_nc_u32_e32 v100, v98, v103
                                        ; implicit-def: $vgpr98
	v_cmpx_ne_u32_e64 v101, v102
	s_xor_b32 s13, exec_lo, s13
; %bb.4248:                             ;   in Loop: Header=BB4_4231 Depth=2
	v_cmp_lt_u32_e32 vcc_lo, 0xffffff, v100
	v_sub_nc_u32_e32 v98, v101, v102
	v_cndmask_b32_e64 v101, 0, 1, vcc_lo
	v_add_co_ci_u32_e64 v98, null, 0, v98, vcc_lo
	v_lshrrev_b32_e32 v100, v101, v100
; %bb.4249:                             ;   in Loop: Header=BB4_4231 Depth=2
	s_andn2_saveexec_b32 s13, s13
; %bb.4250:                             ;   in Loop: Header=BB4_4231 Depth=2
	v_bfe_u32 v98, v100, 23, 1
; %bb.4251:                             ;   in Loop: Header=BB4_4231 Depth=2
	s_or_b32 exec_lo, exec_lo, s13
	v_lshrrev_b32_e32 v100, 20, v100
	v_min_i32_e32 v101, 15, v98
	v_cmp_gt_i32_e32 vcc_lo, 16, v98
	v_and_b32_sdwa v99, v99, v85 dst_sel:DWORD dst_unused:UNUSED_PAD src0_sel:BYTE_3 src1_sel:DWORD
	v_lshlrev_b32_e32 v101, 3, v101
	v_cndmask_b32_e32 v100, 7, v100, vcc_lo
	v_and_b32_e32 v101, 0xf8, v101
	v_and_b32_e32 v102, 7, v100
	v_or_b32_e32 v98, v98, v100
	v_or3_b32 v99, v101, v99, v102
	v_cmp_ne_u32_e32 vcc_lo, 0, v98
	v_cndmask_b32_e32 v98, 0, v99, vcc_lo
.LBB4_4252:                             ;   in Loop: Header=BB4_4231 Depth=2
	s_or_b32 exec_lo, exec_lo, s42
.LBB4_4253:                             ;   in Loop: Header=BB4_4231 Depth=2
	s_or_b32 exec_lo, exec_lo, s41
	v_cmp_gt_i16_sdwa s41, v10, v84 src0_sel:BYTE_1 src1_sel:DWORD
	s_mov_b32 s13, 0
	s_and_saveexec_b32 s42, s41
	s_xor_b32 s41, exec_lo, s42
	s_cbranch_execz .LBB4_4783
; %bb.4254:                             ;   in Loop: Header=BB4_4231 Depth=2
	v_cmp_eq_u16_sdwa s43, v10, v85 src0_sel:BYTE_1 src1_sel:DWORD
	s_mov_b32 s13, -1
	s_and_saveexec_b32 s42, s43
; %bb.4255:                             ;   in Loop: Header=BB4_4231 Depth=2
	s_xor_b32 s13, exec_lo, -1
; %bb.4256:                             ;   in Loop: Header=BB4_4231 Depth=2
	s_or_b32 exec_lo, exec_lo, s42
	s_and_b32 s13, s13, exec_lo
	s_or_saveexec_b32 s41, s41
	v_mov_b32_e32 v99, 0x7f800001
	s_xor_b32 exec_lo, exec_lo, s41
	s_cbranch_execnz .LBB4_4784
.LBB4_4257:                             ;   in Loop: Header=BB4_4231 Depth=2
	s_or_b32 exec_lo, exec_lo, s41
	s_and_saveexec_b32 s41, s13
	s_cbranch_execz .LBB4_4259
.LBB4_4258:                             ;   in Loop: Header=BB4_4231 Depth=2
	v_and_b32_sdwa v99, v86, v10 dst_sel:DWORD dst_unused:UNUSED_PAD src0_sel:DWORD src1_sel:BYTE_1
	v_and_b32_e32 v100, 7, v99
	v_bfe_u32 v103, v99, 3, 4
	v_ffbh_u32_e32 v101, v100
	v_cmp_eq_u32_e32 vcc_lo, 0, v103
	v_min_u32_e32 v101, 32, v101
	v_subrev_nc_u32_e32 v102, 28, v101
	v_sub_nc_u32_e32 v101, 29, v101
	v_lshlrev_b32_e32 v99, v102, v99
	v_lshlrev_b32_sdwa v102, v87, v10 dst_sel:DWORD dst_unused:UNUSED_PAD src0_sel:DWORD src1_sel:BYTE_1
	v_cndmask_b32_e32 v101, v103, v101, vcc_lo
	v_and_b32_e32 v99, 7, v99
	v_lshl_add_u32 v101, v101, 23, 0x3b800000
	v_cndmask_b32_e32 v99, v100, v99, vcc_lo
	v_and_b32_e32 v100, 0x80000000, v102
	v_lshlrev_b32_e32 v99, 20, v99
	v_or3_b32 v99, v100, v101, v99
.LBB4_4259:                             ;   in Loop: Header=BB4_4231 Depth=2
	s_or_b32 exec_lo, exec_lo, s41
	v_mul_f32_e32 v99, s40, v99
	v_mov_b32_e32 v101, 0x8000
	s_mov_b32 s41, exec_lo
	v_and_b32_e32 v100, 0x7f800000, v99
	v_cmpx_ne_u32_e32 0x7f800000, v100
	s_cbranch_execz .LBB4_4267
; %bb.4260:                             ;   in Loop: Header=BB4_4231 Depth=2
	v_mov_b32_e32 v101, 0
	s_mov_b32 s42, exec_lo
	v_cmpx_ne_u32_e32 0, v99
	s_cbranch_execz .LBB4_4266
; %bb.4261:                             ;   in Loop: Header=BB4_4231 Depth=2
	v_bfe_u32 v100, v99, 23, 8
	v_and_b32_e32 v101, 0x7fffff, v99
	v_sub_nc_u32_e32 v102, 0x78, v100
	v_cmp_gt_u32_e32 vcc_lo, 0x79, v100
	v_or_b32_e32 v103, 0x800000, v101
	v_cndmask_b32_e32 v102, 0, v102, vcc_lo
	v_cmp_eq_u32_e32 vcc_lo, 0, v100
	v_add_nc_u32_e32 v100, 0xffffff89, v100
	v_cndmask_b32_e64 v102, v102, 0x77, vcc_lo
	v_cndmask_b32_e32 v101, v103, v101, vcc_lo
	v_cndmask_b32_e64 v100, v100, 0xffffff8a, vcc_lo
	v_lshl_add_u32 v103, 0x100000, v102, -1
	v_lshrrev_b32_e32 v112, v102, v101
	v_lshlrev_b32_e64 v114, v102, 0x80000
	v_add_nc_u32_e32 v102, v102, v100
	v_and_b32_e32 v101, v103, v101
	v_bfe_u32 v113, v112, 20, 1
	v_cmp_eq_u32_e64 s13, v101, v114
	v_add_nc_u32_e32 v103, -1, v113
	v_cndmask_b32_e64 v101, 0, v103, s13
	v_lshrrev_b32_e32 v103, 23, v112
	s_mov_b32 s13, exec_lo
	v_add_nc_u32_e32 v101, v101, v112
	v_xor_b32_e32 v103, 1, v103
	v_and_b32_e32 v100, 0xfffff, v101
	v_add_nc_u32_e32 v101, v100, v112
                                        ; implicit-def: $vgpr100
	v_cmpx_ne_u32_e64 v102, v103
	s_xor_b32 s13, exec_lo, s13
; %bb.4262:                             ;   in Loop: Header=BB4_4231 Depth=2
	v_cmp_lt_u32_e32 vcc_lo, 0xffffff, v101
	v_sub_nc_u32_e32 v100, v102, v103
	v_cndmask_b32_e64 v102, 0, 1, vcc_lo
	v_add_co_ci_u32_e64 v100, null, 0, v100, vcc_lo
	v_lshrrev_b32_e32 v101, v102, v101
; %bb.4263:                             ;   in Loop: Header=BB4_4231 Depth=2
	s_andn2_saveexec_b32 s13, s13
; %bb.4264:                             ;   in Loop: Header=BB4_4231 Depth=2
	v_bfe_u32 v100, v101, 23, 1
; %bb.4265:                             ;   in Loop: Header=BB4_4231 Depth=2
	s_or_b32 exec_lo, exec_lo, s13
	v_lshrrev_b32_e32 v101, 20, v101
	v_min_i32_e32 v102, 15, v100
	v_cmp_gt_i32_e32 vcc_lo, 16, v100
	v_and_b32_sdwa v99, v99, v85 dst_sel:DWORD dst_unused:UNUSED_PAD src0_sel:BYTE_3 src1_sel:DWORD
	v_lshlrev_b32_e32 v102, 3, v102
	v_cndmask_b32_e32 v101, 7, v101, vcc_lo
	v_and_b32_e32 v102, 0xf8, v102
	v_and_b32_e32 v103, 7, v101
	v_or_b32_e32 v100, v100, v101
	v_or3_b32 v99, v99, v102, v103
	v_cmp_ne_u32_e32 vcc_lo, 0, v100
	v_lshlrev_b32_e32 v99, 8, v99
	v_cndmask_b32_e32 v101, 0, v99, vcc_lo
.LBB4_4266:                             ;   in Loop: Header=BB4_4231 Depth=2
	s_or_b32 exec_lo, exec_lo, s42
.LBB4_4267:                             ;   in Loop: Header=BB4_4231 Depth=2
	s_or_b32 exec_lo, exec_lo, s41
	v_and_b32_sdwa v100, v10, v96 dst_sel:DWORD dst_unused:UNUSED_PAD src0_sel:WORD_1 src1_sel:DWORD
	s_mov_b32 s13, 0
	s_mov_b32 s41, exec_lo
	v_cmpx_lt_i16_e32 0x7f, v100
	s_xor_b32 s41, exec_lo, s41
	s_cbranch_execz .LBB4_4785
; %bb.4268:                             ;   in Loop: Header=BB4_4231 Depth=2
	s_mov_b32 s13, -1
	s_mov_b32 s42, exec_lo
	v_cmpx_eq_u16_e32 0x80, v100
; %bb.4269:                             ;   in Loop: Header=BB4_4231 Depth=2
	s_xor_b32 s13, exec_lo, -1
; %bb.4270:                             ;   in Loop: Header=BB4_4231 Depth=2
	s_or_b32 exec_lo, exec_lo, s42
	s_and_b32 s13, s13, exec_lo
                                        ; implicit-def: $vgpr100
	s_or_saveexec_b32 s41, s41
	v_mov_b32_e32 v99, 0x7f800001
	s_xor_b32 exec_lo, exec_lo, s41
	s_cbranch_execnz .LBB4_4786
.LBB4_4271:                             ;   in Loop: Header=BB4_4231 Depth=2
	s_or_b32 exec_lo, exec_lo, s41
	s_and_saveexec_b32 s41, s13
	s_cbranch_execz .LBB4_4273
.LBB4_4272:                             ;   in Loop: Header=BB4_4231 Depth=2
	v_bfe_u32 v99, v10, 16, 3
	v_bfe_u32 v103, v10, 19, 4
	v_lshlrev_b32_e32 v112, 8, v10
	v_ffbh_u32_e32 v100, v99
	v_cmp_eq_u32_e32 vcc_lo, 0, v103
	v_min_u32_e32 v100, 32, v100
	v_subrev_nc_u32_e32 v102, 28, v100
	v_sub_nc_u32_e32 v100, 29, v100
	v_lshlrev_b32_sdwa v102, v102, v10 dst_sel:DWORD dst_unused:UNUSED_PAD src0_sel:DWORD src1_sel:WORD_1
	v_cndmask_b32_e32 v100, v103, v100, vcc_lo
	v_and_b32_e32 v102, 7, v102
	v_lshl_add_u32 v100, v100, 23, 0x3b800000
	v_cndmask_b32_e32 v99, v99, v102, vcc_lo
	v_and_b32_e32 v102, 0x80000000, v112
	v_lshlrev_b32_e32 v99, 20, v99
	v_or3_b32 v99, v102, v100, v99
.LBB4_4273:                             ;   in Loop: Header=BB4_4231 Depth=2
	s_or_b32 exec_lo, exec_lo, s41
	v_mul_f32_e32 v99, s40, v99
	v_mov_b32_e32 v114, 0x80
	s_mov_b32 s41, exec_lo
	v_and_b32_e32 v100, 0x7f800000, v99
	v_cmpx_ne_u32_e32 0x7f800000, v100
	s_cbranch_execz .LBB4_4281
; %bb.4274:                             ;   in Loop: Header=BB4_4231 Depth=2
	v_mov_b32_e32 v114, 0
	s_mov_b32 s42, exec_lo
	v_cmpx_ne_u32_e32 0, v99
	s_cbranch_execz .LBB4_4280
; %bb.4275:                             ;   in Loop: Header=BB4_4231 Depth=2
	v_bfe_u32 v100, v99, 23, 8
	v_and_b32_e32 v102, 0x7fffff, v99
	v_sub_nc_u32_e32 v103, 0x78, v100
	v_cmp_gt_u32_e32 vcc_lo, 0x79, v100
	v_or_b32_e32 v112, 0x800000, v102
	v_cndmask_b32_e32 v103, 0, v103, vcc_lo
	v_cmp_eq_u32_e32 vcc_lo, 0, v100
	v_add_nc_u32_e32 v100, 0xffffff89, v100
	v_cndmask_b32_e64 v103, v103, 0x77, vcc_lo
	v_cndmask_b32_e32 v102, v112, v102, vcc_lo
	v_cndmask_b32_e64 v100, v100, 0xffffff8a, vcc_lo
	v_lshl_add_u32 v112, 0x100000, v103, -1
	v_lshrrev_b32_e32 v113, v103, v102
	v_lshlrev_b32_e64 v115, v103, 0x80000
	v_add_nc_u32_e32 v103, v103, v100
	v_and_b32_e32 v102, v112, v102
	v_bfe_u32 v114, v113, 20, 1
	v_cmp_eq_u32_e64 s13, v102, v115
	v_add_nc_u32_e32 v112, -1, v114
	v_cndmask_b32_e64 v102, 0, v112, s13
	v_lshrrev_b32_e32 v112, 23, v113
	s_mov_b32 s13, exec_lo
	v_add_nc_u32_e32 v102, v102, v113
	v_xor_b32_e32 v112, 1, v112
	v_and_b32_e32 v100, 0xfffff, v102
	v_add_nc_u32_e32 v102, v100, v113
                                        ; implicit-def: $vgpr100
	v_cmpx_ne_u32_e64 v103, v112
	s_xor_b32 s13, exec_lo, s13
; %bb.4276:                             ;   in Loop: Header=BB4_4231 Depth=2
	v_cmp_lt_u32_e32 vcc_lo, 0xffffff, v102
	v_sub_nc_u32_e32 v100, v103, v112
	v_cndmask_b32_e64 v103, 0, 1, vcc_lo
	v_add_co_ci_u32_e64 v100, null, 0, v100, vcc_lo
	v_lshrrev_b32_e32 v102, v103, v102
; %bb.4277:                             ;   in Loop: Header=BB4_4231 Depth=2
	s_andn2_saveexec_b32 s13, s13
; %bb.4278:                             ;   in Loop: Header=BB4_4231 Depth=2
	v_bfe_u32 v100, v102, 23, 1
; %bb.4279:                             ;   in Loop: Header=BB4_4231 Depth=2
	s_or_b32 exec_lo, exec_lo, s13
	v_lshrrev_b32_e32 v102, 20, v102
	v_min_i32_e32 v103, 15, v100
	v_cmp_gt_i32_e32 vcc_lo, 16, v100
	v_and_b32_sdwa v99, v99, v85 dst_sel:DWORD dst_unused:UNUSED_PAD src0_sel:BYTE_3 src1_sel:DWORD
	v_lshlrev_b32_e32 v103, 3, v103
	v_cndmask_b32_e32 v102, 7, v102, vcc_lo
	v_and_b32_e32 v103, 0xf8, v103
	v_and_b32_e32 v112, 7, v102
	v_or_b32_e32 v100, v100, v102
	v_or3_b32 v99, v103, v99, v112
	v_cmp_ne_u32_e32 vcc_lo, 0, v100
	v_cndmask_b32_e32 v114, 0, v99, vcc_lo
.LBB4_4280:                             ;   in Loop: Header=BB4_4231 Depth=2
	s_or_b32 exec_lo, exec_lo, s42
.LBB4_4281:                             ;   in Loop: Header=BB4_4231 Depth=2
	s_or_b32 exec_lo, exec_lo, s41
	v_cmp_gt_i16_sdwa s41, v10, v84 src0_sel:BYTE_3 src1_sel:DWORD
	s_mov_b32 s13, 0
	s_and_saveexec_b32 s42, s41
	s_xor_b32 s41, exec_lo, s42
	s_cbranch_execz .LBB4_4787
; %bb.4282:                             ;   in Loop: Header=BB4_4231 Depth=2
	v_cmp_eq_u16_sdwa s43, v10, v85 src0_sel:BYTE_3 src1_sel:DWORD
	s_mov_b32 s13, -1
	s_and_saveexec_b32 s42, s43
; %bb.4283:                             ;   in Loop: Header=BB4_4231 Depth=2
	s_xor_b32 s13, exec_lo, -1
; %bb.4284:                             ;   in Loop: Header=BB4_4231 Depth=2
	s_or_b32 exec_lo, exec_lo, s42
	s_and_b32 s13, s13, exec_lo
	s_or_saveexec_b32 s41, s41
	v_mov_b32_e32 v99, 0x7f800001
	s_xor_b32 exec_lo, exec_lo, s41
	s_cbranch_execnz .LBB4_4788
.LBB4_4285:                             ;   in Loop: Header=BB4_4231 Depth=2
	s_or_b32 exec_lo, exec_lo, s41
	s_and_saveexec_b32 s41, s13
	s_cbranch_execz .LBB4_4287
.LBB4_4286:                             ;   in Loop: Header=BB4_4231 Depth=2
	v_bfe_u32 v99, v10, 24, 3
	v_bfe_u32 v103, v10, 27, 4
	v_ffbh_u32_e32 v100, v99
	v_cmp_eq_u32_e32 vcc_lo, 0, v103
	v_min_u32_e32 v100, 32, v100
	v_subrev_nc_u32_e32 v102, 28, v100
	v_sub_nc_u32_e32 v100, 29, v100
	v_lshlrev_b32_sdwa v102, v102, v10 dst_sel:DWORD dst_unused:UNUSED_PAD src0_sel:DWORD src1_sel:BYTE_3
	v_cndmask_b32_e32 v100, v103, v100, vcc_lo
	v_and_b32_e32 v10, 0x80000000, v10
	v_and_b32_e32 v102, 7, v102
	v_lshl_add_u32 v100, v100, 23, 0x3b800000
	v_cndmask_b32_e32 v99, v99, v102, vcc_lo
	v_lshlrev_b32_e32 v99, 20, v99
	v_or3_b32 v99, v10, v100, v99
.LBB4_4287:                             ;   in Loop: Header=BB4_4231 Depth=2
	s_or_b32 exec_lo, exec_lo, s41
	v_mul_f32_e32 v10, s40, v99
	v_mov_b32_e32 v41, 0x8000
	s_mov_b32 s41, exec_lo
	v_and_b32_e32 v99, 0x7f800000, v10
	v_cmpx_ne_u32_e32 0x7f800000, v99
	s_cbranch_execz .LBB4_4295
; %bb.4288:                             ;   in Loop: Header=BB4_4231 Depth=2
	v_mov_b32_e32 v41, 0
	s_mov_b32 s42, exec_lo
	v_cmpx_ne_u32_e32 0, v10
	s_cbranch_execz .LBB4_4294
; %bb.4289:                             ;   in Loop: Header=BB4_4231 Depth=2
	v_bfe_u32 v99, v10, 23, 8
	v_and_b32_e32 v100, 0x7fffff, v10
	v_sub_nc_u32_e32 v102, 0x78, v99
	v_cmp_gt_u32_e32 vcc_lo, 0x79, v99
	v_or_b32_e32 v103, 0x800000, v100
	v_cndmask_b32_e32 v102, 0, v102, vcc_lo
	v_cmp_eq_u32_e32 vcc_lo, 0, v99
	v_add_nc_u32_e32 v99, 0xffffff89, v99
	v_cndmask_b32_e64 v102, v102, 0x77, vcc_lo
	v_cndmask_b32_e32 v100, v103, v100, vcc_lo
	v_cndmask_b32_e64 v99, v99, 0xffffff8a, vcc_lo
	v_lshl_add_u32 v103, 0x100000, v102, -1
	v_lshrrev_b32_e32 v112, v102, v100
	v_lshlrev_b32_e64 v115, v102, 0x80000
	v_add_nc_u32_e32 v102, v102, v99
	v_and_b32_e32 v100, v103, v100
	v_bfe_u32 v113, v112, 20, 1
	v_cmp_eq_u32_e64 s13, v100, v115
	v_add_nc_u32_e32 v103, -1, v113
	v_cndmask_b32_e64 v100, 0, v103, s13
	v_lshrrev_b32_e32 v103, 23, v112
	s_mov_b32 s13, exec_lo
	v_add_nc_u32_e32 v100, v100, v112
	v_xor_b32_e32 v103, 1, v103
	v_and_b32_e32 v99, 0xfffff, v100
	v_add_nc_u32_e32 v100, v99, v112
                                        ; implicit-def: $vgpr99
	v_cmpx_ne_u32_e64 v102, v103
	s_xor_b32 s13, exec_lo, s13
; %bb.4290:                             ;   in Loop: Header=BB4_4231 Depth=2
	v_cmp_lt_u32_e32 vcc_lo, 0xffffff, v100
	v_sub_nc_u32_e32 v99, v102, v103
	v_cndmask_b32_e64 v102, 0, 1, vcc_lo
	v_add_co_ci_u32_e64 v99, null, 0, v99, vcc_lo
	v_lshrrev_b32_e32 v100, v102, v100
; %bb.4291:                             ;   in Loop: Header=BB4_4231 Depth=2
	s_andn2_saveexec_b32 s13, s13
; %bb.4292:                             ;   in Loop: Header=BB4_4231 Depth=2
	v_bfe_u32 v99, v100, 23, 1
; %bb.4293:                             ;   in Loop: Header=BB4_4231 Depth=2
	s_or_b32 exec_lo, exec_lo, s13
	v_lshrrev_b32_e32 v100, 20, v100
	v_min_i32_e32 v102, 15, v99
	v_cmp_gt_i32_e32 vcc_lo, 16, v99
	v_and_b32_sdwa v10, v10, v85 dst_sel:DWORD dst_unused:UNUSED_PAD src0_sel:BYTE_3 src1_sel:DWORD
	v_lshlrev_b32_e32 v102, 3, v102
	v_cndmask_b32_e32 v100, 7, v100, vcc_lo
	v_and_b32_e32 v102, 0xf8, v102
	v_and_b32_e32 v103, 7, v100
	v_or_b32_e32 v99, v99, v100
	v_or3_b32 v10, v10, v102, v103
	v_cmp_ne_u32_e32 vcc_lo, 0, v99
	v_lshlrev_b32_e32 v10, 8, v10
	v_cndmask_b32_e32 v41, 0, v10, vcc_lo
.LBB4_4294:                             ;   in Loop: Header=BB4_4231 Depth=2
	s_or_b32 exec_lo, exec_lo, s42
.LBB4_4295:                             ;   in Loop: Header=BB4_4231 Depth=2
	s_or_b32 exec_lo, exec_lo, s41
	v_cmp_gt_i16_sdwa s41, v11, v84 src0_sel:BYTE_0 src1_sel:DWORD
	s_mov_b32 s13, 0
	s_and_saveexec_b32 s42, s41
	s_xor_b32 s41, exec_lo, s42
	s_cbranch_execz .LBB4_4789
; %bb.4296:                             ;   in Loop: Header=BB4_4231 Depth=2
	v_cmp_eq_u16_sdwa s43, v11, v85 src0_sel:BYTE_0 src1_sel:DWORD
	s_mov_b32 s13, -1
	s_and_saveexec_b32 s42, s43
; %bb.4297:                             ;   in Loop: Header=BB4_4231 Depth=2
	s_xor_b32 s13, exec_lo, -1
; %bb.4298:                             ;   in Loop: Header=BB4_4231 Depth=2
	s_or_b32 exec_lo, exec_lo, s42
	s_and_b32 s13, s13, exec_lo
	s_or_saveexec_b32 s41, s41
	v_mov_b32_e32 v10, 0x7f800001
	s_xor_b32 exec_lo, exec_lo, s41
	s_cbranch_execnz .LBB4_4790
.LBB4_4299:                             ;   in Loop: Header=BB4_4231 Depth=2
	s_or_b32 exec_lo, exec_lo, s41
	s_and_saveexec_b32 s41, s13
	s_cbranch_execz .LBB4_4301
.LBB4_4300:                             ;   in Loop: Header=BB4_4231 Depth=2
	v_and_b32_e32 v10, 7, v11
	v_bfe_u32 v102, v11, 3, 4
	v_lshlrev_b32_e32 v103, 24, v11
	v_ffbh_u32_e32 v99, v10
	v_cmp_eq_u32_e32 vcc_lo, 0, v102
	v_min_u32_e32 v99, 32, v99
	v_subrev_nc_u32_e32 v100, 28, v99
	v_sub_nc_u32_e32 v99, 29, v99
	v_lshlrev_b32_e32 v100, v100, v11
	v_cndmask_b32_e32 v99, v102, v99, vcc_lo
	v_and_b32_e32 v100, 7, v100
	v_lshl_add_u32 v99, v99, 23, 0x3b800000
	v_cndmask_b32_e32 v10, v10, v100, vcc_lo
	v_and_b32_e32 v100, 0x80000000, v103
	v_lshlrev_b32_e32 v10, 20, v10
	v_or3_b32 v10, v100, v99, v10
.LBB4_4301:                             ;   in Loop: Header=BB4_4231 Depth=2
	s_or_b32 exec_lo, exec_lo, s41
	v_mul_f32_e32 v10, s40, v10
	v_mov_b32_e32 v118, 0x80
	s_mov_b32 s41, exec_lo
	v_and_b32_e32 v99, 0x7f800000, v10
	v_cmpx_ne_u32_e32 0x7f800000, v99
	s_cbranch_execz .LBB4_4309
; %bb.4302:                             ;   in Loop: Header=BB4_4231 Depth=2
	v_mov_b32_e32 v118, 0
	s_mov_b32 s42, exec_lo
	v_cmpx_ne_u32_e32 0, v10
	s_cbranch_execz .LBB4_4308
; %bb.4303:                             ;   in Loop: Header=BB4_4231 Depth=2
	v_bfe_u32 v99, v10, 23, 8
	v_and_b32_e32 v100, 0x7fffff, v10
	v_sub_nc_u32_e32 v102, 0x78, v99
	v_cmp_gt_u32_e32 vcc_lo, 0x79, v99
	v_or_b32_e32 v103, 0x800000, v100
	v_cndmask_b32_e32 v102, 0, v102, vcc_lo
	v_cmp_eq_u32_e32 vcc_lo, 0, v99
	v_add_nc_u32_e32 v99, 0xffffff89, v99
	v_cndmask_b32_e64 v102, v102, 0x77, vcc_lo
	v_cndmask_b32_e32 v100, v103, v100, vcc_lo
	v_cndmask_b32_e64 v99, v99, 0xffffff8a, vcc_lo
	v_lshl_add_u32 v103, 0x100000, v102, -1
	v_lshrrev_b32_e32 v112, v102, v100
	v_lshlrev_b32_e64 v115, v102, 0x80000
	v_add_nc_u32_e32 v102, v102, v99
	v_and_b32_e32 v100, v103, v100
	v_bfe_u32 v113, v112, 20, 1
	v_cmp_eq_u32_e64 s13, v100, v115
	v_add_nc_u32_e32 v103, -1, v113
	v_cndmask_b32_e64 v100, 0, v103, s13
	v_lshrrev_b32_e32 v103, 23, v112
	s_mov_b32 s13, exec_lo
	v_add_nc_u32_e32 v100, v100, v112
	v_xor_b32_e32 v103, 1, v103
	v_and_b32_e32 v99, 0xfffff, v100
	v_add_nc_u32_e32 v100, v99, v112
                                        ; implicit-def: $vgpr99
	v_cmpx_ne_u32_e64 v102, v103
	s_xor_b32 s13, exec_lo, s13
; %bb.4304:                             ;   in Loop: Header=BB4_4231 Depth=2
	v_cmp_lt_u32_e32 vcc_lo, 0xffffff, v100
	v_sub_nc_u32_e32 v99, v102, v103
	v_cndmask_b32_e64 v102, 0, 1, vcc_lo
	v_add_co_ci_u32_e64 v99, null, 0, v99, vcc_lo
	v_lshrrev_b32_e32 v100, v102, v100
; %bb.4305:                             ;   in Loop: Header=BB4_4231 Depth=2
	s_andn2_saveexec_b32 s13, s13
; %bb.4306:                             ;   in Loop: Header=BB4_4231 Depth=2
	v_bfe_u32 v99, v100, 23, 1
; %bb.4307:                             ;   in Loop: Header=BB4_4231 Depth=2
	s_or_b32 exec_lo, exec_lo, s13
	v_lshrrev_b32_e32 v100, 20, v100
	v_min_i32_e32 v102, 15, v99
	v_cmp_gt_i32_e32 vcc_lo, 16, v99
	v_and_b32_sdwa v10, v10, v85 dst_sel:DWORD dst_unused:UNUSED_PAD src0_sel:BYTE_3 src1_sel:DWORD
	v_lshlrev_b32_e32 v102, 3, v102
	v_cndmask_b32_e32 v100, 7, v100, vcc_lo
	v_and_b32_e32 v102, 0xf8, v102
	v_and_b32_e32 v103, 7, v100
	v_or_b32_e32 v99, v99, v100
	v_or3_b32 v10, v102, v10, v103
	v_cmp_ne_u32_e32 vcc_lo, 0, v99
	v_cndmask_b32_e32 v118, 0, v10, vcc_lo
.LBB4_4308:                             ;   in Loop: Header=BB4_4231 Depth=2
	s_or_b32 exec_lo, exec_lo, s42
.LBB4_4309:                             ;   in Loop: Header=BB4_4231 Depth=2
	s_or_b32 exec_lo, exec_lo, s41
	v_cmp_gt_i16_sdwa s41, v11, v84 src0_sel:BYTE_1 src1_sel:DWORD
	s_mov_b32 s13, 0
	s_and_saveexec_b32 s42, s41
	s_xor_b32 s41, exec_lo, s42
	s_cbranch_execz .LBB4_4791
; %bb.4310:                             ;   in Loop: Header=BB4_4231 Depth=2
	v_cmp_eq_u16_sdwa s43, v11, v85 src0_sel:BYTE_1 src1_sel:DWORD
	s_mov_b32 s13, -1
	s_and_saveexec_b32 s42, s43
; %bb.4311:                             ;   in Loop: Header=BB4_4231 Depth=2
	s_xor_b32 s13, exec_lo, -1
; %bb.4312:                             ;   in Loop: Header=BB4_4231 Depth=2
	s_or_b32 exec_lo, exec_lo, s42
	s_and_b32 s13, s13, exec_lo
	s_or_saveexec_b32 s41, s41
	v_mov_b32_e32 v10, 0x7f800001
	s_xor_b32 exec_lo, exec_lo, s41
	s_cbranch_execnz .LBB4_4792
.LBB4_4313:                             ;   in Loop: Header=BB4_4231 Depth=2
	s_or_b32 exec_lo, exec_lo, s41
	s_and_saveexec_b32 s41, s13
	s_cbranch_execz .LBB4_4315
.LBB4_4314:                             ;   in Loop: Header=BB4_4231 Depth=2
	v_and_b32_sdwa v10, v86, v11 dst_sel:DWORD dst_unused:UNUSED_PAD src0_sel:DWORD src1_sel:BYTE_1
	v_and_b32_e32 v99, 7, v10
	v_bfe_u32 v103, v10, 3, 4
	v_ffbh_u32_e32 v100, v99
	v_cmp_eq_u32_e32 vcc_lo, 0, v103
	v_min_u32_e32 v100, 32, v100
	v_subrev_nc_u32_e32 v102, 28, v100
	v_sub_nc_u32_e32 v100, 29, v100
	v_lshlrev_b32_e32 v10, v102, v10
	v_lshlrev_b32_sdwa v102, v87, v11 dst_sel:DWORD dst_unused:UNUSED_PAD src0_sel:DWORD src1_sel:BYTE_1
	v_cndmask_b32_e32 v100, v103, v100, vcc_lo
	v_and_b32_e32 v10, 7, v10
	v_lshl_add_u32 v100, v100, 23, 0x3b800000
	v_cndmask_b32_e32 v10, v99, v10, vcc_lo
	v_and_b32_e32 v99, 0x80000000, v102
	v_lshlrev_b32_e32 v10, 20, v10
	v_or3_b32 v10, v99, v100, v10
.LBB4_4315:                             ;   in Loop: Header=BB4_4231 Depth=2
	s_or_b32 exec_lo, exec_lo, s41
	v_mul_f32_e32 v10, s40, v10
	v_mov_b32_e32 v40, 0x8000
	s_mov_b32 s41, exec_lo
	v_and_b32_e32 v99, 0x7f800000, v10
	v_cmpx_ne_u32_e32 0x7f800000, v99
	s_cbranch_execz .LBB4_4323
; %bb.4316:                             ;   in Loop: Header=BB4_4231 Depth=2
	v_mov_b32_e32 v40, 0
	s_mov_b32 s42, exec_lo
	v_cmpx_ne_u32_e32 0, v10
	s_cbranch_execz .LBB4_4322
; %bb.4317:                             ;   in Loop: Header=BB4_4231 Depth=2
	v_bfe_u32 v99, v10, 23, 8
	v_and_b32_e32 v100, 0x7fffff, v10
	v_sub_nc_u32_e32 v102, 0x78, v99
	v_cmp_gt_u32_e32 vcc_lo, 0x79, v99
	v_or_b32_e32 v103, 0x800000, v100
	v_cndmask_b32_e32 v102, 0, v102, vcc_lo
	v_cmp_eq_u32_e32 vcc_lo, 0, v99
	v_add_nc_u32_e32 v99, 0xffffff89, v99
	v_cndmask_b32_e64 v102, v102, 0x77, vcc_lo
	v_cndmask_b32_e32 v100, v103, v100, vcc_lo
	v_cndmask_b32_e64 v99, v99, 0xffffff8a, vcc_lo
	v_lshl_add_u32 v103, 0x100000, v102, -1
	v_lshrrev_b32_e32 v112, v102, v100
	v_lshlrev_b32_e64 v115, v102, 0x80000
	v_add_nc_u32_e32 v102, v102, v99
	v_and_b32_e32 v100, v103, v100
	v_bfe_u32 v113, v112, 20, 1
	v_cmp_eq_u32_e64 s13, v100, v115
	v_add_nc_u32_e32 v103, -1, v113
	v_cndmask_b32_e64 v100, 0, v103, s13
	v_lshrrev_b32_e32 v103, 23, v112
	s_mov_b32 s13, exec_lo
	v_add_nc_u32_e32 v100, v100, v112
	v_xor_b32_e32 v103, 1, v103
	v_and_b32_e32 v99, 0xfffff, v100
	v_add_nc_u32_e32 v100, v99, v112
                                        ; implicit-def: $vgpr99
	v_cmpx_ne_u32_e64 v102, v103
	s_xor_b32 s13, exec_lo, s13
; %bb.4318:                             ;   in Loop: Header=BB4_4231 Depth=2
	v_cmp_lt_u32_e32 vcc_lo, 0xffffff, v100
	v_sub_nc_u32_e32 v99, v102, v103
	v_cndmask_b32_e64 v102, 0, 1, vcc_lo
	v_add_co_ci_u32_e64 v99, null, 0, v99, vcc_lo
	v_lshrrev_b32_e32 v100, v102, v100
; %bb.4319:                             ;   in Loop: Header=BB4_4231 Depth=2
	s_andn2_saveexec_b32 s13, s13
; %bb.4320:                             ;   in Loop: Header=BB4_4231 Depth=2
	v_bfe_u32 v99, v100, 23, 1
; %bb.4321:                             ;   in Loop: Header=BB4_4231 Depth=2
	s_or_b32 exec_lo, exec_lo, s13
	v_lshrrev_b32_e32 v100, 20, v100
	v_min_i32_e32 v102, 15, v99
	v_cmp_gt_i32_e32 vcc_lo, 16, v99
	v_and_b32_sdwa v10, v10, v85 dst_sel:DWORD dst_unused:UNUSED_PAD src0_sel:BYTE_3 src1_sel:DWORD
	v_lshlrev_b32_e32 v102, 3, v102
	v_cndmask_b32_e32 v100, 7, v100, vcc_lo
	v_and_b32_e32 v102, 0xf8, v102
	v_and_b32_e32 v103, 7, v100
	v_or_b32_e32 v99, v99, v100
	v_or3_b32 v10, v10, v102, v103
	v_cmp_ne_u32_e32 vcc_lo, 0, v99
	v_lshlrev_b32_e32 v10, 8, v10
	v_cndmask_b32_e32 v40, 0, v10, vcc_lo
.LBB4_4322:                             ;   in Loop: Header=BB4_4231 Depth=2
	s_or_b32 exec_lo, exec_lo, s42
.LBB4_4323:                             ;   in Loop: Header=BB4_4231 Depth=2
	s_or_b32 exec_lo, exec_lo, s41
	v_and_b32_sdwa v99, v11, v96 dst_sel:DWORD dst_unused:UNUSED_PAD src0_sel:WORD_1 src1_sel:DWORD
	s_mov_b32 s13, 0
	s_mov_b32 s41, exec_lo
	v_cmpx_lt_i16_e32 0x7f, v99
	s_xor_b32 s41, exec_lo, s41
	s_cbranch_execz .LBB4_4793
; %bb.4324:                             ;   in Loop: Header=BB4_4231 Depth=2
	s_mov_b32 s13, -1
	s_mov_b32 s42, exec_lo
	v_cmpx_eq_u16_e32 0x80, v99
; %bb.4325:                             ;   in Loop: Header=BB4_4231 Depth=2
	s_xor_b32 s13, exec_lo, -1
; %bb.4326:                             ;   in Loop: Header=BB4_4231 Depth=2
	s_or_b32 exec_lo, exec_lo, s42
	s_and_b32 s13, s13, exec_lo
                                        ; implicit-def: $vgpr99
	s_or_saveexec_b32 s41, s41
	v_mov_b32_e32 v10, 0x7f800001
	s_xor_b32 exec_lo, exec_lo, s41
	s_cbranch_execnz .LBB4_4794
.LBB4_4327:                             ;   in Loop: Header=BB4_4231 Depth=2
	s_or_b32 exec_lo, exec_lo, s41
	s_and_saveexec_b32 s41, s13
	s_cbranch_execz .LBB4_4329
.LBB4_4328:                             ;   in Loop: Header=BB4_4231 Depth=2
	v_bfe_u32 v10, v11, 16, 3
	v_bfe_u32 v102, v11, 19, 4
	v_lshlrev_b32_e32 v103, 8, v11
	v_ffbh_u32_e32 v99, v10
	v_cmp_eq_u32_e32 vcc_lo, 0, v102
	v_min_u32_e32 v99, 32, v99
	v_subrev_nc_u32_e32 v100, 28, v99
	v_sub_nc_u32_e32 v99, 29, v99
	v_lshlrev_b32_sdwa v100, v100, v11 dst_sel:DWORD dst_unused:UNUSED_PAD src0_sel:DWORD src1_sel:WORD_1
	v_cndmask_b32_e32 v99, v102, v99, vcc_lo
	v_and_b32_e32 v100, 7, v100
	v_lshl_add_u32 v99, v99, 23, 0x3b800000
	v_cndmask_b32_e32 v10, v10, v100, vcc_lo
	v_and_b32_e32 v100, 0x80000000, v103
	v_lshlrev_b32_e32 v10, 20, v10
	v_or3_b32 v10, v100, v99, v10
.LBB4_4329:                             ;   in Loop: Header=BB4_4231 Depth=2
	s_or_b32 exec_lo, exec_lo, s41
	v_mul_f32_e32 v10, s40, v10
	v_mov_b32_e32 v116, 0x80
	s_mov_b32 s41, exec_lo
	v_and_b32_e32 v99, 0x7f800000, v10
	v_cmpx_ne_u32_e32 0x7f800000, v99
	s_cbranch_execz .LBB4_4337
; %bb.4330:                             ;   in Loop: Header=BB4_4231 Depth=2
	v_mov_b32_e32 v116, 0
	s_mov_b32 s42, exec_lo
	v_cmpx_ne_u32_e32 0, v10
	s_cbranch_execz .LBB4_4336
; %bb.4331:                             ;   in Loop: Header=BB4_4231 Depth=2
	v_bfe_u32 v99, v10, 23, 8
	v_and_b32_e32 v100, 0x7fffff, v10
	v_sub_nc_u32_e32 v102, 0x78, v99
	v_cmp_gt_u32_e32 vcc_lo, 0x79, v99
	v_or_b32_e32 v103, 0x800000, v100
	v_cndmask_b32_e32 v102, 0, v102, vcc_lo
	v_cmp_eq_u32_e32 vcc_lo, 0, v99
	v_add_nc_u32_e32 v99, 0xffffff89, v99
	v_cndmask_b32_e64 v102, v102, 0x77, vcc_lo
	v_cndmask_b32_e32 v100, v103, v100, vcc_lo
	v_cndmask_b32_e64 v99, v99, 0xffffff8a, vcc_lo
	v_lshl_add_u32 v103, 0x100000, v102, -1
	v_lshrrev_b32_e32 v112, v102, v100
	v_lshlrev_b32_e64 v115, v102, 0x80000
	v_add_nc_u32_e32 v102, v102, v99
	v_and_b32_e32 v100, v103, v100
	v_bfe_u32 v113, v112, 20, 1
	v_cmp_eq_u32_e64 s13, v100, v115
	v_add_nc_u32_e32 v103, -1, v113
	v_cndmask_b32_e64 v100, 0, v103, s13
	v_lshrrev_b32_e32 v103, 23, v112
	s_mov_b32 s13, exec_lo
	v_add_nc_u32_e32 v100, v100, v112
	v_xor_b32_e32 v103, 1, v103
	v_and_b32_e32 v99, 0xfffff, v100
	v_add_nc_u32_e32 v100, v99, v112
                                        ; implicit-def: $vgpr99
	v_cmpx_ne_u32_e64 v102, v103
	s_xor_b32 s13, exec_lo, s13
; %bb.4332:                             ;   in Loop: Header=BB4_4231 Depth=2
	v_cmp_lt_u32_e32 vcc_lo, 0xffffff, v100
	v_sub_nc_u32_e32 v99, v102, v103
	v_cndmask_b32_e64 v102, 0, 1, vcc_lo
	v_add_co_ci_u32_e64 v99, null, 0, v99, vcc_lo
	v_lshrrev_b32_e32 v100, v102, v100
; %bb.4333:                             ;   in Loop: Header=BB4_4231 Depth=2
	s_andn2_saveexec_b32 s13, s13
; %bb.4334:                             ;   in Loop: Header=BB4_4231 Depth=2
	v_bfe_u32 v99, v100, 23, 1
; %bb.4335:                             ;   in Loop: Header=BB4_4231 Depth=2
	s_or_b32 exec_lo, exec_lo, s13
	v_lshrrev_b32_e32 v100, 20, v100
	v_min_i32_e32 v102, 15, v99
	v_cmp_gt_i32_e32 vcc_lo, 16, v99
	v_and_b32_sdwa v10, v10, v85 dst_sel:DWORD dst_unused:UNUSED_PAD src0_sel:BYTE_3 src1_sel:DWORD
	v_lshlrev_b32_e32 v102, 3, v102
	v_cndmask_b32_e32 v100, 7, v100, vcc_lo
	v_and_b32_e32 v102, 0xf8, v102
	v_and_b32_e32 v103, 7, v100
	v_or_b32_e32 v99, v99, v100
	v_or3_b32 v10, v102, v10, v103
	v_cmp_ne_u32_e32 vcc_lo, 0, v99
	v_cndmask_b32_e32 v116, 0, v10, vcc_lo
.LBB4_4336:                             ;   in Loop: Header=BB4_4231 Depth=2
	s_or_b32 exec_lo, exec_lo, s42
.LBB4_4337:                             ;   in Loop: Header=BB4_4231 Depth=2
	s_or_b32 exec_lo, exec_lo, s41
	v_cmp_gt_i16_sdwa s41, v11, v84 src0_sel:BYTE_3 src1_sel:DWORD
	s_mov_b32 s13, 0
	s_and_saveexec_b32 s42, s41
	s_xor_b32 s41, exec_lo, s42
	s_cbranch_execz .LBB4_4795
; %bb.4338:                             ;   in Loop: Header=BB4_4231 Depth=2
	v_cmp_eq_u16_sdwa s43, v11, v85 src0_sel:BYTE_3 src1_sel:DWORD
	s_mov_b32 s13, -1
	s_and_saveexec_b32 s42, s43
; %bb.4339:                             ;   in Loop: Header=BB4_4231 Depth=2
	s_xor_b32 s13, exec_lo, -1
; %bb.4340:                             ;   in Loop: Header=BB4_4231 Depth=2
	s_or_b32 exec_lo, exec_lo, s42
	s_and_b32 s13, s13, exec_lo
	s_or_saveexec_b32 s41, s41
	v_mov_b32_e32 v10, 0x7f800001
	s_xor_b32 exec_lo, exec_lo, s41
	s_cbranch_execnz .LBB4_4796
.LBB4_4341:                             ;   in Loop: Header=BB4_4231 Depth=2
	s_or_b32 exec_lo, exec_lo, s41
	s_and_saveexec_b32 s41, s13
	s_cbranch_execz .LBB4_4343
.LBB4_4342:                             ;   in Loop: Header=BB4_4231 Depth=2
	v_bfe_u32 v10, v11, 24, 3
	v_bfe_u32 v102, v11, 27, 4
	v_ffbh_u32_e32 v99, v10
	v_cmp_eq_u32_e32 vcc_lo, 0, v102
	v_min_u32_e32 v99, 32, v99
	v_subrev_nc_u32_e32 v100, 28, v99
	v_sub_nc_u32_e32 v99, 29, v99
	v_lshlrev_b32_sdwa v100, v100, v11 dst_sel:DWORD dst_unused:UNUSED_PAD src0_sel:DWORD src1_sel:BYTE_3
	v_cndmask_b32_e32 v99, v102, v99, vcc_lo
	v_and_b32_e32 v11, 0x80000000, v11
	v_and_b32_e32 v100, 7, v100
	v_lshl_add_u32 v99, v99, 23, 0x3b800000
	v_cndmask_b32_e32 v10, v10, v100, vcc_lo
	v_lshlrev_b32_e32 v10, 20, v10
	v_or3_b32 v10, v11, v99, v10
.LBB4_4343:                             ;   in Loop: Header=BB4_4231 Depth=2
	s_or_b32 exec_lo, exec_lo, s41
	v_mul_f32_e32 v10, s40, v10
	v_mov_b32_e32 v119, 0x8000
	s_mov_b32 s41, exec_lo
	v_and_b32_e32 v11, 0x7f800000, v10
	v_cmpx_ne_u32_e32 0x7f800000, v11
	s_cbranch_execz .LBB4_4351
; %bb.4344:                             ;   in Loop: Header=BB4_4231 Depth=2
	v_mov_b32_e32 v119, 0
	s_mov_b32 s42, exec_lo
	v_cmpx_ne_u32_e32 0, v10
	s_cbranch_execz .LBB4_4350
; %bb.4345:                             ;   in Loop: Header=BB4_4231 Depth=2
	v_bfe_u32 v11, v10, 23, 8
	v_and_b32_e32 v99, 0x7fffff, v10
	v_sub_nc_u32_e32 v100, 0x78, v11
	v_cmp_gt_u32_e32 vcc_lo, 0x79, v11
	v_or_b32_e32 v102, 0x800000, v99
	v_cndmask_b32_e32 v100, 0, v100, vcc_lo
	v_cmp_eq_u32_e32 vcc_lo, 0, v11
	v_add_nc_u32_e32 v11, 0xffffff89, v11
	v_cndmask_b32_e64 v100, v100, 0x77, vcc_lo
	v_cndmask_b32_e32 v99, v102, v99, vcc_lo
	v_cndmask_b32_e64 v11, v11, 0xffffff8a, vcc_lo
	v_lshl_add_u32 v102, 0x100000, v100, -1
	v_lshrrev_b32_e32 v103, v100, v99
	v_lshlrev_b32_e64 v113, v100, 0x80000
	v_add_nc_u32_e32 v100, v100, v11
	v_and_b32_e32 v99, v102, v99
	v_bfe_u32 v112, v103, 20, 1
	v_cmp_eq_u32_e64 s13, v99, v113
	v_add_nc_u32_e32 v102, -1, v112
	v_cndmask_b32_e64 v99, 0, v102, s13
	v_lshrrev_b32_e32 v102, 23, v103
	s_mov_b32 s13, exec_lo
	v_add_nc_u32_e32 v99, v99, v103
	v_xor_b32_e32 v102, 1, v102
	v_and_b32_e32 v11, 0xfffff, v99
	v_add_nc_u32_e32 v99, v11, v103
                                        ; implicit-def: $vgpr11
	v_cmpx_ne_u32_e64 v100, v102
	s_xor_b32 s13, exec_lo, s13
; %bb.4346:                             ;   in Loop: Header=BB4_4231 Depth=2
	v_cmp_lt_u32_e32 vcc_lo, 0xffffff, v99
	v_sub_nc_u32_e32 v11, v100, v102
	v_cndmask_b32_e64 v100, 0, 1, vcc_lo
	v_add_co_ci_u32_e64 v11, null, 0, v11, vcc_lo
	v_lshrrev_b32_e32 v99, v100, v99
; %bb.4347:                             ;   in Loop: Header=BB4_4231 Depth=2
	s_andn2_saveexec_b32 s13, s13
; %bb.4348:                             ;   in Loop: Header=BB4_4231 Depth=2
	v_bfe_u32 v11, v99, 23, 1
; %bb.4349:                             ;   in Loop: Header=BB4_4231 Depth=2
	s_or_b32 exec_lo, exec_lo, s13
	v_lshrrev_b32_e32 v99, 20, v99
	v_min_i32_e32 v100, 15, v11
	v_cmp_gt_i32_e32 vcc_lo, 16, v11
	v_and_b32_sdwa v10, v10, v85 dst_sel:DWORD dst_unused:UNUSED_PAD src0_sel:BYTE_3 src1_sel:DWORD
	v_lshlrev_b32_e32 v100, 3, v100
	v_cndmask_b32_e32 v99, 7, v99, vcc_lo
	v_and_b32_e32 v100, 0xf8, v100
	v_and_b32_e32 v102, 7, v99
	v_or_b32_e32 v11, v11, v99
	v_or3_b32 v10, v10, v100, v102
	v_cmp_ne_u32_e32 vcc_lo, 0, v11
	v_lshlrev_b32_e32 v10, 8, v10
	v_cndmask_b32_e32 v119, 0, v10, vcc_lo
.LBB4_4350:                             ;   in Loop: Header=BB4_4231 Depth=2
	s_or_b32 exec_lo, exec_lo, s42
.LBB4_4351:                             ;   in Loop: Header=BB4_4231 Depth=2
	s_or_b32 exec_lo, exec_lo, s41
	v_cmp_gt_i16_sdwa s41, v12, v84 src0_sel:BYTE_0 src1_sel:DWORD
	s_mov_b32 s13, 0
	s_and_saveexec_b32 s42, s41
	s_xor_b32 s41, exec_lo, s42
	s_cbranch_execz .LBB4_4797
; %bb.4352:                             ;   in Loop: Header=BB4_4231 Depth=2
	v_cmp_eq_u16_sdwa s43, v12, v85 src0_sel:BYTE_0 src1_sel:DWORD
	s_mov_b32 s13, -1
	s_and_saveexec_b32 s42, s43
; %bb.4353:                             ;   in Loop: Header=BB4_4231 Depth=2
	s_xor_b32 s13, exec_lo, -1
; %bb.4354:                             ;   in Loop: Header=BB4_4231 Depth=2
	s_or_b32 exec_lo, exec_lo, s42
	s_and_b32 s13, s13, exec_lo
	s_or_saveexec_b32 s41, s41
	v_mov_b32_e32 v10, 0x7f800001
	s_xor_b32 exec_lo, exec_lo, s41
	s_cbranch_execnz .LBB4_4798
.LBB4_4355:                             ;   in Loop: Header=BB4_4231 Depth=2
	s_or_b32 exec_lo, exec_lo, s41
	s_and_saveexec_b32 s41, s13
	s_cbranch_execz .LBB4_4357
.LBB4_4356:                             ;   in Loop: Header=BB4_4231 Depth=2
	v_and_b32_e32 v10, 7, v12
	v_bfe_u32 v100, v12, 3, 4
	v_lshlrev_b32_e32 v102, 24, v12
	v_ffbh_u32_e32 v11, v10
	v_cmp_eq_u32_e32 vcc_lo, 0, v100
	v_min_u32_e32 v11, 32, v11
	v_subrev_nc_u32_e32 v99, 28, v11
	v_sub_nc_u32_e32 v11, 29, v11
	v_lshlrev_b32_e32 v99, v99, v12
	v_cndmask_b32_e32 v11, v100, v11, vcc_lo
	v_and_b32_e32 v99, 7, v99
	v_lshl_add_u32 v11, v11, 23, 0x3b800000
	v_cndmask_b32_e32 v10, v10, v99, vcc_lo
	v_and_b32_e32 v99, 0x80000000, v102
	v_lshlrev_b32_e32 v10, 20, v10
	v_or3_b32 v10, v99, v11, v10
.LBB4_4357:                             ;   in Loop: Header=BB4_4231 Depth=2
	s_or_b32 exec_lo, exec_lo, s41
	v_mul_f32_e32 v10, s40, v10
	v_mov_b32_e32 v113, 0x80
	s_mov_b32 s41, exec_lo
	v_and_b32_e32 v11, 0x7f800000, v10
	v_cmpx_ne_u32_e32 0x7f800000, v11
	s_cbranch_execz .LBB4_4365
; %bb.4358:                             ;   in Loop: Header=BB4_4231 Depth=2
	v_mov_b32_e32 v113, 0
	s_mov_b32 s42, exec_lo
	v_cmpx_ne_u32_e32 0, v10
	s_cbranch_execz .LBB4_4364
; %bb.4359:                             ;   in Loop: Header=BB4_4231 Depth=2
	v_bfe_u32 v11, v10, 23, 8
	v_and_b32_e32 v99, 0x7fffff, v10
	v_sub_nc_u32_e32 v100, 0x78, v11
	v_cmp_gt_u32_e32 vcc_lo, 0x79, v11
	v_or_b32_e32 v102, 0x800000, v99
	v_cndmask_b32_e32 v100, 0, v100, vcc_lo
	v_cmp_eq_u32_e32 vcc_lo, 0, v11
	v_add_nc_u32_e32 v11, 0xffffff89, v11
	v_cndmask_b32_e64 v100, v100, 0x77, vcc_lo
	v_cndmask_b32_e32 v99, v102, v99, vcc_lo
	v_cndmask_b32_e64 v11, v11, 0xffffff8a, vcc_lo
	v_lshl_add_u32 v102, 0x100000, v100, -1
	v_lshrrev_b32_e32 v103, v100, v99
	v_lshlrev_b32_e64 v113, v100, 0x80000
	v_add_nc_u32_e32 v100, v100, v11
	v_and_b32_e32 v99, v102, v99
	v_bfe_u32 v112, v103, 20, 1
	v_cmp_eq_u32_e64 s13, v99, v113
	v_add_nc_u32_e32 v102, -1, v112
	v_cndmask_b32_e64 v99, 0, v102, s13
	v_lshrrev_b32_e32 v102, 23, v103
	s_mov_b32 s13, exec_lo
	v_add_nc_u32_e32 v99, v99, v103
	v_xor_b32_e32 v102, 1, v102
	v_and_b32_e32 v11, 0xfffff, v99
	v_add_nc_u32_e32 v99, v11, v103
                                        ; implicit-def: $vgpr11
	v_cmpx_ne_u32_e64 v100, v102
	s_xor_b32 s13, exec_lo, s13
; %bb.4360:                             ;   in Loop: Header=BB4_4231 Depth=2
	v_cmp_lt_u32_e32 vcc_lo, 0xffffff, v99
	v_sub_nc_u32_e32 v11, v100, v102
	v_cndmask_b32_e64 v100, 0, 1, vcc_lo
	v_add_co_ci_u32_e64 v11, null, 0, v11, vcc_lo
	v_lshrrev_b32_e32 v99, v100, v99
; %bb.4361:                             ;   in Loop: Header=BB4_4231 Depth=2
	s_andn2_saveexec_b32 s13, s13
; %bb.4362:                             ;   in Loop: Header=BB4_4231 Depth=2
	v_bfe_u32 v11, v99, 23, 1
; %bb.4363:                             ;   in Loop: Header=BB4_4231 Depth=2
	s_or_b32 exec_lo, exec_lo, s13
	v_lshrrev_b32_e32 v99, 20, v99
	v_min_i32_e32 v100, 15, v11
	v_cmp_gt_i32_e32 vcc_lo, 16, v11
	v_and_b32_sdwa v10, v10, v85 dst_sel:DWORD dst_unused:UNUSED_PAD src0_sel:BYTE_3 src1_sel:DWORD
	v_lshlrev_b32_e32 v100, 3, v100
	v_cndmask_b32_e32 v99, 7, v99, vcc_lo
	v_and_b32_e32 v100, 0xf8, v100
	v_and_b32_e32 v102, 7, v99
	v_or_b32_e32 v11, v11, v99
	v_or3_b32 v10, v100, v10, v102
	v_cmp_ne_u32_e32 vcc_lo, 0, v11
	v_cndmask_b32_e32 v113, 0, v10, vcc_lo
.LBB4_4364:                             ;   in Loop: Header=BB4_4231 Depth=2
	s_or_b32 exec_lo, exec_lo, s42
.LBB4_4365:                             ;   in Loop: Header=BB4_4231 Depth=2
	s_or_b32 exec_lo, exec_lo, s41
	v_cmp_gt_i16_sdwa s41, v12, v84 src0_sel:BYTE_1 src1_sel:DWORD
	s_mov_b32 s13, 0
	s_and_saveexec_b32 s42, s41
	s_xor_b32 s41, exec_lo, s42
	s_cbranch_execz .LBB4_4799
; %bb.4366:                             ;   in Loop: Header=BB4_4231 Depth=2
	v_cmp_eq_u16_sdwa s43, v12, v85 src0_sel:BYTE_1 src1_sel:DWORD
	s_mov_b32 s13, -1
	s_and_saveexec_b32 s42, s43
; %bb.4367:                             ;   in Loop: Header=BB4_4231 Depth=2
	s_xor_b32 s13, exec_lo, -1
; %bb.4368:                             ;   in Loop: Header=BB4_4231 Depth=2
	s_or_b32 exec_lo, exec_lo, s42
	s_and_b32 s13, s13, exec_lo
	s_or_saveexec_b32 s41, s41
	v_mov_b32_e32 v10, 0x7f800001
	s_xor_b32 exec_lo, exec_lo, s41
	s_cbranch_execnz .LBB4_4800
.LBB4_4369:                             ;   in Loop: Header=BB4_4231 Depth=2
	s_or_b32 exec_lo, exec_lo, s41
	s_and_saveexec_b32 s41, s13
	s_cbranch_execz .LBB4_4371
.LBB4_4370:                             ;   in Loop: Header=BB4_4231 Depth=2
	v_and_b32_sdwa v10, v86, v12 dst_sel:DWORD dst_unused:UNUSED_PAD src0_sel:DWORD src1_sel:BYTE_1
	v_and_b32_e32 v11, 7, v10
	v_bfe_u32 v102, v10, 3, 4
	v_ffbh_u32_e32 v99, v11
	v_cmp_eq_u32_e32 vcc_lo, 0, v102
	v_min_u32_e32 v99, 32, v99
	v_subrev_nc_u32_e32 v100, 28, v99
	v_sub_nc_u32_e32 v99, 29, v99
	v_lshlrev_b32_e32 v10, v100, v10
	v_lshlrev_b32_sdwa v100, v87, v12 dst_sel:DWORD dst_unused:UNUSED_PAD src0_sel:DWORD src1_sel:BYTE_1
	v_cndmask_b32_e32 v99, v102, v99, vcc_lo
	v_and_b32_e32 v10, 7, v10
	v_lshl_add_u32 v99, v99, 23, 0x3b800000
	v_cndmask_b32_e32 v10, v11, v10, vcc_lo
	v_and_b32_e32 v11, 0x80000000, v100
	v_lshlrev_b32_e32 v10, 20, v10
	v_or3_b32 v10, v11, v99, v10
.LBB4_4371:                             ;   in Loop: Header=BB4_4231 Depth=2
	s_or_b32 exec_lo, exec_lo, s41
	v_mul_f32_e32 v10, s40, v10
	v_mov_b32_e32 v117, 0x8000
	s_mov_b32 s41, exec_lo
	v_and_b32_e32 v11, 0x7f800000, v10
	v_cmpx_ne_u32_e32 0x7f800000, v11
	s_cbranch_execz .LBB4_4379
; %bb.4372:                             ;   in Loop: Header=BB4_4231 Depth=2
	v_mov_b32_e32 v117, 0
	s_mov_b32 s42, exec_lo
	v_cmpx_ne_u32_e32 0, v10
	s_cbranch_execz .LBB4_4378
; %bb.4373:                             ;   in Loop: Header=BB4_4231 Depth=2
	v_bfe_u32 v11, v10, 23, 8
	v_and_b32_e32 v99, 0x7fffff, v10
	v_sub_nc_u32_e32 v100, 0x78, v11
	v_cmp_gt_u32_e32 vcc_lo, 0x79, v11
	v_or_b32_e32 v102, 0x800000, v99
	v_cndmask_b32_e32 v100, 0, v100, vcc_lo
	v_cmp_eq_u32_e32 vcc_lo, 0, v11
	v_add_nc_u32_e32 v11, 0xffffff89, v11
	v_cndmask_b32_e64 v100, v100, 0x77, vcc_lo
	v_cndmask_b32_e32 v99, v102, v99, vcc_lo
	v_cndmask_b32_e64 v11, v11, 0xffffff8a, vcc_lo
	v_lshl_add_u32 v102, 0x100000, v100, -1
	v_lshrrev_b32_e32 v103, v100, v99
	v_lshlrev_b32_e64 v115, v100, 0x80000
	v_add_nc_u32_e32 v100, v100, v11
	v_and_b32_e32 v99, v102, v99
	v_bfe_u32 v112, v103, 20, 1
	v_cmp_eq_u32_e64 s13, v99, v115
	v_add_nc_u32_e32 v102, -1, v112
	v_cndmask_b32_e64 v99, 0, v102, s13
	v_lshrrev_b32_e32 v102, 23, v103
	s_mov_b32 s13, exec_lo
	v_add_nc_u32_e32 v99, v99, v103
	v_xor_b32_e32 v102, 1, v102
	v_and_b32_e32 v11, 0xfffff, v99
	v_add_nc_u32_e32 v99, v11, v103
                                        ; implicit-def: $vgpr11
	v_cmpx_ne_u32_e64 v100, v102
	s_xor_b32 s13, exec_lo, s13
; %bb.4374:                             ;   in Loop: Header=BB4_4231 Depth=2
	v_cmp_lt_u32_e32 vcc_lo, 0xffffff, v99
	v_sub_nc_u32_e32 v11, v100, v102
	v_cndmask_b32_e64 v100, 0, 1, vcc_lo
	v_add_co_ci_u32_e64 v11, null, 0, v11, vcc_lo
	v_lshrrev_b32_e32 v99, v100, v99
; %bb.4375:                             ;   in Loop: Header=BB4_4231 Depth=2
	s_andn2_saveexec_b32 s13, s13
; %bb.4376:                             ;   in Loop: Header=BB4_4231 Depth=2
	v_bfe_u32 v11, v99, 23, 1
; %bb.4377:                             ;   in Loop: Header=BB4_4231 Depth=2
	s_or_b32 exec_lo, exec_lo, s13
	v_lshrrev_b32_e32 v99, 20, v99
	v_min_i32_e32 v100, 15, v11
	v_cmp_gt_i32_e32 vcc_lo, 16, v11
	v_and_b32_sdwa v10, v10, v85 dst_sel:DWORD dst_unused:UNUSED_PAD src0_sel:BYTE_3 src1_sel:DWORD
	v_lshlrev_b32_e32 v100, 3, v100
	v_cndmask_b32_e32 v99, 7, v99, vcc_lo
	v_and_b32_e32 v100, 0xf8, v100
	v_and_b32_e32 v102, 7, v99
	v_or_b32_e32 v11, v11, v99
	v_or3_b32 v10, v10, v100, v102
	v_cmp_ne_u32_e32 vcc_lo, 0, v11
	v_lshlrev_b32_e32 v10, 8, v10
	v_cndmask_b32_e32 v117, 0, v10, vcc_lo
.LBB4_4378:                             ;   in Loop: Header=BB4_4231 Depth=2
	s_or_b32 exec_lo, exec_lo, s42
.LBB4_4379:                             ;   in Loop: Header=BB4_4231 Depth=2
	s_or_b32 exec_lo, exec_lo, s41
	v_and_b32_sdwa v11, v12, v96 dst_sel:DWORD dst_unused:UNUSED_PAD src0_sel:WORD_1 src1_sel:DWORD
	s_mov_b32 s13, 0
	s_mov_b32 s41, exec_lo
	v_cmpx_lt_i16_e32 0x7f, v11
	s_xor_b32 s41, exec_lo, s41
	s_cbranch_execz .LBB4_4801
; %bb.4380:                             ;   in Loop: Header=BB4_4231 Depth=2
	s_mov_b32 s13, -1
	s_mov_b32 s42, exec_lo
	v_cmpx_eq_u16_e32 0x80, v11
; %bb.4381:                             ;   in Loop: Header=BB4_4231 Depth=2
	s_xor_b32 s13, exec_lo, -1
; %bb.4382:                             ;   in Loop: Header=BB4_4231 Depth=2
	s_or_b32 exec_lo, exec_lo, s42
	s_and_b32 s13, s13, exec_lo
                                        ; implicit-def: $vgpr11
	s_or_saveexec_b32 s41, s41
	v_mov_b32_e32 v10, 0x7f800001
	s_xor_b32 exec_lo, exec_lo, s41
	s_cbranch_execnz .LBB4_4802
.LBB4_4383:                             ;   in Loop: Header=BB4_4231 Depth=2
	s_or_b32 exec_lo, exec_lo, s41
	s_and_saveexec_b32 s41, s13
	s_cbranch_execz .LBB4_4385
.LBB4_4384:                             ;   in Loop: Header=BB4_4231 Depth=2
	v_bfe_u32 v10, v12, 16, 3
	v_bfe_u32 v100, v12, 19, 4
	v_lshlrev_b32_e32 v102, 8, v12
	v_ffbh_u32_e32 v11, v10
	v_cmp_eq_u32_e32 vcc_lo, 0, v100
	v_min_u32_e32 v11, 32, v11
	v_subrev_nc_u32_e32 v99, 28, v11
	v_sub_nc_u32_e32 v11, 29, v11
	v_lshlrev_b32_sdwa v99, v99, v12 dst_sel:DWORD dst_unused:UNUSED_PAD src0_sel:DWORD src1_sel:WORD_1
	v_cndmask_b32_e32 v11, v100, v11, vcc_lo
	v_and_b32_e32 v99, 7, v99
	v_lshl_add_u32 v11, v11, 23, 0x3b800000
	v_cndmask_b32_e32 v10, v10, v99, vcc_lo
	v_and_b32_e32 v99, 0x80000000, v102
	v_lshlrev_b32_e32 v10, 20, v10
	v_or3_b32 v10, v99, v11, v10
.LBB4_4385:                             ;   in Loop: Header=BB4_4231 Depth=2
	s_or_b32 exec_lo, exec_lo, s41
	v_mul_f32_e32 v10, s40, v10
	v_mov_b32_e32 v103, 0x80
	s_mov_b32 s41, exec_lo
	v_and_b32_e32 v11, 0x7f800000, v10
	v_cmpx_ne_u32_e32 0x7f800000, v11
	s_cbranch_execz .LBB4_4393
; %bb.4386:                             ;   in Loop: Header=BB4_4231 Depth=2
	v_mov_b32_e32 v103, 0
	s_mov_b32 s42, exec_lo
	v_cmpx_ne_u32_e32 0, v10
	s_cbranch_execz .LBB4_4392
; %bb.4387:                             ;   in Loop: Header=BB4_4231 Depth=2
	v_bfe_u32 v11, v10, 23, 8
	v_and_b32_e32 v99, 0x7fffff, v10
	v_sub_nc_u32_e32 v100, 0x78, v11
	v_cmp_gt_u32_e32 vcc_lo, 0x79, v11
	v_or_b32_e32 v102, 0x800000, v99
	v_cndmask_b32_e32 v100, 0, v100, vcc_lo
	v_cmp_eq_u32_e32 vcc_lo, 0, v11
	v_add_nc_u32_e32 v11, 0xffffff89, v11
	v_cndmask_b32_e64 v100, v100, 0x77, vcc_lo
	v_cndmask_b32_e32 v99, v102, v99, vcc_lo
	v_cndmask_b32_e64 v11, v11, 0xffffff8a, vcc_lo
	v_lshl_add_u32 v102, 0x100000, v100, -1
	v_lshrrev_b32_e32 v103, v100, v99
	v_lshlrev_b32_e64 v115, v100, 0x80000
	v_add_nc_u32_e32 v100, v100, v11
	v_and_b32_e32 v99, v102, v99
	v_bfe_u32 v112, v103, 20, 1
	v_cmp_eq_u32_e64 s13, v99, v115
	v_add_nc_u32_e32 v102, -1, v112
	v_cndmask_b32_e64 v99, 0, v102, s13
	v_lshrrev_b32_e32 v102, 23, v103
	s_mov_b32 s13, exec_lo
	v_add_nc_u32_e32 v99, v99, v103
	v_xor_b32_e32 v102, 1, v102
	v_and_b32_e32 v11, 0xfffff, v99
	v_add_nc_u32_e32 v99, v11, v103
                                        ; implicit-def: $vgpr11
	v_cmpx_ne_u32_e64 v100, v102
	s_xor_b32 s13, exec_lo, s13
; %bb.4388:                             ;   in Loop: Header=BB4_4231 Depth=2
	v_cmp_lt_u32_e32 vcc_lo, 0xffffff, v99
	v_sub_nc_u32_e32 v11, v100, v102
	v_cndmask_b32_e64 v100, 0, 1, vcc_lo
	v_add_co_ci_u32_e64 v11, null, 0, v11, vcc_lo
	v_lshrrev_b32_e32 v99, v100, v99
; %bb.4389:                             ;   in Loop: Header=BB4_4231 Depth=2
	s_andn2_saveexec_b32 s13, s13
; %bb.4390:                             ;   in Loop: Header=BB4_4231 Depth=2
	v_bfe_u32 v11, v99, 23, 1
; %bb.4391:                             ;   in Loop: Header=BB4_4231 Depth=2
	s_or_b32 exec_lo, exec_lo, s13
	v_lshrrev_b32_e32 v99, 20, v99
	v_min_i32_e32 v100, 15, v11
	v_cmp_gt_i32_e32 vcc_lo, 16, v11
	v_and_b32_sdwa v10, v10, v85 dst_sel:DWORD dst_unused:UNUSED_PAD src0_sel:BYTE_3 src1_sel:DWORD
	v_lshlrev_b32_e32 v100, 3, v100
	v_cndmask_b32_e32 v99, 7, v99, vcc_lo
	v_and_b32_e32 v100, 0xf8, v100
	v_and_b32_e32 v102, 7, v99
	v_or_b32_e32 v11, v11, v99
	v_or3_b32 v10, v100, v10, v102
	v_cmp_ne_u32_e32 vcc_lo, 0, v11
	v_cndmask_b32_e32 v103, 0, v10, vcc_lo
.LBB4_4392:                             ;   in Loop: Header=BB4_4231 Depth=2
	s_or_b32 exec_lo, exec_lo, s42
.LBB4_4393:                             ;   in Loop: Header=BB4_4231 Depth=2
	s_or_b32 exec_lo, exec_lo, s41
	v_cmp_gt_i16_sdwa s41, v12, v84 src0_sel:BYTE_3 src1_sel:DWORD
	s_mov_b32 s13, 0
	s_and_saveexec_b32 s42, s41
	s_xor_b32 s41, exec_lo, s42
	s_cbranch_execz .LBB4_4803
; %bb.4394:                             ;   in Loop: Header=BB4_4231 Depth=2
	v_cmp_eq_u16_sdwa s43, v12, v85 src0_sel:BYTE_3 src1_sel:DWORD
	s_mov_b32 s13, -1
	s_and_saveexec_b32 s42, s43
; %bb.4395:                             ;   in Loop: Header=BB4_4231 Depth=2
	s_xor_b32 s13, exec_lo, -1
; %bb.4396:                             ;   in Loop: Header=BB4_4231 Depth=2
	s_or_b32 exec_lo, exec_lo, s42
	s_and_b32 s13, s13, exec_lo
	s_or_saveexec_b32 s41, s41
	v_mov_b32_e32 v10, 0x7f800001
	s_xor_b32 exec_lo, exec_lo, s41
	s_cbranch_execnz .LBB4_4804
.LBB4_4397:                             ;   in Loop: Header=BB4_4231 Depth=2
	s_or_b32 exec_lo, exec_lo, s41
	s_and_saveexec_b32 s41, s13
	s_cbranch_execz .LBB4_4399
.LBB4_4398:                             ;   in Loop: Header=BB4_4231 Depth=2
	v_bfe_u32 v10, v12, 24, 3
	v_bfe_u32 v100, v12, 27, 4
	v_ffbh_u32_e32 v11, v10
	v_cmp_eq_u32_e32 vcc_lo, 0, v100
	v_min_u32_e32 v11, 32, v11
	v_subrev_nc_u32_e32 v99, 28, v11
	v_sub_nc_u32_e32 v11, 29, v11
	v_lshlrev_b32_sdwa v99, v99, v12 dst_sel:DWORD dst_unused:UNUSED_PAD src0_sel:DWORD src1_sel:BYTE_3
	v_cndmask_b32_e32 v11, v100, v11, vcc_lo
	v_and_b32_e32 v12, 0x80000000, v12
	v_and_b32_e32 v99, 7, v99
	v_lshl_add_u32 v11, v11, 23, 0x3b800000
	v_cndmask_b32_e32 v10, v10, v99, vcc_lo
	v_lshlrev_b32_e32 v10, 20, v10
	v_or3_b32 v10, v12, v11, v10
.LBB4_4399:                             ;   in Loop: Header=BB4_4231 Depth=2
	s_or_b32 exec_lo, exec_lo, s41
	v_mul_f32_e32 v10, s40, v10
	v_mov_b32_e32 v115, 0x8000
	s_mov_b32 s41, exec_lo
	v_and_b32_e32 v11, 0x7f800000, v10
	v_cmpx_ne_u32_e32 0x7f800000, v11
	s_cbranch_execz .LBB4_4407
; %bb.4400:                             ;   in Loop: Header=BB4_4231 Depth=2
	v_mov_b32_e32 v115, 0
	s_mov_b32 s42, exec_lo
	v_cmpx_ne_u32_e32 0, v10
	s_cbranch_execz .LBB4_4406
; %bb.4401:                             ;   in Loop: Header=BB4_4231 Depth=2
	v_bfe_u32 v11, v10, 23, 8
	v_and_b32_e32 v12, 0x7fffff, v10
	v_sub_nc_u32_e32 v99, 0x78, v11
	v_cmp_gt_u32_e32 vcc_lo, 0x79, v11
	v_or_b32_e32 v100, 0x800000, v12
	v_cndmask_b32_e32 v99, 0, v99, vcc_lo
	v_cmp_eq_u32_e32 vcc_lo, 0, v11
	v_add_nc_u32_e32 v11, 0xffffff89, v11
	v_cndmask_b32_e64 v99, v99, 0x77, vcc_lo
	v_cndmask_b32_e32 v12, v100, v12, vcc_lo
	v_cndmask_b32_e64 v11, v11, 0xffffff8a, vcc_lo
	v_lshl_add_u32 v100, 0x100000, v99, -1
	v_lshrrev_b32_e32 v102, v99, v12
	v_lshlrev_b32_e64 v115, v99, 0x80000
	v_add_nc_u32_e32 v99, v99, v11
	v_and_b32_e32 v12, v100, v12
	v_bfe_u32 v112, v102, 20, 1
	v_cmp_eq_u32_e64 s13, v12, v115
	v_add_nc_u32_e32 v100, -1, v112
	v_cndmask_b32_e64 v12, 0, v100, s13
	v_lshrrev_b32_e32 v100, 23, v102
	s_mov_b32 s13, exec_lo
	v_add_nc_u32_e32 v12, v12, v102
	v_xor_b32_e32 v100, 1, v100
	v_and_b32_e32 v11, 0xfffff, v12
	v_add_nc_u32_e32 v12, v11, v102
                                        ; implicit-def: $vgpr11
	v_cmpx_ne_u32_e64 v99, v100
	s_xor_b32 s13, exec_lo, s13
; %bb.4402:                             ;   in Loop: Header=BB4_4231 Depth=2
	v_cmp_lt_u32_e32 vcc_lo, 0xffffff, v12
	v_sub_nc_u32_e32 v11, v99, v100
	v_cndmask_b32_e64 v99, 0, 1, vcc_lo
	v_add_co_ci_u32_e64 v11, null, 0, v11, vcc_lo
	v_lshrrev_b32_e32 v12, v99, v12
; %bb.4403:                             ;   in Loop: Header=BB4_4231 Depth=2
	s_andn2_saveexec_b32 s13, s13
; %bb.4404:                             ;   in Loop: Header=BB4_4231 Depth=2
	v_bfe_u32 v11, v12, 23, 1
; %bb.4405:                             ;   in Loop: Header=BB4_4231 Depth=2
	s_or_b32 exec_lo, exec_lo, s13
	v_lshrrev_b32_e32 v12, 20, v12
	v_min_i32_e32 v99, 15, v11
	v_cmp_gt_i32_e32 vcc_lo, 16, v11
	v_and_b32_sdwa v10, v10, v85 dst_sel:DWORD dst_unused:UNUSED_PAD src0_sel:BYTE_3 src1_sel:DWORD
	v_lshlrev_b32_e32 v99, 3, v99
	v_cndmask_b32_e32 v12, 7, v12, vcc_lo
	v_and_b32_e32 v99, 0xf8, v99
	v_and_b32_e32 v100, 7, v12
	v_or_b32_e32 v11, v11, v12
	v_or3_b32 v10, v10, v99, v100
	v_cmp_ne_u32_e32 vcc_lo, 0, v11
	v_lshlrev_b32_e32 v10, 8, v10
	v_cndmask_b32_e32 v115, 0, v10, vcc_lo
.LBB4_4406:                             ;   in Loop: Header=BB4_4231 Depth=2
	s_or_b32 exec_lo, exec_lo, s42
.LBB4_4407:                             ;   in Loop: Header=BB4_4231 Depth=2
	s_or_b32 exec_lo, exec_lo, s41
	v_cmp_gt_i16_sdwa s41, v13, v84 src0_sel:BYTE_0 src1_sel:DWORD
	s_mov_b32 s13, 0
	s_and_saveexec_b32 s42, s41
	s_xor_b32 s41, exec_lo, s42
	s_cbranch_execz .LBB4_4805
; %bb.4408:                             ;   in Loop: Header=BB4_4231 Depth=2
	v_cmp_eq_u16_sdwa s43, v13, v85 src0_sel:BYTE_0 src1_sel:DWORD
	s_mov_b32 s13, -1
	s_and_saveexec_b32 s42, s43
; %bb.4409:                             ;   in Loop: Header=BB4_4231 Depth=2
	s_xor_b32 s13, exec_lo, -1
; %bb.4410:                             ;   in Loop: Header=BB4_4231 Depth=2
	s_or_b32 exec_lo, exec_lo, s42
	s_and_b32 s13, s13, exec_lo
	s_or_saveexec_b32 s41, s41
	v_mov_b32_e32 v10, 0x7f800001
	s_xor_b32 exec_lo, exec_lo, s41
	s_cbranch_execnz .LBB4_4806
.LBB4_4411:                             ;   in Loop: Header=BB4_4231 Depth=2
	s_or_b32 exec_lo, exec_lo, s41
	s_and_saveexec_b32 s41, s13
	s_cbranch_execz .LBB4_4413
.LBB4_4412:                             ;   in Loop: Header=BB4_4231 Depth=2
	v_and_b32_e32 v10, 7, v13
	v_bfe_u32 v99, v13, 3, 4
	v_lshlrev_b32_e32 v100, 24, v13
	v_ffbh_u32_e32 v11, v10
	v_cmp_eq_u32_e32 vcc_lo, 0, v99
	v_min_u32_e32 v11, 32, v11
	v_subrev_nc_u32_e32 v12, 28, v11
	v_sub_nc_u32_e32 v11, 29, v11
	v_lshlrev_b32_e32 v12, v12, v13
	v_cndmask_b32_e32 v11, v99, v11, vcc_lo
	v_and_b32_e32 v12, 7, v12
	v_lshl_add_u32 v11, v11, 23, 0x3b800000
	v_cndmask_b32_e32 v10, v10, v12, vcc_lo
	v_and_b32_e32 v12, 0x80000000, v100
	v_lshlrev_b32_e32 v10, 20, v10
	v_or3_b32 v10, v12, v11, v10
.LBB4_4413:                             ;   in Loop: Header=BB4_4231 Depth=2
	s_or_b32 exec_lo, exec_lo, s41
	v_mul_f32_e32 v10, s40, v10
	v_mov_b32_e32 v100, 0x80
	s_mov_b32 s41, exec_lo
	v_and_b32_e32 v11, 0x7f800000, v10
	v_cmpx_ne_u32_e32 0x7f800000, v11
	s_cbranch_execz .LBB4_4421
; %bb.4414:                             ;   in Loop: Header=BB4_4231 Depth=2
	v_mov_b32_e32 v100, 0
	s_mov_b32 s42, exec_lo
	v_cmpx_ne_u32_e32 0, v10
	s_cbranch_execz .LBB4_4420
; %bb.4415:                             ;   in Loop: Header=BB4_4231 Depth=2
	v_bfe_u32 v11, v10, 23, 8
	v_and_b32_e32 v12, 0x7fffff, v10
	v_sub_nc_u32_e32 v99, 0x78, v11
	v_cmp_gt_u32_e32 vcc_lo, 0x79, v11
	v_or_b32_e32 v100, 0x800000, v12
	v_cndmask_b32_e32 v99, 0, v99, vcc_lo
	v_cmp_eq_u32_e32 vcc_lo, 0, v11
	v_add_nc_u32_e32 v11, 0xffffff89, v11
	v_cndmask_b32_e64 v99, v99, 0x77, vcc_lo
	v_cndmask_b32_e32 v12, v100, v12, vcc_lo
	v_cndmask_b32_e64 v11, v11, 0xffffff8a, vcc_lo
	v_lshl_add_u32 v100, 0x100000, v99, -1
	v_lshrrev_b32_e32 v102, v99, v12
	v_lshlrev_b32_e64 v42, v99, 0x80000
	v_add_nc_u32_e32 v99, v99, v11
	v_and_b32_e32 v12, v100, v12
	v_bfe_u32 v112, v102, 20, 1
	v_cmp_eq_u32_e64 s13, v12, v42
	v_add_nc_u32_e32 v100, -1, v112
	v_cndmask_b32_e64 v12, 0, v100, s13
	v_lshrrev_b32_e32 v100, 23, v102
	s_mov_b32 s13, exec_lo
	v_add_nc_u32_e32 v12, v12, v102
	v_xor_b32_e32 v100, 1, v100
	v_and_b32_e32 v11, 0xfffff, v12
	v_add_nc_u32_e32 v12, v11, v102
                                        ; implicit-def: $vgpr11
	v_cmpx_ne_u32_e64 v99, v100
	s_xor_b32 s13, exec_lo, s13
; %bb.4416:                             ;   in Loop: Header=BB4_4231 Depth=2
	v_cmp_lt_u32_e32 vcc_lo, 0xffffff, v12
	v_sub_nc_u32_e32 v11, v99, v100
	v_cndmask_b32_e64 v99, 0, 1, vcc_lo
	v_add_co_ci_u32_e64 v11, null, 0, v11, vcc_lo
	v_lshrrev_b32_e32 v12, v99, v12
; %bb.4417:                             ;   in Loop: Header=BB4_4231 Depth=2
	s_andn2_saveexec_b32 s13, s13
; %bb.4418:                             ;   in Loop: Header=BB4_4231 Depth=2
	v_bfe_u32 v11, v12, 23, 1
; %bb.4419:                             ;   in Loop: Header=BB4_4231 Depth=2
	s_or_b32 exec_lo, exec_lo, s13
	v_lshrrev_b32_e32 v12, 20, v12
	v_min_i32_e32 v99, 15, v11
	v_cmp_gt_i32_e32 vcc_lo, 16, v11
	v_and_b32_sdwa v10, v10, v85 dst_sel:DWORD dst_unused:UNUSED_PAD src0_sel:BYTE_3 src1_sel:DWORD
	v_lshlrev_b32_e32 v99, 3, v99
	v_cndmask_b32_e32 v12, 7, v12, vcc_lo
	v_and_b32_e32 v99, 0xf8, v99
	v_and_b32_e32 v100, 7, v12
	v_or_b32_e32 v11, v11, v12
	v_or3_b32 v10, v99, v10, v100
	v_cmp_ne_u32_e32 vcc_lo, 0, v11
	v_cndmask_b32_e32 v100, 0, v10, vcc_lo
.LBB4_4420:                             ;   in Loop: Header=BB4_4231 Depth=2
	s_or_b32 exec_lo, exec_lo, s42
.LBB4_4421:                             ;   in Loop: Header=BB4_4231 Depth=2
	s_or_b32 exec_lo, exec_lo, s41
	v_cmp_gt_i16_sdwa s41, v13, v84 src0_sel:BYTE_1 src1_sel:DWORD
	s_mov_b32 s13, 0
	s_and_saveexec_b32 s42, s41
	s_xor_b32 s41, exec_lo, s42
	s_cbranch_execz .LBB4_4807
; %bb.4422:                             ;   in Loop: Header=BB4_4231 Depth=2
	v_cmp_eq_u16_sdwa s43, v13, v85 src0_sel:BYTE_1 src1_sel:DWORD
	s_mov_b32 s13, -1
	s_and_saveexec_b32 s42, s43
; %bb.4423:                             ;   in Loop: Header=BB4_4231 Depth=2
	s_xor_b32 s13, exec_lo, -1
; %bb.4424:                             ;   in Loop: Header=BB4_4231 Depth=2
	s_or_b32 exec_lo, exec_lo, s42
	s_and_b32 s13, s13, exec_lo
	s_or_saveexec_b32 s41, s41
	v_mov_b32_e32 v10, 0x7f800001
	s_xor_b32 exec_lo, exec_lo, s41
	s_cbranch_execnz .LBB4_4808
.LBB4_4425:                             ;   in Loop: Header=BB4_4231 Depth=2
	s_or_b32 exec_lo, exec_lo, s41
	s_and_saveexec_b32 s41, s13
	s_cbranch_execz .LBB4_4427
.LBB4_4426:                             ;   in Loop: Header=BB4_4231 Depth=2
	v_and_b32_sdwa v10, v86, v13 dst_sel:DWORD dst_unused:UNUSED_PAD src0_sel:DWORD src1_sel:BYTE_1
	v_and_b32_e32 v11, 7, v10
	v_bfe_u32 v102, v10, 3, 4
	v_ffbh_u32_e32 v12, v11
	v_cmp_eq_u32_e32 vcc_lo, 0, v102
	v_min_u32_e32 v12, 32, v12
	v_subrev_nc_u32_e32 v99, 28, v12
	v_sub_nc_u32_e32 v12, 29, v12
	v_lshlrev_b32_e32 v10, v99, v10
	v_lshlrev_b32_sdwa v99, v87, v13 dst_sel:DWORD dst_unused:UNUSED_PAD src0_sel:DWORD src1_sel:BYTE_1
	v_cndmask_b32_e32 v12, v102, v12, vcc_lo
	v_and_b32_e32 v10, 7, v10
	v_lshl_add_u32 v12, v12, 23, 0x3b800000
	v_cndmask_b32_e32 v10, v11, v10, vcc_lo
	v_and_b32_e32 v11, 0x80000000, v99
	v_lshlrev_b32_e32 v10, 20, v10
	v_or3_b32 v10, v11, v12, v10
.LBB4_4427:                             ;   in Loop: Header=BB4_4231 Depth=2
	s_or_b32 exec_lo, exec_lo, s41
	v_mul_f32_e32 v10, s40, v10
	v_mov_b32_e32 v112, 0x8000
	s_mov_b32 s41, exec_lo
	v_and_b32_e32 v11, 0x7f800000, v10
	v_cmpx_ne_u32_e32 0x7f800000, v11
	s_cbranch_execz .LBB4_4435
; %bb.4428:                             ;   in Loop: Header=BB4_4231 Depth=2
	v_mov_b32_e32 v112, 0
	s_mov_b32 s42, exec_lo
	v_cmpx_ne_u32_e32 0, v10
	s_cbranch_execz .LBB4_4434
; %bb.4429:                             ;   in Loop: Header=BB4_4231 Depth=2
	v_bfe_u32 v11, v10, 23, 8
	v_and_b32_e32 v12, 0x7fffff, v10
	v_sub_nc_u32_e32 v99, 0x78, v11
	v_cmp_gt_u32_e32 vcc_lo, 0x79, v11
	v_or_b32_e32 v102, 0x800000, v12
	v_cndmask_b32_e32 v99, 0, v99, vcc_lo
	v_cmp_eq_u32_e32 vcc_lo, 0, v11
	v_add_nc_u32_e32 v11, 0xffffff89, v11
	v_cndmask_b32_e64 v99, v99, 0x77, vcc_lo
	v_cndmask_b32_e32 v12, v102, v12, vcc_lo
	v_cndmask_b32_e64 v11, v11, 0xffffff8a, vcc_lo
	v_lshl_add_u32 v102, 0x100000, v99, -1
	v_lshrrev_b32_e32 v112, v99, v12
	v_lshlrev_b32_e64 v43, v99, 0x80000
	v_add_nc_u32_e32 v99, v99, v11
	v_and_b32_e32 v12, v102, v12
	v_bfe_u32 v42, v112, 20, 1
	v_cmp_eq_u32_e64 s13, v12, v43
	v_add_nc_u32_e32 v102, -1, v42
	v_cndmask_b32_e64 v12, 0, v102, s13
	v_lshrrev_b32_e32 v102, 23, v112
	s_mov_b32 s13, exec_lo
	v_add_nc_u32_e32 v12, v12, v112
	v_xor_b32_e32 v102, 1, v102
	v_and_b32_e32 v11, 0xfffff, v12
	v_add_nc_u32_e32 v12, v11, v112
                                        ; implicit-def: $vgpr11
	v_cmpx_ne_u32_e64 v99, v102
	s_xor_b32 s13, exec_lo, s13
; %bb.4430:                             ;   in Loop: Header=BB4_4231 Depth=2
	v_cmp_lt_u32_e32 vcc_lo, 0xffffff, v12
	v_sub_nc_u32_e32 v11, v99, v102
	v_cndmask_b32_e64 v99, 0, 1, vcc_lo
	v_add_co_ci_u32_e64 v11, null, 0, v11, vcc_lo
	v_lshrrev_b32_e32 v12, v99, v12
; %bb.4431:                             ;   in Loop: Header=BB4_4231 Depth=2
	s_andn2_saveexec_b32 s13, s13
; %bb.4432:                             ;   in Loop: Header=BB4_4231 Depth=2
	v_bfe_u32 v11, v12, 23, 1
; %bb.4433:                             ;   in Loop: Header=BB4_4231 Depth=2
	s_or_b32 exec_lo, exec_lo, s13
	v_lshrrev_b32_e32 v12, 20, v12
	v_min_i32_e32 v99, 15, v11
	v_cmp_gt_i32_e32 vcc_lo, 16, v11
	v_and_b32_sdwa v10, v10, v85 dst_sel:DWORD dst_unused:UNUSED_PAD src0_sel:BYTE_3 src1_sel:DWORD
	v_lshlrev_b32_e32 v99, 3, v99
	v_cndmask_b32_e32 v12, 7, v12, vcc_lo
	v_and_b32_e32 v99, 0xf8, v99
	v_and_b32_e32 v102, 7, v12
	v_or_b32_e32 v11, v11, v12
	v_or3_b32 v10, v10, v99, v102
	v_cmp_ne_u32_e32 vcc_lo, 0, v11
	v_lshlrev_b32_e32 v10, 8, v10
	v_cndmask_b32_e32 v112, 0, v10, vcc_lo
.LBB4_4434:                             ;   in Loop: Header=BB4_4231 Depth=2
	s_or_b32 exec_lo, exec_lo, s42
.LBB4_4435:                             ;   in Loop: Header=BB4_4231 Depth=2
	s_or_b32 exec_lo, exec_lo, s41
	v_and_b32_sdwa v11, v13, v96 dst_sel:DWORD dst_unused:UNUSED_PAD src0_sel:WORD_1 src1_sel:DWORD
	s_mov_b32 s13, 0
	s_mov_b32 s41, exec_lo
	v_cmpx_lt_i16_e32 0x7f, v11
	s_xor_b32 s41, exec_lo, s41
	s_cbranch_execz .LBB4_4809
; %bb.4436:                             ;   in Loop: Header=BB4_4231 Depth=2
	s_mov_b32 s13, -1
	s_mov_b32 s42, exec_lo
	v_cmpx_eq_u16_e32 0x80, v11
; %bb.4437:                             ;   in Loop: Header=BB4_4231 Depth=2
	s_xor_b32 s13, exec_lo, -1
; %bb.4438:                             ;   in Loop: Header=BB4_4231 Depth=2
	s_or_b32 exec_lo, exec_lo, s42
	s_and_b32 s13, s13, exec_lo
                                        ; implicit-def: $vgpr11
	s_or_saveexec_b32 s41, s41
	v_mov_b32_e32 v10, 0x7f800001
	s_xor_b32 exec_lo, exec_lo, s41
	s_cbranch_execnz .LBB4_4810
.LBB4_4439:                             ;   in Loop: Header=BB4_4231 Depth=2
	s_or_b32 exec_lo, exec_lo, s41
	s_and_saveexec_b32 s41, s13
	s_cbranch_execz .LBB4_4441
.LBB4_4440:                             ;   in Loop: Header=BB4_4231 Depth=2
	v_bfe_u32 v10, v13, 16, 3
	v_bfe_u32 v99, v13, 19, 4
	v_lshlrev_b32_e32 v102, 8, v13
	v_ffbh_u32_e32 v11, v10
	v_cmp_eq_u32_e32 vcc_lo, 0, v99
	v_min_u32_e32 v11, 32, v11
	v_subrev_nc_u32_e32 v12, 28, v11
	v_sub_nc_u32_e32 v11, 29, v11
	v_lshlrev_b32_sdwa v12, v12, v13 dst_sel:DWORD dst_unused:UNUSED_PAD src0_sel:DWORD src1_sel:WORD_1
	v_cndmask_b32_e32 v11, v99, v11, vcc_lo
	v_and_b32_e32 v12, 7, v12
	v_lshl_add_u32 v11, v11, 23, 0x3b800000
	v_cndmask_b32_e32 v10, v10, v12, vcc_lo
	v_and_b32_e32 v12, 0x80000000, v102
	v_lshlrev_b32_e32 v10, 20, v10
	v_or3_b32 v10, v12, v11, v10
.LBB4_4441:                             ;   in Loop: Header=BB4_4231 Depth=2
	s_or_b32 exec_lo, exec_lo, s41
	v_mul_f32_e32 v10, s40, v10
	v_mov_b32_e32 v99, 0x80
	s_mov_b32 s41, exec_lo
	v_and_b32_e32 v11, 0x7f800000, v10
	v_cmpx_ne_u32_e32 0x7f800000, v11
	s_cbranch_execz .LBB4_4449
; %bb.4442:                             ;   in Loop: Header=BB4_4231 Depth=2
	v_mov_b32_e32 v99, 0
	s_mov_b32 s42, exec_lo
	v_cmpx_ne_u32_e32 0, v10
	s_cbranch_execz .LBB4_4448
; %bb.4443:                             ;   in Loop: Header=BB4_4231 Depth=2
	v_bfe_u32 v11, v10, 23, 8
	v_and_b32_e32 v12, 0x7fffff, v10
	v_sub_nc_u32_e32 v99, 0x78, v11
	v_cmp_gt_u32_e32 vcc_lo, 0x79, v11
	v_or_b32_e32 v102, 0x800000, v12
	v_cndmask_b32_e32 v99, 0, v99, vcc_lo
	v_cmp_eq_u32_e32 vcc_lo, 0, v11
	v_add_nc_u32_e32 v11, 0xffffff89, v11
	v_cndmask_b32_e64 v99, v99, 0x77, vcc_lo
	v_cndmask_b32_e32 v12, v102, v12, vcc_lo
	v_cndmask_b32_e64 v11, v11, 0xffffff8a, vcc_lo
	v_lshl_add_u32 v102, 0x100000, v99, -1
	v_lshrrev_b32_e32 v42, v99, v12
	v_lshlrev_b32_e64 v44, v99, 0x80000
	v_add_nc_u32_e32 v99, v99, v11
	v_and_b32_e32 v12, v102, v12
	v_bfe_u32 v43, v42, 20, 1
	v_cmp_eq_u32_e64 s13, v12, v44
	v_add_nc_u32_e32 v102, -1, v43
	v_cndmask_b32_e64 v12, 0, v102, s13
	v_lshrrev_b32_e32 v102, 23, v42
	s_mov_b32 s13, exec_lo
	v_add_nc_u32_e32 v12, v12, v42
	v_xor_b32_e32 v102, 1, v102
	v_and_b32_e32 v11, 0xfffff, v12
	v_add_nc_u32_e32 v12, v11, v42
                                        ; implicit-def: $vgpr11
	v_cmpx_ne_u32_e64 v99, v102
	s_xor_b32 s13, exec_lo, s13
; %bb.4444:                             ;   in Loop: Header=BB4_4231 Depth=2
	v_cmp_lt_u32_e32 vcc_lo, 0xffffff, v12
	v_sub_nc_u32_e32 v11, v99, v102
	v_cndmask_b32_e64 v99, 0, 1, vcc_lo
	v_add_co_ci_u32_e64 v11, null, 0, v11, vcc_lo
	v_lshrrev_b32_e32 v12, v99, v12
; %bb.4445:                             ;   in Loop: Header=BB4_4231 Depth=2
	s_andn2_saveexec_b32 s13, s13
; %bb.4446:                             ;   in Loop: Header=BB4_4231 Depth=2
	v_bfe_u32 v11, v12, 23, 1
; %bb.4447:                             ;   in Loop: Header=BB4_4231 Depth=2
	s_or_b32 exec_lo, exec_lo, s13
	v_lshrrev_b32_e32 v12, 20, v12
	v_min_i32_e32 v99, 15, v11
	v_cmp_gt_i32_e32 vcc_lo, 16, v11
	v_and_b32_sdwa v10, v10, v85 dst_sel:DWORD dst_unused:UNUSED_PAD src0_sel:BYTE_3 src1_sel:DWORD
	v_lshlrev_b32_e32 v99, 3, v99
	v_cndmask_b32_e32 v12, 7, v12, vcc_lo
	v_and_b32_e32 v99, 0xf8, v99
	v_and_b32_e32 v102, 7, v12
	v_or_b32_e32 v11, v11, v12
	v_or3_b32 v10, v99, v10, v102
	v_cmp_ne_u32_e32 vcc_lo, 0, v11
	v_cndmask_b32_e32 v99, 0, v10, vcc_lo
.LBB4_4448:                             ;   in Loop: Header=BB4_4231 Depth=2
	s_or_b32 exec_lo, exec_lo, s42
.LBB4_4449:                             ;   in Loop: Header=BB4_4231 Depth=2
	s_or_b32 exec_lo, exec_lo, s41
	v_cmp_gt_i16_sdwa s41, v13, v84 src0_sel:BYTE_3 src1_sel:DWORD
	s_mov_b32 s13, 0
	s_and_saveexec_b32 s42, s41
	s_xor_b32 s41, exec_lo, s42
	s_cbranch_execz .LBB4_4811
; %bb.4450:                             ;   in Loop: Header=BB4_4231 Depth=2
	v_cmp_eq_u16_sdwa s43, v13, v85 src0_sel:BYTE_3 src1_sel:DWORD
	s_mov_b32 s13, -1
	s_and_saveexec_b32 s42, s43
; %bb.4451:                             ;   in Loop: Header=BB4_4231 Depth=2
	s_xor_b32 s13, exec_lo, -1
; %bb.4452:                             ;   in Loop: Header=BB4_4231 Depth=2
	s_or_b32 exec_lo, exec_lo, s42
	s_and_b32 s13, s13, exec_lo
	s_or_saveexec_b32 s41, s41
	v_mov_b32_e32 v10, 0x7f800001
	s_xor_b32 exec_lo, exec_lo, s41
	s_cbranch_execnz .LBB4_4812
.LBB4_4453:                             ;   in Loop: Header=BB4_4231 Depth=2
	s_or_b32 exec_lo, exec_lo, s41
	s_and_saveexec_b32 s41, s13
	s_cbranch_execz .LBB4_4455
.LBB4_4454:                             ;   in Loop: Header=BB4_4231 Depth=2
	v_bfe_u32 v10, v13, 24, 3
	v_bfe_u32 v102, v13, 27, 4
	v_ffbh_u32_e32 v11, v10
	v_cmp_eq_u32_e32 vcc_lo, 0, v102
	v_min_u32_e32 v11, 32, v11
	v_subrev_nc_u32_e32 v12, 28, v11
	v_sub_nc_u32_e32 v11, 29, v11
	v_lshlrev_b32_sdwa v12, v12, v13 dst_sel:DWORD dst_unused:UNUSED_PAD src0_sel:DWORD src1_sel:BYTE_3
	v_cndmask_b32_e32 v11, v102, v11, vcc_lo
	v_and_b32_e32 v12, 7, v12
	v_lshl_add_u32 v11, v11, 23, 0x3b800000
	v_cndmask_b32_e32 v10, v10, v12, vcc_lo
	v_and_b32_e32 v12, 0x80000000, v13
	v_lshlrev_b32_e32 v10, 20, v10
	v_or3_b32 v10, v12, v11, v10
.LBB4_4455:                             ;   in Loop: Header=BB4_4231 Depth=2
	s_or_b32 exec_lo, exec_lo, s41
	v_mul_f32_e32 v10, s40, v10
	v_mov_b32_e32 v102, 0x8000
	s_mov_b32 s40, exec_lo
	v_and_b32_e32 v11, 0x7f800000, v10
	v_cmpx_ne_u32_e32 0x7f800000, v11
	s_cbranch_execz .LBB4_4463
; %bb.4456:                             ;   in Loop: Header=BB4_4231 Depth=2
	v_mov_b32_e32 v102, 0
	s_mov_b32 s41, exec_lo
	v_cmpx_ne_u32_e32 0, v10
	s_cbranch_execz .LBB4_4462
; %bb.4457:                             ;   in Loop: Header=BB4_4231 Depth=2
	v_bfe_u32 v11, v10, 23, 8
	v_and_b32_e32 v12, 0x7fffff, v10
	v_sub_nc_u32_e32 v13, 0x78, v11
	v_cmp_gt_u32_e32 vcc_lo, 0x79, v11
	v_or_b32_e32 v102, 0x800000, v12
	v_cndmask_b32_e32 v13, 0, v13, vcc_lo
	v_cmp_eq_u32_e32 vcc_lo, 0, v11
	v_add_nc_u32_e32 v11, 0xffffff89, v11
	v_cndmask_b32_e64 v13, v13, 0x77, vcc_lo
	v_cndmask_b32_e32 v12, v102, v12, vcc_lo
	v_cndmask_b32_e64 v11, v11, 0xffffff8a, vcc_lo
	v_lshl_add_u32 v102, 0x100000, v13, -1
	v_lshrrev_b32_e32 v42, v13, v12
	v_lshlrev_b32_e64 v44, v13, 0x80000
	v_add_nc_u32_e32 v13, v13, v11
	v_and_b32_e32 v12, v102, v12
	v_bfe_u32 v43, v42, 20, 1
	v_cmp_eq_u32_e64 s13, v12, v44
	v_add_nc_u32_e32 v102, -1, v43
	v_cndmask_b32_e64 v12, 0, v102, s13
	v_lshrrev_b32_e32 v102, 23, v42
	s_mov_b32 s13, exec_lo
	v_add_nc_u32_e32 v12, v12, v42
	v_xor_b32_e32 v102, 1, v102
	v_and_b32_e32 v11, 0xfffff, v12
	v_add_nc_u32_e32 v12, v11, v42
                                        ; implicit-def: $vgpr11
	v_cmpx_ne_u32_e64 v13, v102
	s_xor_b32 s13, exec_lo, s13
; %bb.4458:                             ;   in Loop: Header=BB4_4231 Depth=2
	v_cmp_lt_u32_e32 vcc_lo, 0xffffff, v12
	v_sub_nc_u32_e32 v11, v13, v102
	v_cndmask_b32_e64 v13, 0, 1, vcc_lo
	v_add_co_ci_u32_e64 v11, null, 0, v11, vcc_lo
	v_lshrrev_b32_e32 v12, v13, v12
; %bb.4459:                             ;   in Loop: Header=BB4_4231 Depth=2
	s_andn2_saveexec_b32 s13, s13
; %bb.4460:                             ;   in Loop: Header=BB4_4231 Depth=2
	v_bfe_u32 v11, v12, 23, 1
; %bb.4461:                             ;   in Loop: Header=BB4_4231 Depth=2
	s_or_b32 exec_lo, exec_lo, s13
	v_lshrrev_b32_e32 v12, 20, v12
	v_min_i32_e32 v13, 15, v11
	v_cmp_gt_i32_e32 vcc_lo, 16, v11
	v_and_b32_sdwa v10, v10, v85 dst_sel:DWORD dst_unused:UNUSED_PAD src0_sel:BYTE_3 src1_sel:DWORD
	v_lshlrev_b32_e32 v13, 3, v13
	v_cndmask_b32_e32 v12, 7, v12, vcc_lo
	v_and_b32_e32 v13, 0xf8, v13
	v_and_b32_e32 v102, 7, v12
	v_or_b32_e32 v11, v11, v12
	v_or3_b32 v10, v10, v13, v102
	v_cmp_ne_u32_e32 vcc_lo, 0, v11
	v_lshlrev_b32_e32 v10, 8, v10
	v_cndmask_b32_e32 v102, 0, v10, vcc_lo
.LBB4_4462:                             ;   in Loop: Header=BB4_4231 Depth=2
	s_or_b32 exec_lo, exec_lo, s41
.LBB4_4463:                             ;   in Loop: Header=BB4_4231 Depth=2
	s_or_b32 exec_lo, exec_lo, s40
	global_load_dwordx4 v[10:13], v[52:53], off slc
	v_or_b32_e32 v42, v101, v98
	s_mov_b32 s13, 0
	v_cmp_gt_i16_sdwa s40, v42, v84 src0_sel:BYTE_0 src1_sel:DWORD
	s_and_saveexec_b32 s41, s40
	s_xor_b32 s40, exec_lo, s41
	s_cbranch_execz .LBB4_4813
; %bb.4464:                             ;   in Loop: Header=BB4_4231 Depth=2
	v_cmp_eq_u16_sdwa s42, v42, v85 src0_sel:BYTE_0 src1_sel:DWORD
	s_mov_b32 s13, -1
	s_and_saveexec_b32 s41, s42
; %bb.4465:                             ;   in Loop: Header=BB4_4231 Depth=2
	s_xor_b32 s13, exec_lo, -1
; %bb.4466:                             ;   in Loop: Header=BB4_4231 Depth=2
	s_or_b32 exec_lo, exec_lo, s41
	s_and_b32 s13, s13, exec_lo
	s_or_saveexec_b32 s40, s40
	v_mov_b32_e32 v98, 0x7f800001
	s_xor_b32 exec_lo, exec_lo, s40
	s_cbranch_execnz .LBB4_4814
.LBB4_4467:                             ;   in Loop: Header=BB4_4231 Depth=2
	s_or_b32 exec_lo, exec_lo, s40
	s_and_saveexec_b32 s40, s13
	s_cbranch_execz .LBB4_4469
.LBB4_4468:                             ;   in Loop: Header=BB4_4231 Depth=2
	v_and_b32_e32 v98, 7, v42
	v_bfe_u32 v44, v42, 3, 4
	v_lshlrev_b32_e32 v45, 24, v42
	v_ffbh_u32_e32 v101, v98
	v_cmp_eq_u32_e32 vcc_lo, 0, v44
	v_min_u32_e32 v101, 32, v101
	v_subrev_nc_u32_e32 v43, 28, v101
	v_sub_nc_u32_e32 v101, 29, v101
	v_lshlrev_b32_e32 v43, v43, v42
	v_cndmask_b32_e32 v101, v44, v101, vcc_lo
	v_and_b32_e32 v43, 7, v43
	v_lshl_add_u32 v101, v101, 23, 0x3b800000
	v_cndmask_b32_e32 v98, v98, v43, vcc_lo
	v_and_b32_e32 v43, 0x80000000, v45
	v_lshlrev_b32_e32 v98, 20, v98
	v_or3_b32 v98, v43, v101, v98
.LBB4_4469:                             ;   in Loop: Header=BB4_4231 Depth=2
	s_or_b32 exec_lo, exec_lo, s40
	s_waitcnt vmcnt(0)
	v_cmp_gt_i16_sdwa s40, v10, v84 src0_sel:BYTE_0 src1_sel:DWORD
	s_mov_b32 s13, 0
	s_and_saveexec_b32 s41, s40
	s_xor_b32 s40, exec_lo, s41
	s_cbranch_execz .LBB4_4815
; %bb.4470:                             ;   in Loop: Header=BB4_4231 Depth=2
	v_cmp_eq_u16_sdwa s42, v10, v85 src0_sel:BYTE_0 src1_sel:DWORD
	s_mov_b32 s13, -1
	s_and_saveexec_b32 s41, s42
; %bb.4471:                             ;   in Loop: Header=BB4_4231 Depth=2
	s_xor_b32 s13, exec_lo, -1
; %bb.4472:                             ;   in Loop: Header=BB4_4231 Depth=2
	s_or_b32 exec_lo, exec_lo, s41
	s_and_b32 s13, s13, exec_lo
	s_or_saveexec_b32 s40, s40
	v_mov_b32_e32 v101, 0x7f800001
	s_xor_b32 exec_lo, exec_lo, s40
	s_cbranch_execnz .LBB4_4816
.LBB4_4473:                             ;   in Loop: Header=BB4_4231 Depth=2
	s_or_b32 exec_lo, exec_lo, s40
	s_and_saveexec_b32 s40, s13
	s_cbranch_execz .LBB4_4475
.LBB4_4474:                             ;   in Loop: Header=BB4_4231 Depth=2
	v_and_b32_e32 v101, 7, v10
	v_bfe_u32 v45, v10, 3, 4
	v_lshlrev_b32_e32 v46, 24, v10
	v_ffbh_u32_e32 v43, v101
	v_cmp_eq_u32_e32 vcc_lo, 0, v45
	v_min_u32_e32 v43, 32, v43
	v_subrev_nc_u32_e32 v44, 28, v43
	v_sub_nc_u32_e32 v43, 29, v43
	v_lshlrev_b32_e32 v44, v44, v10
	v_cndmask_b32_e32 v43, v45, v43, vcc_lo
	v_and_b32_e32 v44, 7, v44
	v_lshl_add_u32 v43, v43, 23, 0x3b800000
	v_cndmask_b32_e32 v101, v101, v44, vcc_lo
	v_and_b32_e32 v44, 0x80000000, v46
	v_lshlrev_b32_e32 v101, 20, v101
	v_or3_b32 v101, v44, v43, v101
.LBB4_4475:                             ;   in Loop: Header=BB4_4231 Depth=2
	s_or_b32 exec_lo, exec_lo, s40
	v_add_f32_e32 v101, v98, v101
	v_and_b32_e32 v98, 0x7f800000, v101
	v_cmp_ne_u32_e32 vcc_lo, 0x7f800000, v98
	v_mov_b32_e32 v98, 0x80
	s_and_saveexec_b32 s40, vcc_lo
	s_cbranch_execz .LBB4_4483
; %bb.4476:                             ;   in Loop: Header=BB4_4231 Depth=2
	v_mov_b32_e32 v98, 0
	s_mov_b32 s41, exec_lo
	v_cmpx_ne_u32_e32 0, v101
	s_cbranch_execz .LBB4_4482
; %bb.4477:                             ;   in Loop: Header=BB4_4231 Depth=2
	v_bfe_u32 v98, v101, 23, 8
	v_and_b32_e32 v43, 0x7fffff, v101
	v_sub_nc_u32_e32 v44, 0x78, v98
	v_cmp_gt_u32_e32 vcc_lo, 0x79, v98
	v_or_b32_e32 v45, 0x800000, v43
	v_cndmask_b32_e32 v44, 0, v44, vcc_lo
	v_cmp_eq_u32_e32 vcc_lo, 0, v98
	v_add_nc_u32_e32 v98, 0xffffff89, v98
	v_cndmask_b32_e64 v44, v44, 0x77, vcc_lo
	v_cndmask_b32_e32 v43, v45, v43, vcc_lo
	v_cndmask_b32_e64 v98, v98, 0xffffff8a, vcc_lo
	v_lshl_add_u32 v45, 0x100000, v44, -1
	v_lshrrev_b32_e32 v46, v44, v43
	v_lshlrev_b32_e64 v56, v44, 0x80000
	v_add_nc_u32_e32 v44, v44, v98
	v_and_b32_e32 v43, v45, v43
	v_bfe_u32 v47, v46, 20, 1
	v_cmp_eq_u32_e64 s13, v43, v56
	v_add_nc_u32_e32 v45, -1, v47
	v_cndmask_b32_e64 v43, 0, v45, s13
	v_lshrrev_b32_e32 v45, 23, v46
	s_mov_b32 s13, exec_lo
	v_add_nc_u32_e32 v43, v43, v46
	v_xor_b32_e32 v45, 1, v45
	v_and_b32_e32 v98, 0xfffff, v43
	v_add_nc_u32_e32 v43, v98, v46
                                        ; implicit-def: $vgpr98
	v_cmpx_ne_u32_e64 v44, v45
	s_xor_b32 s13, exec_lo, s13
; %bb.4478:                             ;   in Loop: Header=BB4_4231 Depth=2
	v_cmp_lt_u32_e32 vcc_lo, 0xffffff, v43
	v_sub_nc_u32_e32 v98, v44, v45
	v_cndmask_b32_e64 v44, 0, 1, vcc_lo
	v_add_co_ci_u32_e64 v98, null, 0, v98, vcc_lo
	v_lshrrev_b32_e32 v43, v44, v43
; %bb.4479:                             ;   in Loop: Header=BB4_4231 Depth=2
	s_andn2_saveexec_b32 s13, s13
; %bb.4480:                             ;   in Loop: Header=BB4_4231 Depth=2
	v_bfe_u32 v98, v43, 23, 1
; %bb.4481:                             ;   in Loop: Header=BB4_4231 Depth=2
	s_or_b32 exec_lo, exec_lo, s13
	v_lshrrev_b32_e32 v43, 20, v43
	v_min_i32_e32 v44, 15, v98
	v_cmp_gt_i32_e32 vcc_lo, 16, v98
	v_and_b32_sdwa v101, v101, v85 dst_sel:DWORD dst_unused:UNUSED_PAD src0_sel:BYTE_3 src1_sel:DWORD
	v_lshlrev_b32_e32 v44, 3, v44
	v_cndmask_b32_e32 v43, 7, v43, vcc_lo
	v_and_b32_e32 v44, 0xf8, v44
	v_and_b32_e32 v45, 7, v43
	v_or_b32_e32 v98, v98, v43
	v_or3_b32 v101, v44, v101, v45
	v_cmp_ne_u32_e32 vcc_lo, 0, v98
	v_cndmask_b32_e32 v98, 0, v101, vcc_lo
.LBB4_4482:                             ;   in Loop: Header=BB4_4231 Depth=2
	s_or_b32 exec_lo, exec_lo, s41
.LBB4_4483:                             ;   in Loop: Header=BB4_4231 Depth=2
	s_or_b32 exec_lo, exec_lo, s40
	v_cmp_gt_i16_sdwa s40, v42, v84 src0_sel:BYTE_1 src1_sel:DWORD
	s_mov_b32 s13, 0
	s_and_saveexec_b32 s41, s40
	s_xor_b32 s40, exec_lo, s41
	s_cbranch_execz .LBB4_4817
; %bb.4484:                             ;   in Loop: Header=BB4_4231 Depth=2
	v_cmp_eq_u16_sdwa s42, v42, v85 src0_sel:BYTE_1 src1_sel:DWORD
	s_mov_b32 s13, -1
	s_and_saveexec_b32 s41, s42
; %bb.4485:                             ;   in Loop: Header=BB4_4231 Depth=2
	s_xor_b32 s13, exec_lo, -1
; %bb.4486:                             ;   in Loop: Header=BB4_4231 Depth=2
	s_or_b32 exec_lo, exec_lo, s41
	s_and_b32 s13, s13, exec_lo
	s_or_saveexec_b32 s40, s40
	v_mov_b32_e32 v101, 0x7f800001
	s_xor_b32 exec_lo, exec_lo, s40
	s_cbranch_execnz .LBB4_4818
.LBB4_4487:                             ;   in Loop: Header=BB4_4231 Depth=2
	s_or_b32 exec_lo, exec_lo, s40
	s_and_saveexec_b32 s40, s13
	s_cbranch_execz .LBB4_4489
.LBB4_4488:                             ;   in Loop: Header=BB4_4231 Depth=2
	v_and_b32_sdwa v101, v86, v42 dst_sel:DWORD dst_unused:UNUSED_PAD src0_sel:DWORD src1_sel:BYTE_1
	v_and_b32_e32 v43, 7, v101
	v_bfe_u32 v46, v101, 3, 4
	v_ffbh_u32_e32 v44, v43
	v_cmp_eq_u32_e32 vcc_lo, 0, v46
	v_min_u32_e32 v44, 32, v44
	v_subrev_nc_u32_e32 v45, 28, v44
	v_sub_nc_u32_e32 v44, 29, v44
	v_lshlrev_b32_e32 v101, v45, v101
	v_lshlrev_b32_sdwa v45, v87, v42 dst_sel:DWORD dst_unused:UNUSED_PAD src0_sel:DWORD src1_sel:BYTE_1
	v_cndmask_b32_e32 v44, v46, v44, vcc_lo
	v_and_b32_e32 v101, 7, v101
	v_lshl_add_u32 v44, v44, 23, 0x3b800000
	v_cndmask_b32_e32 v101, v43, v101, vcc_lo
	v_and_b32_e32 v43, 0x80000000, v45
	v_lshlrev_b32_e32 v101, 20, v101
	v_or3_b32 v101, v43, v44, v101
.LBB4_4489:                             ;   in Loop: Header=BB4_4231 Depth=2
	s_or_b32 exec_lo, exec_lo, s40
	v_cmp_gt_i16_sdwa s40, v10, v84 src0_sel:BYTE_1 src1_sel:DWORD
	s_mov_b32 s13, 0
	s_and_saveexec_b32 s41, s40
	s_xor_b32 s40, exec_lo, s41
	s_cbranch_execz .LBB4_4819
; %bb.4490:                             ;   in Loop: Header=BB4_4231 Depth=2
	v_cmp_eq_u16_sdwa s42, v10, v85 src0_sel:BYTE_1 src1_sel:DWORD
	s_mov_b32 s13, -1
	s_and_saveexec_b32 s41, s42
; %bb.4491:                             ;   in Loop: Header=BB4_4231 Depth=2
	s_xor_b32 s13, exec_lo, -1
; %bb.4492:                             ;   in Loop: Header=BB4_4231 Depth=2
	s_or_b32 exec_lo, exec_lo, s41
	s_and_b32 s13, s13, exec_lo
	s_or_saveexec_b32 s40, s40
	v_mov_b32_e32 v43, 0x7f800001
	s_xor_b32 exec_lo, exec_lo, s40
	s_cbranch_execnz .LBB4_4820
.LBB4_4493:                             ;   in Loop: Header=BB4_4231 Depth=2
	s_or_b32 exec_lo, exec_lo, s40
	s_and_saveexec_b32 s40, s13
	s_cbranch_execz .LBB4_4495
.LBB4_4494:                             ;   in Loop: Header=BB4_4231 Depth=2
	v_and_b32_sdwa v43, v86, v10 dst_sel:DWORD dst_unused:UNUSED_PAD src0_sel:DWORD src1_sel:BYTE_1
	v_and_b32_e32 v44, 7, v43
	v_bfe_u32 v47, v43, 3, 4
	v_ffbh_u32_e32 v45, v44
	v_cmp_eq_u32_e32 vcc_lo, 0, v47
	v_min_u32_e32 v45, 32, v45
	v_subrev_nc_u32_e32 v46, 28, v45
	v_sub_nc_u32_e32 v45, 29, v45
	v_lshlrev_b32_e32 v43, v46, v43
	v_lshlrev_b32_sdwa v46, v87, v10 dst_sel:DWORD dst_unused:UNUSED_PAD src0_sel:DWORD src1_sel:BYTE_1
	v_cndmask_b32_e32 v45, v47, v45, vcc_lo
	v_and_b32_e32 v43, 7, v43
	v_lshl_add_u32 v45, v45, 23, 0x3b800000
	v_cndmask_b32_e32 v43, v44, v43, vcc_lo
	v_and_b32_e32 v44, 0x80000000, v46
	v_lshlrev_b32_e32 v43, 20, v43
	v_or3_b32 v43, v44, v45, v43
.LBB4_4495:                             ;   in Loop: Header=BB4_4231 Depth=2
	s_or_b32 exec_lo, exec_lo, s40
	v_add_f32_e32 v43, v101, v43
	v_and_b32_e32 v101, 0x7f800000, v43
	v_cmp_ne_u32_e32 vcc_lo, 0x7f800000, v101
	v_mov_b32_e32 v101, 0x8000
	s_and_saveexec_b32 s40, vcc_lo
	s_cbranch_execz .LBB4_4503
; %bb.4496:                             ;   in Loop: Header=BB4_4231 Depth=2
	v_mov_b32_e32 v101, 0
	s_mov_b32 s41, exec_lo
	v_cmpx_ne_u32_e32 0, v43
	s_cbranch_execz .LBB4_4502
; %bb.4497:                             ;   in Loop: Header=BB4_4231 Depth=2
	v_bfe_u32 v101, v43, 23, 8
	v_and_b32_e32 v44, 0x7fffff, v43
	v_sub_nc_u32_e32 v45, 0x78, v101
	v_cmp_gt_u32_e32 vcc_lo, 0x79, v101
	v_or_b32_e32 v46, 0x800000, v44
	v_cndmask_b32_e32 v45, 0, v45, vcc_lo
	v_cmp_eq_u32_e32 vcc_lo, 0, v101
	v_add_nc_u32_e32 v101, 0xffffff89, v101
	v_cndmask_b32_e64 v45, v45, 0x77, vcc_lo
	v_cndmask_b32_e32 v44, v46, v44, vcc_lo
	v_cndmask_b32_e64 v101, v101, 0xffffff8a, vcc_lo
	v_lshl_add_u32 v46, 0x100000, v45, -1
	v_lshrrev_b32_e32 v47, v45, v44
	v_lshlrev_b32_e64 v57, v45, 0x80000
	v_add_nc_u32_e32 v45, v45, v101
	v_and_b32_e32 v44, v46, v44
	v_bfe_u32 v56, v47, 20, 1
	v_cmp_eq_u32_e64 s13, v44, v57
	v_add_nc_u32_e32 v46, -1, v56
	v_cndmask_b32_e64 v44, 0, v46, s13
	v_lshrrev_b32_e32 v46, 23, v47
	s_mov_b32 s13, exec_lo
	v_add_nc_u32_e32 v44, v44, v47
	v_xor_b32_e32 v46, 1, v46
	v_and_b32_e32 v101, 0xfffff, v44
	v_add_nc_u32_e32 v44, v101, v47
                                        ; implicit-def: $vgpr101
	v_cmpx_ne_u32_e64 v45, v46
	s_xor_b32 s13, exec_lo, s13
; %bb.4498:                             ;   in Loop: Header=BB4_4231 Depth=2
	v_cmp_lt_u32_e32 vcc_lo, 0xffffff, v44
	v_sub_nc_u32_e32 v101, v45, v46
	v_cndmask_b32_e64 v45, 0, 1, vcc_lo
	v_add_co_ci_u32_e64 v101, null, 0, v101, vcc_lo
	v_lshrrev_b32_e32 v44, v45, v44
; %bb.4499:                             ;   in Loop: Header=BB4_4231 Depth=2
	s_andn2_saveexec_b32 s13, s13
; %bb.4500:                             ;   in Loop: Header=BB4_4231 Depth=2
	v_bfe_u32 v101, v44, 23, 1
; %bb.4501:                             ;   in Loop: Header=BB4_4231 Depth=2
	s_or_b32 exec_lo, exec_lo, s13
	v_lshrrev_b32_e32 v44, 20, v44
	v_min_i32_e32 v45, 15, v101
	v_cmp_gt_i32_e32 vcc_lo, 16, v101
	v_and_b32_sdwa v43, v43, v85 dst_sel:DWORD dst_unused:UNUSED_PAD src0_sel:BYTE_3 src1_sel:DWORD
	v_lshlrev_b32_e32 v45, 3, v45
	v_cndmask_b32_e32 v44, 7, v44, vcc_lo
	v_and_b32_e32 v45, 0xf8, v45
	v_and_b32_e32 v46, 7, v44
	v_or_b32_e32 v101, v101, v44
	v_or3_b32 v43, v43, v45, v46
	v_cmp_ne_u32_e32 vcc_lo, 0, v101
	v_lshlrev_b32_e32 v43, 8, v43
	v_cndmask_b32_e32 v101, 0, v43, vcc_lo
.LBB4_4502:                             ;   in Loop: Header=BB4_4231 Depth=2
	s_or_b32 exec_lo, exec_lo, s41
.LBB4_4503:                             ;   in Loop: Header=BB4_4231 Depth=2
	s_or_b32 exec_lo, exec_lo, s40
	v_or_b32_e32 v41, v41, v114
	s_mov_b32 s13, 0
	v_cmp_gt_i16_sdwa s40, v41, v84 src0_sel:BYTE_0 src1_sel:DWORD
	s_and_saveexec_b32 s41, s40
	s_xor_b32 s40, exec_lo, s41
	s_cbranch_execz .LBB4_4821
; %bb.4504:                             ;   in Loop: Header=BB4_4231 Depth=2
	v_cmp_eq_u16_sdwa s42, v41, v85 src0_sel:BYTE_0 src1_sel:DWORD
	s_mov_b32 s13, -1
	s_and_saveexec_b32 s41, s42
; %bb.4505:                             ;   in Loop: Header=BB4_4231 Depth=2
	s_xor_b32 s13, exec_lo, -1
; %bb.4506:                             ;   in Loop: Header=BB4_4231 Depth=2
	s_or_b32 exec_lo, exec_lo, s41
	s_and_b32 s13, s13, exec_lo
	s_or_saveexec_b32 s40, s40
	v_mov_b32_e32 v114, 0x7f800001
	s_xor_b32 exec_lo, exec_lo, s40
	s_cbranch_execnz .LBB4_4822
.LBB4_4507:                             ;   in Loop: Header=BB4_4231 Depth=2
	s_or_b32 exec_lo, exec_lo, s40
	v_lshl_or_b32 v41, v41, 16, v42
	s_and_saveexec_b32 s40, s13
	s_cbranch_execz .LBB4_4509
.LBB4_4508:                             ;   in Loop: Header=BB4_4231 Depth=2
	v_bfe_u32 v114, v41, 16, 3
	v_bfe_u32 v44, v41, 19, 4
	v_lshlrev_b32_e32 v45, 8, v41
	v_ffbh_u32_e32 v42, v114
	v_cmp_eq_u32_e32 vcc_lo, 0, v44
	v_min_u32_e32 v42, 32, v42
	v_subrev_nc_u32_e32 v43, 28, v42
	v_sub_nc_u32_e32 v42, 29, v42
	v_lshlrev_b32_sdwa v43, v43, v41 dst_sel:DWORD dst_unused:UNUSED_PAD src0_sel:DWORD src1_sel:WORD_1
	v_cndmask_b32_e32 v42, v44, v42, vcc_lo
	v_and_b32_e32 v43, 7, v43
	v_lshl_add_u32 v42, v42, 23, 0x3b800000
	v_cndmask_b32_e32 v114, v114, v43, vcc_lo
	v_and_b32_e32 v43, 0x80000000, v45
	v_lshlrev_b32_e32 v114, 20, v114
	v_or3_b32 v114, v43, v42, v114
.LBB4_4509:                             ;   in Loop: Header=BB4_4231 Depth=2
	s_or_b32 exec_lo, exec_lo, s40
	v_and_b32_sdwa v43, v10, v96 dst_sel:DWORD dst_unused:UNUSED_PAD src0_sel:WORD_1 src1_sel:DWORD
	s_mov_b32 s13, 0
	s_mov_b32 s40, exec_lo
	v_cmpx_lt_i16_e32 0x7f, v43
	s_xor_b32 s40, exec_lo, s40
	s_cbranch_execz .LBB4_4823
; %bb.4510:                             ;   in Loop: Header=BB4_4231 Depth=2
	s_mov_b32 s13, -1
	s_mov_b32 s41, exec_lo
	v_cmpx_eq_u16_e32 0x80, v43
; %bb.4511:                             ;   in Loop: Header=BB4_4231 Depth=2
	s_xor_b32 s13, exec_lo, -1
; %bb.4512:                             ;   in Loop: Header=BB4_4231 Depth=2
	s_or_b32 exec_lo, exec_lo, s41
	s_and_b32 s13, s13, exec_lo
                                        ; implicit-def: $vgpr43
	s_or_saveexec_b32 s40, s40
	v_mov_b32_e32 v42, 0x7f800001
	s_xor_b32 exec_lo, exec_lo, s40
	s_cbranch_execnz .LBB4_4824
.LBB4_4513:                             ;   in Loop: Header=BB4_4231 Depth=2
	s_or_b32 exec_lo, exec_lo, s40
	s_and_saveexec_b32 s40, s13
	s_cbranch_execz .LBB4_4515
.LBB4_4514:                             ;   in Loop: Header=BB4_4231 Depth=2
	v_and_b32_sdwa v42, v10, v97 dst_sel:DWORD dst_unused:UNUSED_PAD src0_sel:WORD_1 src1_sel:DWORD
	v_bfe_u32 v45, v10, 19, 4
	v_lshlrev_b32_sdwa v46, v87, v10 dst_sel:DWORD dst_unused:UNUSED_PAD src0_sel:DWORD src1_sel:WORD_1
	v_ffbh_u32_e32 v43, v42
	v_cmp_eq_u32_e32 vcc_lo, 0, v45
	v_min_u32_e32 v43, 32, v43
	v_subrev_nc_u32_e32 v44, 28, v43
	v_sub_nc_u32_e32 v43, 29, v43
	v_lshlrev_b32_sdwa v44, v44, v10 dst_sel:DWORD dst_unused:UNUSED_PAD src0_sel:DWORD src1_sel:WORD_1
	v_cndmask_b32_e32 v43, v45, v43, vcc_lo
	v_and_b32_e32 v44, 7, v44
	v_lshl_add_u32 v43, v43, 23, 0x3b800000
	v_cndmask_b32_e32 v42, v42, v44, vcc_lo
	v_and_b32_e32 v44, 0x80000000, v46
	v_lshlrev_b32_e32 v42, 20, v42
	v_or3_b32 v42, v44, v43, v42
.LBB4_4515:                             ;   in Loop: Header=BB4_4231 Depth=2
	s_or_b32 exec_lo, exec_lo, s40
	v_add_f32_e32 v42, v114, v42
	v_and_b32_e32 v114, 0x7f800000, v42
	v_cmp_ne_u32_e32 vcc_lo, 0x7f800000, v114
	v_mov_b32_e32 v114, 0x80
	s_and_saveexec_b32 s40, vcc_lo
	s_cbranch_execz .LBB4_4523
; %bb.4516:                             ;   in Loop: Header=BB4_4231 Depth=2
	v_mov_b32_e32 v114, 0
	s_mov_b32 s41, exec_lo
	v_cmpx_ne_u32_e32 0, v42
	s_cbranch_execz .LBB4_4522
; %bb.4517:                             ;   in Loop: Header=BB4_4231 Depth=2
	v_bfe_u32 v114, v42, 23, 8
	v_and_b32_e32 v43, 0x7fffff, v42
	v_sub_nc_u32_e32 v44, 0x78, v114
	v_cmp_gt_u32_e32 vcc_lo, 0x79, v114
	v_or_b32_e32 v45, 0x800000, v43
	v_cndmask_b32_e32 v44, 0, v44, vcc_lo
	v_cmp_eq_u32_e32 vcc_lo, 0, v114
	v_add_nc_u32_e32 v114, 0xffffff89, v114
	v_cndmask_b32_e64 v44, v44, 0x77, vcc_lo
	v_cndmask_b32_e32 v43, v45, v43, vcc_lo
	v_cndmask_b32_e64 v114, v114, 0xffffff8a, vcc_lo
	v_lshl_add_u32 v45, 0x100000, v44, -1
	v_lshrrev_b32_e32 v46, v44, v43
	v_lshlrev_b32_e64 v56, v44, 0x80000
	v_add_nc_u32_e32 v44, v44, v114
	v_and_b32_e32 v43, v45, v43
	v_bfe_u32 v47, v46, 20, 1
	v_cmp_eq_u32_e64 s13, v43, v56
	v_add_nc_u32_e32 v45, -1, v47
	v_cndmask_b32_e64 v43, 0, v45, s13
	v_lshrrev_b32_e32 v45, 23, v46
	s_mov_b32 s13, exec_lo
	v_add_nc_u32_e32 v43, v43, v46
	v_xor_b32_e32 v45, 1, v45
	v_and_b32_e32 v114, 0xfffff, v43
	v_add_nc_u32_e32 v43, v114, v46
                                        ; implicit-def: $vgpr114
	v_cmpx_ne_u32_e64 v44, v45
	s_xor_b32 s13, exec_lo, s13
; %bb.4518:                             ;   in Loop: Header=BB4_4231 Depth=2
	v_cmp_lt_u32_e32 vcc_lo, 0xffffff, v43
	v_sub_nc_u32_e32 v114, v44, v45
	v_cndmask_b32_e64 v44, 0, 1, vcc_lo
	v_add_co_ci_u32_e64 v114, null, 0, v114, vcc_lo
	v_lshrrev_b32_e32 v43, v44, v43
; %bb.4519:                             ;   in Loop: Header=BB4_4231 Depth=2
	s_andn2_saveexec_b32 s13, s13
; %bb.4520:                             ;   in Loop: Header=BB4_4231 Depth=2
	v_bfe_u32 v114, v43, 23, 1
; %bb.4521:                             ;   in Loop: Header=BB4_4231 Depth=2
	s_or_b32 exec_lo, exec_lo, s13
	v_lshrrev_b32_e32 v43, 20, v43
	v_min_i32_e32 v44, 15, v114
	v_cmp_gt_i32_e32 vcc_lo, 16, v114
	v_and_b32_sdwa v42, v42, v85 dst_sel:DWORD dst_unused:UNUSED_PAD src0_sel:BYTE_3 src1_sel:DWORD
	v_lshlrev_b32_e32 v44, 3, v44
	v_cndmask_b32_e32 v43, 7, v43, vcc_lo
	v_and_b32_e32 v44, 0xf8, v44
	v_and_b32_e32 v45, 7, v43
	v_or_b32_e32 v114, v114, v43
	v_or3_b32 v42, v44, v42, v45
	v_cmp_ne_u32_e32 vcc_lo, 0, v114
	v_cndmask_b32_e32 v114, 0, v42, vcc_lo
.LBB4_4522:                             ;   in Loop: Header=BB4_4231 Depth=2
	s_or_b32 exec_lo, exec_lo, s41
.LBB4_4523:                             ;   in Loop: Header=BB4_4231 Depth=2
	s_or_b32 exec_lo, exec_lo, s40
	v_cmp_gt_i16_sdwa s40, v41, v84 src0_sel:BYTE_3 src1_sel:DWORD
	s_mov_b32 s13, 0
	s_and_saveexec_b32 s41, s40
	s_xor_b32 s40, exec_lo, s41
	s_cbranch_execz .LBB4_4825
; %bb.4524:                             ;   in Loop: Header=BB4_4231 Depth=2
	v_cmp_eq_u16_sdwa s42, v41, v85 src0_sel:BYTE_3 src1_sel:DWORD
	s_mov_b32 s13, -1
	s_and_saveexec_b32 s41, s42
; %bb.4525:                             ;   in Loop: Header=BB4_4231 Depth=2
	s_xor_b32 s13, exec_lo, -1
; %bb.4526:                             ;   in Loop: Header=BB4_4231 Depth=2
	s_or_b32 exec_lo, exec_lo, s41
	s_and_b32 s13, s13, exec_lo
	s_or_saveexec_b32 s40, s40
	v_mov_b32_e32 v42, 0x7f800001
	s_xor_b32 exec_lo, exec_lo, s40
	s_cbranch_execnz .LBB4_4826
.LBB4_4527:                             ;   in Loop: Header=BB4_4231 Depth=2
	s_or_b32 exec_lo, exec_lo, s40
	s_and_saveexec_b32 s40, s13
	s_cbranch_execz .LBB4_4529
.LBB4_4528:                             ;   in Loop: Header=BB4_4231 Depth=2
	v_bfe_u32 v42, v41, 24, 3
	v_bfe_u32 v45, v41, 27, 4
	v_ffbh_u32_e32 v43, v42
	v_cmp_eq_u32_e32 vcc_lo, 0, v45
	v_min_u32_e32 v43, 32, v43
	v_subrev_nc_u32_e32 v44, 28, v43
	v_sub_nc_u32_e32 v43, 29, v43
	v_lshlrev_b32_sdwa v44, v44, v41 dst_sel:DWORD dst_unused:UNUSED_PAD src0_sel:DWORD src1_sel:BYTE_3
	v_cndmask_b32_e32 v43, v45, v43, vcc_lo
	v_and_b32_e32 v41, 0x80000000, v41
	v_and_b32_e32 v44, 7, v44
	v_lshl_add_u32 v43, v43, 23, 0x3b800000
	v_cndmask_b32_e32 v42, v42, v44, vcc_lo
	v_lshlrev_b32_e32 v42, 20, v42
	v_or3_b32 v42, v41, v43, v42
.LBB4_4529:                             ;   in Loop: Header=BB4_4231 Depth=2
	s_or_b32 exec_lo, exec_lo, s40
	v_cmp_gt_i16_sdwa s40, v10, v84 src0_sel:BYTE_3 src1_sel:DWORD
	s_mov_b32 s13, 0
	s_and_saveexec_b32 s41, s40
	s_xor_b32 s40, exec_lo, s41
	s_cbranch_execz .LBB4_4827
; %bb.4530:                             ;   in Loop: Header=BB4_4231 Depth=2
	v_cmp_eq_u16_sdwa s42, v10, v85 src0_sel:BYTE_3 src1_sel:DWORD
	s_mov_b32 s13, -1
	s_and_saveexec_b32 s41, s42
; %bb.4531:                             ;   in Loop: Header=BB4_4231 Depth=2
	s_xor_b32 s13, exec_lo, -1
; %bb.4532:                             ;   in Loop: Header=BB4_4231 Depth=2
	s_or_b32 exec_lo, exec_lo, s41
	s_and_b32 s13, s13, exec_lo
	s_or_saveexec_b32 s40, s40
	v_mov_b32_e32 v41, 0x7f800001
	s_xor_b32 exec_lo, exec_lo, s40
	s_cbranch_execnz .LBB4_4828
.LBB4_4533:                             ;   in Loop: Header=BB4_4231 Depth=2
	s_or_b32 exec_lo, exec_lo, s40
	s_and_saveexec_b32 s40, s13
	s_cbranch_execz .LBB4_4535
.LBB4_4534:                             ;   in Loop: Header=BB4_4231 Depth=2
	v_and_b32_sdwa v41, v10, v97 dst_sel:DWORD dst_unused:UNUSED_PAD src0_sel:BYTE_3 src1_sel:DWORD
	v_bfe_u32 v45, v10, 27, 4
	v_ffbh_u32_e32 v43, v41
	v_cmp_eq_u32_e32 vcc_lo, 0, v45
	v_min_u32_e32 v43, 32, v43
	v_subrev_nc_u32_e32 v44, 28, v43
	v_sub_nc_u32_e32 v43, 29, v43
	v_lshlrev_b32_sdwa v44, v44, v10 dst_sel:DWORD dst_unused:UNUSED_PAD src0_sel:DWORD src1_sel:BYTE_3
	v_cndmask_b32_e32 v43, v45, v43, vcc_lo
	v_and_b32_e32 v10, 0x80000000, v10
	v_and_b32_e32 v44, 7, v44
	v_lshl_add_u32 v43, v43, 23, 0x3b800000
	v_cndmask_b32_e32 v41, v41, v44, vcc_lo
	v_lshlrev_b32_e32 v41, 20, v41
	v_or3_b32 v41, v10, v43, v41
.LBB4_4535:                             ;   in Loop: Header=BB4_4231 Depth=2
	s_or_b32 exec_lo, exec_lo, s40
	v_add_f32_e32 v41, v42, v41
	v_and_b32_e32 v10, 0x7f800000, v41
	v_cmp_ne_u32_e32 vcc_lo, 0x7f800000, v10
	v_mov_b32_e32 v10, 0x8000
	s_and_saveexec_b32 s40, vcc_lo
	s_cbranch_execz .LBB4_4543
; %bb.4536:                             ;   in Loop: Header=BB4_4231 Depth=2
	v_mov_b32_e32 v10, 0
	s_mov_b32 s41, exec_lo
	v_cmpx_ne_u32_e32 0, v41
	s_cbranch_execz .LBB4_4542
; %bb.4537:                             ;   in Loop: Header=BB4_4231 Depth=2
	v_bfe_u32 v10, v41, 23, 8
	v_and_b32_e32 v42, 0x7fffff, v41
	v_sub_nc_u32_e32 v43, 0x78, v10
	v_cmp_gt_u32_e32 vcc_lo, 0x79, v10
	v_or_b32_e32 v44, 0x800000, v42
	v_cndmask_b32_e32 v43, 0, v43, vcc_lo
	v_cmp_eq_u32_e32 vcc_lo, 0, v10
	v_add_nc_u32_e32 v10, 0xffffff89, v10
	v_cndmask_b32_e64 v43, v43, 0x77, vcc_lo
	v_cndmask_b32_e32 v42, v44, v42, vcc_lo
	v_cndmask_b32_e64 v10, v10, 0xffffff8a, vcc_lo
	v_lshl_add_u32 v44, 0x100000, v43, -1
	v_lshrrev_b32_e32 v45, v43, v42
	v_lshlrev_b32_e64 v47, v43, 0x80000
	v_add_nc_u32_e32 v43, v43, v10
	v_and_b32_e32 v42, v44, v42
	v_bfe_u32 v46, v45, 20, 1
	v_cmp_eq_u32_e64 s13, v42, v47
	v_add_nc_u32_e32 v44, -1, v46
	v_cndmask_b32_e64 v42, 0, v44, s13
	v_lshrrev_b32_e32 v44, 23, v45
	s_mov_b32 s13, exec_lo
	v_add_nc_u32_e32 v42, v42, v45
	v_xor_b32_e32 v44, 1, v44
	v_and_b32_e32 v10, 0xfffff, v42
	v_add_nc_u32_e32 v42, v10, v45
                                        ; implicit-def: $vgpr10
	v_cmpx_ne_u32_e64 v43, v44
	s_xor_b32 s13, exec_lo, s13
; %bb.4538:                             ;   in Loop: Header=BB4_4231 Depth=2
	v_cmp_lt_u32_e32 vcc_lo, 0xffffff, v42
	v_sub_nc_u32_e32 v10, v43, v44
	v_cndmask_b32_e64 v43, 0, 1, vcc_lo
	v_add_co_ci_u32_e64 v10, null, 0, v10, vcc_lo
	v_lshrrev_b32_e32 v42, v43, v42
; %bb.4539:                             ;   in Loop: Header=BB4_4231 Depth=2
	s_andn2_saveexec_b32 s13, s13
; %bb.4540:                             ;   in Loop: Header=BB4_4231 Depth=2
	v_bfe_u32 v10, v42, 23, 1
; %bb.4541:                             ;   in Loop: Header=BB4_4231 Depth=2
	s_or_b32 exec_lo, exec_lo, s13
	v_lshrrev_b32_e32 v42, 20, v42
	v_min_i32_e32 v43, 15, v10
	v_cmp_gt_i32_e32 vcc_lo, 16, v10
	v_and_b32_sdwa v41, v41, v85 dst_sel:DWORD dst_unused:UNUSED_PAD src0_sel:BYTE_3 src1_sel:DWORD
	v_lshlrev_b32_e32 v43, 3, v43
	v_cndmask_b32_e32 v42, 7, v42, vcc_lo
	v_and_b32_e32 v43, 0xf8, v43
	v_and_b32_e32 v44, 7, v42
	v_or_b32_e32 v10, v10, v42
	v_or3_b32 v41, v41, v43, v44
	v_cmp_ne_u32_e32 vcc_lo, 0, v10
	v_lshlrev_b32_e32 v41, 8, v41
	v_cndmask_b32_e32 v10, 0, v41, vcc_lo
.LBB4_4542:                             ;   in Loop: Header=BB4_4231 Depth=2
	s_or_b32 exec_lo, exec_lo, s41
.LBB4_4543:                             ;   in Loop: Header=BB4_4231 Depth=2
	s_or_b32 exec_lo, exec_lo, s40
	v_or_b32_e32 v41, v40, v118
	s_mov_b32 s13, 0
	v_cmp_gt_i16_sdwa s40, v41, v84 src0_sel:BYTE_0 src1_sel:DWORD
	s_and_saveexec_b32 s41, s40
	s_xor_b32 s40, exec_lo, s41
	s_cbranch_execz .LBB4_4829
; %bb.4544:                             ;   in Loop: Header=BB4_4231 Depth=2
	v_cmp_eq_u16_sdwa s42, v41, v85 src0_sel:BYTE_0 src1_sel:DWORD
	s_mov_b32 s13, -1
	s_and_saveexec_b32 s41, s42
; %bb.4545:                             ;   in Loop: Header=BB4_4231 Depth=2
	s_xor_b32 s13, exec_lo, -1
; %bb.4546:                             ;   in Loop: Header=BB4_4231 Depth=2
	s_or_b32 exec_lo, exec_lo, s41
	s_and_b32 s13, s13, exec_lo
	s_or_saveexec_b32 s40, s40
	v_mov_b32_e32 v118, 0x7f800001
	s_xor_b32 exec_lo, exec_lo, s40
	s_cbranch_execnz .LBB4_4830
.LBB4_4547:                             ;   in Loop: Header=BB4_4231 Depth=2
	s_or_b32 exec_lo, exec_lo, s40
	s_and_saveexec_b32 s40, s13
	s_cbranch_execz .LBB4_4549
.LBB4_4548:                             ;   in Loop: Header=BB4_4231 Depth=2
	v_and_b32_e32 v118, 7, v41
	v_bfe_u32 v43, v41, 3, 4
	v_lshlrev_b32_e32 v44, 24, v41
	v_ffbh_u32_e32 v40, v118
	v_cmp_eq_u32_e32 vcc_lo, 0, v43
	v_min_u32_e32 v40, 32, v40
	v_subrev_nc_u32_e32 v42, 28, v40
	v_sub_nc_u32_e32 v40, 29, v40
	v_lshlrev_b32_e32 v42, v42, v41
	v_cndmask_b32_e32 v40, v43, v40, vcc_lo
	v_and_b32_e32 v42, 7, v42
	v_lshl_add_u32 v40, v40, 23, 0x3b800000
	v_cndmask_b32_e32 v118, v118, v42, vcc_lo
	v_and_b32_e32 v42, 0x80000000, v44
	v_lshlrev_b32_e32 v118, 20, v118
	v_or3_b32 v118, v42, v40, v118
.LBB4_4549:                             ;   in Loop: Header=BB4_4231 Depth=2
	s_or_b32 exec_lo, exec_lo, s40
	v_cmp_gt_i16_sdwa s40, v11, v84 src0_sel:BYTE_0 src1_sel:DWORD
	s_mov_b32 s13, 0
	s_and_saveexec_b32 s41, s40
	s_xor_b32 s40, exec_lo, s41
	s_cbranch_execz .LBB4_4831
; %bb.4550:                             ;   in Loop: Header=BB4_4231 Depth=2
	v_cmp_eq_u16_sdwa s42, v11, v85 src0_sel:BYTE_0 src1_sel:DWORD
	s_mov_b32 s13, -1
	s_and_saveexec_b32 s41, s42
; %bb.4551:                             ;   in Loop: Header=BB4_4231 Depth=2
	s_xor_b32 s13, exec_lo, -1
; %bb.4552:                             ;   in Loop: Header=BB4_4231 Depth=2
	s_or_b32 exec_lo, exec_lo, s41
	s_and_b32 s13, s13, exec_lo
	s_or_saveexec_b32 s40, s40
	v_mov_b32_e32 v40, 0x7f800001
	s_xor_b32 exec_lo, exec_lo, s40
	s_cbranch_execnz .LBB4_4832
.LBB4_4553:                             ;   in Loop: Header=BB4_4231 Depth=2
	s_or_b32 exec_lo, exec_lo, s40
	s_and_saveexec_b32 s40, s13
	s_cbranch_execz .LBB4_4555
.LBB4_4554:                             ;   in Loop: Header=BB4_4231 Depth=2
	v_and_b32_e32 v40, 7, v11
	v_bfe_u32 v44, v11, 3, 4
	v_lshlrev_b32_e32 v45, 24, v11
	v_ffbh_u32_e32 v42, v40
	v_cmp_eq_u32_e32 vcc_lo, 0, v44
	v_min_u32_e32 v42, 32, v42
	v_subrev_nc_u32_e32 v43, 28, v42
	v_sub_nc_u32_e32 v42, 29, v42
	v_lshlrev_b32_e32 v43, v43, v11
	v_cndmask_b32_e32 v42, v44, v42, vcc_lo
	v_and_b32_e32 v43, 7, v43
	v_lshl_add_u32 v42, v42, 23, 0x3b800000
	v_cndmask_b32_e32 v40, v40, v43, vcc_lo
	v_and_b32_e32 v43, 0x80000000, v45
	v_lshlrev_b32_e32 v40, 20, v40
	v_or3_b32 v40, v43, v42, v40
.LBB4_4555:                             ;   in Loop: Header=BB4_4231 Depth=2
	s_or_b32 exec_lo, exec_lo, s40
	v_add_f32_e32 v40, v118, v40
	v_and_b32_e32 v118, 0x7f800000, v40
	v_cmp_ne_u32_e32 vcc_lo, 0x7f800000, v118
	v_mov_b32_e32 v118, 0x80
	s_and_saveexec_b32 s40, vcc_lo
	s_cbranch_execz .LBB4_4563
; %bb.4556:                             ;   in Loop: Header=BB4_4231 Depth=2
	v_mov_b32_e32 v118, 0
	s_mov_b32 s41, exec_lo
	v_cmpx_ne_u32_e32 0, v40
	s_cbranch_execz .LBB4_4562
; %bb.4557:                             ;   in Loop: Header=BB4_4231 Depth=2
	v_bfe_u32 v118, v40, 23, 8
	v_and_b32_e32 v42, 0x7fffff, v40
	v_sub_nc_u32_e32 v43, 0x78, v118
	v_cmp_gt_u32_e32 vcc_lo, 0x79, v118
	v_or_b32_e32 v44, 0x800000, v42
	v_cndmask_b32_e32 v43, 0, v43, vcc_lo
	v_cmp_eq_u32_e32 vcc_lo, 0, v118
	v_add_nc_u32_e32 v118, 0xffffff89, v118
	v_cndmask_b32_e64 v43, v43, 0x77, vcc_lo
	v_cndmask_b32_e32 v42, v44, v42, vcc_lo
	v_cndmask_b32_e64 v118, v118, 0xffffff8a, vcc_lo
	v_lshl_add_u32 v44, 0x100000, v43, -1
	v_lshrrev_b32_e32 v45, v43, v42
	v_lshlrev_b32_e64 v47, v43, 0x80000
	v_add_nc_u32_e32 v43, v43, v118
	v_and_b32_e32 v42, v44, v42
	v_bfe_u32 v46, v45, 20, 1
	v_cmp_eq_u32_e64 s13, v42, v47
	v_add_nc_u32_e32 v44, -1, v46
	v_cndmask_b32_e64 v42, 0, v44, s13
	v_lshrrev_b32_e32 v44, 23, v45
	s_mov_b32 s13, exec_lo
	v_add_nc_u32_e32 v42, v42, v45
	v_xor_b32_e32 v44, 1, v44
	v_and_b32_e32 v118, 0xfffff, v42
	v_add_nc_u32_e32 v42, v118, v45
                                        ; implicit-def: $vgpr118
	v_cmpx_ne_u32_e64 v43, v44
	s_xor_b32 s13, exec_lo, s13
; %bb.4558:                             ;   in Loop: Header=BB4_4231 Depth=2
	v_cmp_lt_u32_e32 vcc_lo, 0xffffff, v42
	v_sub_nc_u32_e32 v118, v43, v44
	v_cndmask_b32_e64 v43, 0, 1, vcc_lo
	v_add_co_ci_u32_e64 v118, null, 0, v118, vcc_lo
	v_lshrrev_b32_e32 v42, v43, v42
; %bb.4559:                             ;   in Loop: Header=BB4_4231 Depth=2
	s_andn2_saveexec_b32 s13, s13
; %bb.4560:                             ;   in Loop: Header=BB4_4231 Depth=2
	v_bfe_u32 v118, v42, 23, 1
; %bb.4561:                             ;   in Loop: Header=BB4_4231 Depth=2
	s_or_b32 exec_lo, exec_lo, s13
	v_lshrrev_b32_e32 v42, 20, v42
	v_min_i32_e32 v43, 15, v118
	v_cmp_gt_i32_e32 vcc_lo, 16, v118
	v_and_b32_sdwa v40, v40, v85 dst_sel:DWORD dst_unused:UNUSED_PAD src0_sel:BYTE_3 src1_sel:DWORD
	v_lshlrev_b32_e32 v43, 3, v43
	v_cndmask_b32_e32 v42, 7, v42, vcc_lo
	v_and_b32_e32 v43, 0xf8, v43
	v_and_b32_e32 v44, 7, v42
	v_or_b32_e32 v118, v118, v42
	v_or3_b32 v40, v43, v40, v44
	v_cmp_ne_u32_e32 vcc_lo, 0, v118
	v_cndmask_b32_e32 v118, 0, v40, vcc_lo
.LBB4_4562:                             ;   in Loop: Header=BB4_4231 Depth=2
	s_or_b32 exec_lo, exec_lo, s41
.LBB4_4563:                             ;   in Loop: Header=BB4_4231 Depth=2
	s_or_b32 exec_lo, exec_lo, s40
	v_cmp_gt_i16_sdwa s40, v41, v84 src0_sel:BYTE_1 src1_sel:DWORD
	s_mov_b32 s13, 0
	s_and_saveexec_b32 s41, s40
	s_xor_b32 s40, exec_lo, s41
	s_cbranch_execz .LBB4_4833
; %bb.4564:                             ;   in Loop: Header=BB4_4231 Depth=2
	v_cmp_eq_u16_sdwa s42, v41, v85 src0_sel:BYTE_1 src1_sel:DWORD
	s_mov_b32 s13, -1
	s_and_saveexec_b32 s41, s42
; %bb.4565:                             ;   in Loop: Header=BB4_4231 Depth=2
	s_xor_b32 s13, exec_lo, -1
; %bb.4566:                             ;   in Loop: Header=BB4_4231 Depth=2
	s_or_b32 exec_lo, exec_lo, s41
	s_and_b32 s13, s13, exec_lo
	s_or_saveexec_b32 s40, s40
	v_mov_b32_e32 v40, 0x7f800001
	s_xor_b32 exec_lo, exec_lo, s40
	s_cbranch_execnz .LBB4_4834
.LBB4_4567:                             ;   in Loop: Header=BB4_4231 Depth=2
	s_or_b32 exec_lo, exec_lo, s40
	s_and_saveexec_b32 s40, s13
	s_cbranch_execz .LBB4_4569
.LBB4_4568:                             ;   in Loop: Header=BB4_4231 Depth=2
	v_and_b32_sdwa v40, v86, v41 dst_sel:DWORD dst_unused:UNUSED_PAD src0_sel:DWORD src1_sel:BYTE_1
	v_and_b32_e32 v42, 7, v40
	v_bfe_u32 v45, v40, 3, 4
	v_ffbh_u32_e32 v43, v42
	v_cmp_eq_u32_e32 vcc_lo, 0, v45
	v_min_u32_e32 v43, 32, v43
	v_subrev_nc_u32_e32 v44, 28, v43
	v_sub_nc_u32_e32 v43, 29, v43
	v_lshlrev_b32_e32 v40, v44, v40
	v_lshlrev_b32_sdwa v44, v87, v41 dst_sel:DWORD dst_unused:UNUSED_PAD src0_sel:DWORD src1_sel:BYTE_1
	v_cndmask_b32_e32 v43, v45, v43, vcc_lo
	v_and_b32_e32 v40, 7, v40
	v_lshl_add_u32 v43, v43, 23, 0x3b800000
	v_cndmask_b32_e32 v40, v42, v40, vcc_lo
	v_and_b32_e32 v42, 0x80000000, v44
	v_lshlrev_b32_e32 v40, 20, v40
	v_or3_b32 v40, v42, v43, v40
.LBB4_4569:                             ;   in Loop: Header=BB4_4231 Depth=2
	s_or_b32 exec_lo, exec_lo, s40
	v_cmp_gt_i16_sdwa s40, v11, v84 src0_sel:BYTE_1 src1_sel:DWORD
	s_mov_b32 s13, 0
	s_and_saveexec_b32 s41, s40
	s_xor_b32 s40, exec_lo, s41
	s_cbranch_execz .LBB4_4835
; %bb.4570:                             ;   in Loop: Header=BB4_4231 Depth=2
	v_cmp_eq_u16_sdwa s42, v11, v85 src0_sel:BYTE_1 src1_sel:DWORD
	s_mov_b32 s13, -1
	s_and_saveexec_b32 s41, s42
; %bb.4571:                             ;   in Loop: Header=BB4_4231 Depth=2
	s_xor_b32 s13, exec_lo, -1
; %bb.4572:                             ;   in Loop: Header=BB4_4231 Depth=2
	s_or_b32 exec_lo, exec_lo, s41
	s_and_b32 s13, s13, exec_lo
	s_or_saveexec_b32 s40, s40
	v_mov_b32_e32 v42, 0x7f800001
	s_xor_b32 exec_lo, exec_lo, s40
	s_cbranch_execnz .LBB4_4836
.LBB4_4573:                             ;   in Loop: Header=BB4_4231 Depth=2
	s_or_b32 exec_lo, exec_lo, s40
	s_and_saveexec_b32 s40, s13
	s_cbranch_execz .LBB4_4575
.LBB4_4574:                             ;   in Loop: Header=BB4_4231 Depth=2
	v_and_b32_sdwa v42, v86, v11 dst_sel:DWORD dst_unused:UNUSED_PAD src0_sel:DWORD src1_sel:BYTE_1
	v_and_b32_e32 v43, 7, v42
	v_bfe_u32 v46, v42, 3, 4
	v_ffbh_u32_e32 v44, v43
	v_cmp_eq_u32_e32 vcc_lo, 0, v46
	v_min_u32_e32 v44, 32, v44
	v_subrev_nc_u32_e32 v45, 28, v44
	v_sub_nc_u32_e32 v44, 29, v44
	v_lshlrev_b32_e32 v42, v45, v42
	v_lshlrev_b32_sdwa v45, v87, v11 dst_sel:DWORD dst_unused:UNUSED_PAD src0_sel:DWORD src1_sel:BYTE_1
	v_cndmask_b32_e32 v44, v46, v44, vcc_lo
	v_and_b32_e32 v42, 7, v42
	v_lshl_add_u32 v44, v44, 23, 0x3b800000
	v_cndmask_b32_e32 v42, v43, v42, vcc_lo
	v_and_b32_e32 v43, 0x80000000, v45
	v_lshlrev_b32_e32 v42, 20, v42
	v_or3_b32 v42, v43, v44, v42
.LBB4_4575:                             ;   in Loop: Header=BB4_4231 Depth=2
	s_or_b32 exec_lo, exec_lo, s40
	v_add_f32_e32 v42, v40, v42
	v_and_b32_e32 v40, 0x7f800000, v42
	v_cmp_ne_u32_e32 vcc_lo, 0x7f800000, v40
	v_mov_b32_e32 v40, 0x8000
	s_and_saveexec_b32 s40, vcc_lo
	s_cbranch_execz .LBB4_4583
; %bb.4576:                             ;   in Loop: Header=BB4_4231 Depth=2
	v_mov_b32_e32 v40, 0
	s_mov_b32 s41, exec_lo
	v_cmpx_ne_u32_e32 0, v42
	s_cbranch_execz .LBB4_4582
; %bb.4577:                             ;   in Loop: Header=BB4_4231 Depth=2
	v_bfe_u32 v40, v42, 23, 8
	v_and_b32_e32 v43, 0x7fffff, v42
	v_sub_nc_u32_e32 v44, 0x78, v40
	v_cmp_gt_u32_e32 vcc_lo, 0x79, v40
	v_or_b32_e32 v45, 0x800000, v43
	v_cndmask_b32_e32 v44, 0, v44, vcc_lo
	v_cmp_eq_u32_e32 vcc_lo, 0, v40
	v_add_nc_u32_e32 v40, 0xffffff89, v40
	v_cndmask_b32_e64 v44, v44, 0x77, vcc_lo
	v_cndmask_b32_e32 v43, v45, v43, vcc_lo
	v_cndmask_b32_e64 v40, v40, 0xffffff8a, vcc_lo
	v_lshl_add_u32 v45, 0x100000, v44, -1
	v_lshrrev_b32_e32 v46, v44, v43
	v_lshlrev_b32_e64 v56, v44, 0x80000
	v_add_nc_u32_e32 v44, v44, v40
	v_and_b32_e32 v43, v45, v43
	v_bfe_u32 v47, v46, 20, 1
	v_cmp_eq_u32_e64 s13, v43, v56
	v_add_nc_u32_e32 v45, -1, v47
	v_cndmask_b32_e64 v43, 0, v45, s13
	v_lshrrev_b32_e32 v45, 23, v46
	s_mov_b32 s13, exec_lo
	v_add_nc_u32_e32 v43, v43, v46
	v_xor_b32_e32 v45, 1, v45
	v_and_b32_e32 v40, 0xfffff, v43
	v_add_nc_u32_e32 v43, v40, v46
                                        ; implicit-def: $vgpr40
	v_cmpx_ne_u32_e64 v44, v45
	s_xor_b32 s13, exec_lo, s13
; %bb.4578:                             ;   in Loop: Header=BB4_4231 Depth=2
	v_cmp_lt_u32_e32 vcc_lo, 0xffffff, v43
	v_sub_nc_u32_e32 v40, v44, v45
	v_cndmask_b32_e64 v44, 0, 1, vcc_lo
	v_add_co_ci_u32_e64 v40, null, 0, v40, vcc_lo
	v_lshrrev_b32_e32 v43, v44, v43
; %bb.4579:                             ;   in Loop: Header=BB4_4231 Depth=2
	s_andn2_saveexec_b32 s13, s13
; %bb.4580:                             ;   in Loop: Header=BB4_4231 Depth=2
	v_bfe_u32 v40, v43, 23, 1
; %bb.4581:                             ;   in Loop: Header=BB4_4231 Depth=2
	s_or_b32 exec_lo, exec_lo, s13
	v_lshrrev_b32_e32 v43, 20, v43
	v_min_i32_e32 v44, 15, v40
	v_cmp_gt_i32_e32 vcc_lo, 16, v40
	v_and_b32_sdwa v42, v42, v85 dst_sel:DWORD dst_unused:UNUSED_PAD src0_sel:BYTE_3 src1_sel:DWORD
	v_lshlrev_b32_e32 v44, 3, v44
	v_cndmask_b32_e32 v43, 7, v43, vcc_lo
	v_and_b32_e32 v44, 0xf8, v44
	v_and_b32_e32 v45, 7, v43
	v_or_b32_e32 v40, v40, v43
	v_or3_b32 v42, v42, v44, v45
	v_cmp_ne_u32_e32 vcc_lo, 0, v40
	v_lshlrev_b32_e32 v42, 8, v42
	v_cndmask_b32_e32 v40, 0, v42, vcc_lo
.LBB4_4582:                             ;   in Loop: Header=BB4_4231 Depth=2
	s_or_b32 exec_lo, exec_lo, s41
.LBB4_4583:                             ;   in Loop: Header=BB4_4231 Depth=2
	s_or_b32 exec_lo, exec_lo, s40
	v_or_b32_e32 v119, v119, v116
	s_mov_b32 s13, 0
	v_cmp_gt_i16_sdwa s40, v119, v84 src0_sel:BYTE_0 src1_sel:DWORD
	s_and_saveexec_b32 s41, s40
	s_xor_b32 s40, exec_lo, s41
	s_cbranch_execz .LBB4_4837
; %bb.4584:                             ;   in Loop: Header=BB4_4231 Depth=2
	v_cmp_eq_u16_sdwa s42, v119, v85 src0_sel:BYTE_0 src1_sel:DWORD
	s_mov_b32 s13, -1
	s_and_saveexec_b32 s41, s42
; %bb.4585:                             ;   in Loop: Header=BB4_4231 Depth=2
	s_xor_b32 s13, exec_lo, -1
; %bb.4586:                             ;   in Loop: Header=BB4_4231 Depth=2
	s_or_b32 exec_lo, exec_lo, s41
	s_and_b32 s13, s13, exec_lo
	s_or_saveexec_b32 s40, s40
	v_mov_b32_e32 v116, 0x7f800001
	s_xor_b32 exec_lo, exec_lo, s40
	s_cbranch_execnz .LBB4_4838
.LBB4_4587:                             ;   in Loop: Header=BB4_4231 Depth=2
	s_or_b32 exec_lo, exec_lo, s40
	v_lshl_or_b32 v119, v119, 16, v41
	s_and_saveexec_b32 s40, s13
	s_cbranch_execz .LBB4_4589
.LBB4_4588:                             ;   in Loop: Header=BB4_4231 Depth=2
	v_bfe_u32 v116, v119, 16, 3
	v_bfe_u32 v43, v119, 19, 4
	v_lshlrev_b32_e32 v44, 8, v119
	v_ffbh_u32_e32 v41, v116
	v_cmp_eq_u32_e32 vcc_lo, 0, v43
	v_min_u32_e32 v41, 32, v41
	v_subrev_nc_u32_e32 v42, 28, v41
	v_sub_nc_u32_e32 v41, 29, v41
	v_lshlrev_b32_sdwa v42, v42, v119 dst_sel:DWORD dst_unused:UNUSED_PAD src0_sel:DWORD src1_sel:WORD_1
	v_cndmask_b32_e32 v41, v43, v41, vcc_lo
	v_and_b32_e32 v42, 7, v42
	v_lshl_add_u32 v41, v41, 23, 0x3b800000
	v_cndmask_b32_e32 v116, v116, v42, vcc_lo
	v_and_b32_e32 v42, 0x80000000, v44
	v_lshlrev_b32_e32 v116, 20, v116
	v_or3_b32 v116, v42, v41, v116
.LBB4_4589:                             ;   in Loop: Header=BB4_4231 Depth=2
	s_or_b32 exec_lo, exec_lo, s40
	v_and_b32_sdwa v42, v11, v96 dst_sel:DWORD dst_unused:UNUSED_PAD src0_sel:WORD_1 src1_sel:DWORD
	s_mov_b32 s13, 0
	s_mov_b32 s40, exec_lo
	v_cmpx_lt_i16_e32 0x7f, v42
	s_xor_b32 s40, exec_lo, s40
	s_cbranch_execz .LBB4_4839
; %bb.4590:                             ;   in Loop: Header=BB4_4231 Depth=2
	s_mov_b32 s13, -1
	s_mov_b32 s41, exec_lo
	v_cmpx_eq_u16_e32 0x80, v42
; %bb.4591:                             ;   in Loop: Header=BB4_4231 Depth=2
	s_xor_b32 s13, exec_lo, -1
; %bb.4592:                             ;   in Loop: Header=BB4_4231 Depth=2
	s_or_b32 exec_lo, exec_lo, s41
	s_and_b32 s13, s13, exec_lo
                                        ; implicit-def: $vgpr42
	s_or_saveexec_b32 s40, s40
	v_mov_b32_e32 v41, 0x7f800001
	s_xor_b32 exec_lo, exec_lo, s40
	s_cbranch_execnz .LBB4_4840
.LBB4_4593:                             ;   in Loop: Header=BB4_4231 Depth=2
	s_or_b32 exec_lo, exec_lo, s40
	s_and_saveexec_b32 s40, s13
	s_cbranch_execz .LBB4_4595
.LBB4_4594:                             ;   in Loop: Header=BB4_4231 Depth=2
	v_and_b32_sdwa v41, v11, v97 dst_sel:DWORD dst_unused:UNUSED_PAD src0_sel:WORD_1 src1_sel:DWORD
	v_bfe_u32 v44, v11, 19, 4
	v_lshlrev_b32_sdwa v45, v87, v11 dst_sel:DWORD dst_unused:UNUSED_PAD src0_sel:DWORD src1_sel:WORD_1
	v_ffbh_u32_e32 v42, v41
	v_cmp_eq_u32_e32 vcc_lo, 0, v44
	v_min_u32_e32 v42, 32, v42
	v_subrev_nc_u32_e32 v43, 28, v42
	v_sub_nc_u32_e32 v42, 29, v42
	v_lshlrev_b32_sdwa v43, v43, v11 dst_sel:DWORD dst_unused:UNUSED_PAD src0_sel:DWORD src1_sel:WORD_1
	v_cndmask_b32_e32 v42, v44, v42, vcc_lo
	v_and_b32_e32 v43, 7, v43
	v_lshl_add_u32 v42, v42, 23, 0x3b800000
	v_cndmask_b32_e32 v41, v41, v43, vcc_lo
	v_and_b32_e32 v43, 0x80000000, v45
	v_lshlrev_b32_e32 v41, 20, v41
	v_or3_b32 v41, v43, v42, v41
.LBB4_4595:                             ;   in Loop: Header=BB4_4231 Depth=2
	s_or_b32 exec_lo, exec_lo, s40
	v_add_f32_e32 v41, v116, v41
	v_and_b32_e32 v116, 0x7f800000, v41
	v_cmp_ne_u32_e32 vcc_lo, 0x7f800000, v116
	v_mov_b32_e32 v116, 0x80
	s_and_saveexec_b32 s40, vcc_lo
	s_cbranch_execz .LBB4_4603
; %bb.4596:                             ;   in Loop: Header=BB4_4231 Depth=2
	v_mov_b32_e32 v116, 0
	s_mov_b32 s41, exec_lo
	v_cmpx_ne_u32_e32 0, v41
	s_cbranch_execz .LBB4_4602
; %bb.4597:                             ;   in Loop: Header=BB4_4231 Depth=2
	v_bfe_u32 v116, v41, 23, 8
	v_and_b32_e32 v42, 0x7fffff, v41
	v_sub_nc_u32_e32 v43, 0x78, v116
	v_cmp_gt_u32_e32 vcc_lo, 0x79, v116
	v_or_b32_e32 v44, 0x800000, v42
	v_cndmask_b32_e32 v43, 0, v43, vcc_lo
	v_cmp_eq_u32_e32 vcc_lo, 0, v116
	v_add_nc_u32_e32 v116, 0xffffff89, v116
	v_cndmask_b32_e64 v43, v43, 0x77, vcc_lo
	v_cndmask_b32_e32 v42, v44, v42, vcc_lo
	v_cndmask_b32_e64 v116, v116, 0xffffff8a, vcc_lo
	v_lshl_add_u32 v44, 0x100000, v43, -1
	v_lshrrev_b32_e32 v45, v43, v42
	v_lshlrev_b32_e64 v47, v43, 0x80000
	v_add_nc_u32_e32 v43, v43, v116
	v_and_b32_e32 v42, v44, v42
	v_bfe_u32 v46, v45, 20, 1
	v_cmp_eq_u32_e64 s13, v42, v47
	v_add_nc_u32_e32 v44, -1, v46
	v_cndmask_b32_e64 v42, 0, v44, s13
	v_lshrrev_b32_e32 v44, 23, v45
	s_mov_b32 s13, exec_lo
	v_add_nc_u32_e32 v42, v42, v45
	v_xor_b32_e32 v44, 1, v44
	v_and_b32_e32 v116, 0xfffff, v42
	v_add_nc_u32_e32 v42, v116, v45
                                        ; implicit-def: $vgpr116
	v_cmpx_ne_u32_e64 v43, v44
	s_xor_b32 s13, exec_lo, s13
; %bb.4598:                             ;   in Loop: Header=BB4_4231 Depth=2
	v_cmp_lt_u32_e32 vcc_lo, 0xffffff, v42
	v_sub_nc_u32_e32 v116, v43, v44
	v_cndmask_b32_e64 v43, 0, 1, vcc_lo
	v_add_co_ci_u32_e64 v116, null, 0, v116, vcc_lo
	v_lshrrev_b32_e32 v42, v43, v42
; %bb.4599:                             ;   in Loop: Header=BB4_4231 Depth=2
	s_andn2_saveexec_b32 s13, s13
; %bb.4600:                             ;   in Loop: Header=BB4_4231 Depth=2
	v_bfe_u32 v116, v42, 23, 1
; %bb.4601:                             ;   in Loop: Header=BB4_4231 Depth=2
	s_or_b32 exec_lo, exec_lo, s13
	v_lshrrev_b32_e32 v42, 20, v42
	v_min_i32_e32 v43, 15, v116
	v_cmp_gt_i32_e32 vcc_lo, 16, v116
	v_and_b32_sdwa v41, v41, v85 dst_sel:DWORD dst_unused:UNUSED_PAD src0_sel:BYTE_3 src1_sel:DWORD
	v_lshlrev_b32_e32 v43, 3, v43
	v_cndmask_b32_e32 v42, 7, v42, vcc_lo
	v_and_b32_e32 v43, 0xf8, v43
	v_and_b32_e32 v44, 7, v42
	v_or_b32_e32 v116, v116, v42
	v_or3_b32 v41, v43, v41, v44
	v_cmp_ne_u32_e32 vcc_lo, 0, v116
	v_cndmask_b32_e32 v116, 0, v41, vcc_lo
.LBB4_4602:                             ;   in Loop: Header=BB4_4231 Depth=2
	s_or_b32 exec_lo, exec_lo, s41
.LBB4_4603:                             ;   in Loop: Header=BB4_4231 Depth=2
	s_or_b32 exec_lo, exec_lo, s40
	v_cmp_gt_i16_sdwa s40, v119, v84 src0_sel:BYTE_3 src1_sel:DWORD
	s_mov_b32 s13, 0
	s_and_saveexec_b32 s41, s40
	s_xor_b32 s40, exec_lo, s41
	s_cbranch_execz .LBB4_4841
; %bb.4604:                             ;   in Loop: Header=BB4_4231 Depth=2
	v_cmp_eq_u16_sdwa s42, v119, v85 src0_sel:BYTE_3 src1_sel:DWORD
	s_mov_b32 s13, -1
	s_and_saveexec_b32 s41, s42
; %bb.4605:                             ;   in Loop: Header=BB4_4231 Depth=2
	s_xor_b32 s13, exec_lo, -1
; %bb.4606:                             ;   in Loop: Header=BB4_4231 Depth=2
	s_or_b32 exec_lo, exec_lo, s41
	s_and_b32 s13, s13, exec_lo
	s_or_saveexec_b32 s40, s40
	v_mov_b32_e32 v41, 0x7f800001
	s_xor_b32 exec_lo, exec_lo, s40
	s_cbranch_execnz .LBB4_4842
.LBB4_4607:                             ;   in Loop: Header=BB4_4231 Depth=2
	s_or_b32 exec_lo, exec_lo, s40
	s_and_saveexec_b32 s40, s13
	s_cbranch_execz .LBB4_4609
.LBB4_4608:                             ;   in Loop: Header=BB4_4231 Depth=2
	v_bfe_u32 v41, v119, 24, 3
	v_bfe_u32 v44, v119, 27, 4
	v_ffbh_u32_e32 v42, v41
	v_cmp_eq_u32_e32 vcc_lo, 0, v44
	v_min_u32_e32 v42, 32, v42
	v_subrev_nc_u32_e32 v43, 28, v42
	v_sub_nc_u32_e32 v42, 29, v42
	v_lshlrev_b32_sdwa v43, v43, v119 dst_sel:DWORD dst_unused:UNUSED_PAD src0_sel:DWORD src1_sel:BYTE_3
	v_cndmask_b32_e32 v42, v44, v42, vcc_lo
	v_and_b32_e32 v119, 0x80000000, v119
	v_and_b32_e32 v43, 7, v43
	v_lshl_add_u32 v42, v42, 23, 0x3b800000
	v_cndmask_b32_e32 v41, v41, v43, vcc_lo
	v_lshlrev_b32_e32 v41, 20, v41
	v_or3_b32 v41, v119, v42, v41
.LBB4_4609:                             ;   in Loop: Header=BB4_4231 Depth=2
	s_or_b32 exec_lo, exec_lo, s40
	v_cmp_gt_i16_sdwa s40, v11, v84 src0_sel:BYTE_3 src1_sel:DWORD
	s_mov_b32 s13, 0
	s_and_saveexec_b32 s41, s40
	s_xor_b32 s40, exec_lo, s41
	s_cbranch_execz .LBB4_4843
; %bb.4610:                             ;   in Loop: Header=BB4_4231 Depth=2
	v_cmp_eq_u16_sdwa s42, v11, v85 src0_sel:BYTE_3 src1_sel:DWORD
	s_mov_b32 s13, -1
	s_and_saveexec_b32 s41, s42
; %bb.4611:                             ;   in Loop: Header=BB4_4231 Depth=2
	s_xor_b32 s13, exec_lo, -1
; %bb.4612:                             ;   in Loop: Header=BB4_4231 Depth=2
	s_or_b32 exec_lo, exec_lo, s41
	s_and_b32 s13, s13, exec_lo
	s_or_saveexec_b32 s40, s40
	v_mov_b32_e32 v119, 0x7f800001
	s_xor_b32 exec_lo, exec_lo, s40
	s_cbranch_execnz .LBB4_4844
.LBB4_4613:                             ;   in Loop: Header=BB4_4231 Depth=2
	s_or_b32 exec_lo, exec_lo, s40
	s_and_saveexec_b32 s40, s13
	s_cbranch_execz .LBB4_4615
.LBB4_4614:                             ;   in Loop: Header=BB4_4231 Depth=2
	v_and_b32_sdwa v119, v11, v97 dst_sel:DWORD dst_unused:UNUSED_PAD src0_sel:BYTE_3 src1_sel:DWORD
	v_bfe_u32 v44, v11, 27, 4
	v_ffbh_u32_e32 v42, v119
	v_cmp_eq_u32_e32 vcc_lo, 0, v44
	v_min_u32_e32 v42, 32, v42
	v_subrev_nc_u32_e32 v43, 28, v42
	v_sub_nc_u32_e32 v42, 29, v42
	v_lshlrev_b32_sdwa v43, v43, v11 dst_sel:DWORD dst_unused:UNUSED_PAD src0_sel:DWORD src1_sel:BYTE_3
	v_cndmask_b32_e32 v42, v44, v42, vcc_lo
	v_and_b32_e32 v11, 0x80000000, v11
	v_and_b32_e32 v43, 7, v43
	v_lshl_add_u32 v42, v42, 23, 0x3b800000
	v_cndmask_b32_e32 v119, v119, v43, vcc_lo
	v_lshlrev_b32_e32 v119, 20, v119
	v_or3_b32 v119, v11, v42, v119
.LBB4_4615:                             ;   in Loop: Header=BB4_4231 Depth=2
	s_or_b32 exec_lo, exec_lo, s40
	v_add_f32_e32 v119, v41, v119
	v_and_b32_e32 v11, 0x7f800000, v119
	v_cmp_ne_u32_e32 vcc_lo, 0x7f800000, v11
	v_mov_b32_e32 v11, 0x8000
	s_and_saveexec_b32 s40, vcc_lo
	s_cbranch_execz .LBB4_4623
; %bb.4616:                             ;   in Loop: Header=BB4_4231 Depth=2
	v_mov_b32_e32 v11, 0
	s_mov_b32 s41, exec_lo
	v_cmpx_ne_u32_e32 0, v119
	s_cbranch_execz .LBB4_4622
; %bb.4617:                             ;   in Loop: Header=BB4_4231 Depth=2
	v_bfe_u32 v11, v119, 23, 8
	v_and_b32_e32 v41, 0x7fffff, v119
	v_sub_nc_u32_e32 v42, 0x78, v11
	v_cmp_gt_u32_e32 vcc_lo, 0x79, v11
	v_or_b32_e32 v43, 0x800000, v41
	v_cndmask_b32_e32 v42, 0, v42, vcc_lo
	v_cmp_eq_u32_e32 vcc_lo, 0, v11
	v_add_nc_u32_e32 v11, 0xffffff89, v11
	v_cndmask_b32_e64 v42, v42, 0x77, vcc_lo
	v_cndmask_b32_e32 v41, v43, v41, vcc_lo
	v_cndmask_b32_e64 v11, v11, 0xffffff8a, vcc_lo
	v_lshl_add_u32 v43, 0x100000, v42, -1
	v_lshrrev_b32_e32 v44, v42, v41
	v_lshlrev_b32_e64 v46, v42, 0x80000
	v_add_nc_u32_e32 v42, v42, v11
	v_and_b32_e32 v41, v43, v41
	v_bfe_u32 v45, v44, 20, 1
	v_cmp_eq_u32_e64 s13, v41, v46
	v_add_nc_u32_e32 v43, -1, v45
	v_cndmask_b32_e64 v41, 0, v43, s13
	v_lshrrev_b32_e32 v43, 23, v44
	s_mov_b32 s13, exec_lo
	v_add_nc_u32_e32 v41, v41, v44
	v_xor_b32_e32 v43, 1, v43
	v_and_b32_e32 v11, 0xfffff, v41
	v_add_nc_u32_e32 v41, v11, v44
                                        ; implicit-def: $vgpr11
	v_cmpx_ne_u32_e64 v42, v43
	s_xor_b32 s13, exec_lo, s13
; %bb.4618:                             ;   in Loop: Header=BB4_4231 Depth=2
	v_cmp_lt_u32_e32 vcc_lo, 0xffffff, v41
	v_sub_nc_u32_e32 v11, v42, v43
	v_cndmask_b32_e64 v42, 0, 1, vcc_lo
	v_add_co_ci_u32_e64 v11, null, 0, v11, vcc_lo
	v_lshrrev_b32_e32 v41, v42, v41
; %bb.4619:                             ;   in Loop: Header=BB4_4231 Depth=2
	s_andn2_saveexec_b32 s13, s13
; %bb.4620:                             ;   in Loop: Header=BB4_4231 Depth=2
	v_bfe_u32 v11, v41, 23, 1
; %bb.4621:                             ;   in Loop: Header=BB4_4231 Depth=2
	s_or_b32 exec_lo, exec_lo, s13
	v_lshrrev_b32_e32 v41, 20, v41
	v_min_i32_e32 v42, 15, v11
	v_cmp_gt_i32_e32 vcc_lo, 16, v11
	v_and_b32_sdwa v119, v119, v85 dst_sel:DWORD dst_unused:UNUSED_PAD src0_sel:BYTE_3 src1_sel:DWORD
	v_lshlrev_b32_e32 v42, 3, v42
	v_cndmask_b32_e32 v41, 7, v41, vcc_lo
	v_and_b32_e32 v42, 0xf8, v42
	v_and_b32_e32 v43, 7, v41
	v_or_b32_e32 v11, v11, v41
	v_or3_b32 v119, v119, v42, v43
	v_cmp_ne_u32_e32 vcc_lo, 0, v11
	v_lshlrev_b32_e32 v119, 8, v119
	v_cndmask_b32_e32 v11, 0, v119, vcc_lo
.LBB4_4622:                             ;   in Loop: Header=BB4_4231 Depth=2
	s_or_b32 exec_lo, exec_lo, s41
.LBB4_4623:                             ;   in Loop: Header=BB4_4231 Depth=2
	s_or_b32 exec_lo, exec_lo, s40
	v_or_b32_e32 v119, v117, v113
	s_mov_b32 s13, 0
	v_cmp_gt_i16_sdwa s40, v119, v84 src0_sel:BYTE_0 src1_sel:DWORD
	s_and_saveexec_b32 s41, s40
	s_xor_b32 s40, exec_lo, s41
	s_cbranch_execz .LBB4_4845
; %bb.4624:                             ;   in Loop: Header=BB4_4231 Depth=2
	v_cmp_eq_u16_sdwa s42, v119, v85 src0_sel:BYTE_0 src1_sel:DWORD
	s_mov_b32 s13, -1
	s_and_saveexec_b32 s41, s42
; %bb.4625:                             ;   in Loop: Header=BB4_4231 Depth=2
	s_xor_b32 s13, exec_lo, -1
; %bb.4626:                             ;   in Loop: Header=BB4_4231 Depth=2
	s_or_b32 exec_lo, exec_lo, s41
	s_and_b32 s13, s13, exec_lo
	s_or_saveexec_b32 s40, s40
	v_mov_b32_e32 v113, 0x7f800001
	s_xor_b32 exec_lo, exec_lo, s40
	s_cbranch_execnz .LBB4_4846
.LBB4_4627:                             ;   in Loop: Header=BB4_4231 Depth=2
	s_or_b32 exec_lo, exec_lo, s40
	s_and_saveexec_b32 s40, s13
	s_cbranch_execz .LBB4_4629
.LBB4_4628:                             ;   in Loop: Header=BB4_4231 Depth=2
	v_and_b32_e32 v113, 7, v119
	v_bfe_u32 v42, v119, 3, 4
	v_lshlrev_b32_e32 v43, 24, v119
	v_ffbh_u32_e32 v117, v113
	v_cmp_eq_u32_e32 vcc_lo, 0, v42
	v_min_u32_e32 v117, 32, v117
	v_subrev_nc_u32_e32 v41, 28, v117
	v_sub_nc_u32_e32 v117, 29, v117
	v_lshlrev_b32_e32 v41, v41, v119
	v_cndmask_b32_e32 v117, v42, v117, vcc_lo
	v_and_b32_e32 v41, 7, v41
	v_lshl_add_u32 v117, v117, 23, 0x3b800000
	v_cndmask_b32_e32 v113, v113, v41, vcc_lo
	v_and_b32_e32 v41, 0x80000000, v43
	v_lshlrev_b32_e32 v113, 20, v113
	v_or3_b32 v113, v41, v117, v113
.LBB4_4629:                             ;   in Loop: Header=BB4_4231 Depth=2
	s_or_b32 exec_lo, exec_lo, s40
	v_cmp_gt_i16_sdwa s40, v12, v84 src0_sel:BYTE_0 src1_sel:DWORD
	s_mov_b32 s13, 0
	s_and_saveexec_b32 s41, s40
	s_xor_b32 s40, exec_lo, s41
	s_cbranch_execz .LBB4_4847
; %bb.4630:                             ;   in Loop: Header=BB4_4231 Depth=2
	v_cmp_eq_u16_sdwa s42, v12, v85 src0_sel:BYTE_0 src1_sel:DWORD
	s_mov_b32 s13, -1
	s_and_saveexec_b32 s41, s42
; %bb.4631:                             ;   in Loop: Header=BB4_4231 Depth=2
	s_xor_b32 s13, exec_lo, -1
; %bb.4632:                             ;   in Loop: Header=BB4_4231 Depth=2
	s_or_b32 exec_lo, exec_lo, s41
	s_and_b32 s13, s13, exec_lo
	s_or_saveexec_b32 s40, s40
	v_mov_b32_e32 v117, 0x7f800001
	s_xor_b32 exec_lo, exec_lo, s40
	s_cbranch_execnz .LBB4_4848
.LBB4_4633:                             ;   in Loop: Header=BB4_4231 Depth=2
	s_or_b32 exec_lo, exec_lo, s40
	s_and_saveexec_b32 s40, s13
	s_cbranch_execz .LBB4_4635
.LBB4_4634:                             ;   in Loop: Header=BB4_4231 Depth=2
	v_and_b32_e32 v117, 7, v12
	v_bfe_u32 v43, v12, 3, 4
	v_lshlrev_b32_e32 v44, 24, v12
	v_ffbh_u32_e32 v41, v117
	v_cmp_eq_u32_e32 vcc_lo, 0, v43
	v_min_u32_e32 v41, 32, v41
	v_subrev_nc_u32_e32 v42, 28, v41
	v_sub_nc_u32_e32 v41, 29, v41
	v_lshlrev_b32_e32 v42, v42, v12
	v_cndmask_b32_e32 v41, v43, v41, vcc_lo
	v_and_b32_e32 v42, 7, v42
	v_lshl_add_u32 v41, v41, 23, 0x3b800000
	v_cndmask_b32_e32 v117, v117, v42, vcc_lo
	v_and_b32_e32 v42, 0x80000000, v44
	v_lshlrev_b32_e32 v117, 20, v117
	v_or3_b32 v117, v42, v41, v117
.LBB4_4635:                             ;   in Loop: Header=BB4_4231 Depth=2
	s_or_b32 exec_lo, exec_lo, s40
	v_add_f32_e32 v117, v113, v117
	v_and_b32_e32 v113, 0x7f800000, v117
	v_cmp_ne_u32_e32 vcc_lo, 0x7f800000, v113
	v_mov_b32_e32 v113, 0x80
	s_and_saveexec_b32 s40, vcc_lo
	s_cbranch_execz .LBB4_4643
; %bb.4636:                             ;   in Loop: Header=BB4_4231 Depth=2
	v_mov_b32_e32 v113, 0
	s_mov_b32 s41, exec_lo
	v_cmpx_ne_u32_e32 0, v117
	s_cbranch_execz .LBB4_4642
; %bb.4637:                             ;   in Loop: Header=BB4_4231 Depth=2
	v_bfe_u32 v113, v117, 23, 8
	v_and_b32_e32 v41, 0x7fffff, v117
	v_sub_nc_u32_e32 v42, 0x78, v113
	v_cmp_gt_u32_e32 vcc_lo, 0x79, v113
	v_or_b32_e32 v43, 0x800000, v41
	v_cndmask_b32_e32 v42, 0, v42, vcc_lo
	v_cmp_eq_u32_e32 vcc_lo, 0, v113
	v_add_nc_u32_e32 v113, 0xffffff89, v113
	v_cndmask_b32_e64 v42, v42, 0x77, vcc_lo
	v_cndmask_b32_e32 v41, v43, v41, vcc_lo
	v_cndmask_b32_e64 v113, v113, 0xffffff8a, vcc_lo
	v_lshl_add_u32 v43, 0x100000, v42, -1
	v_lshrrev_b32_e32 v44, v42, v41
	v_lshlrev_b32_e64 v46, v42, 0x80000
	v_add_nc_u32_e32 v42, v42, v113
	v_and_b32_e32 v41, v43, v41
	v_bfe_u32 v45, v44, 20, 1
	v_cmp_eq_u32_e64 s13, v41, v46
	v_add_nc_u32_e32 v43, -1, v45
	v_cndmask_b32_e64 v41, 0, v43, s13
	v_lshrrev_b32_e32 v43, 23, v44
	s_mov_b32 s13, exec_lo
	v_add_nc_u32_e32 v41, v41, v44
	v_xor_b32_e32 v43, 1, v43
	v_and_b32_e32 v113, 0xfffff, v41
	v_add_nc_u32_e32 v41, v113, v44
                                        ; implicit-def: $vgpr113
	v_cmpx_ne_u32_e64 v42, v43
	s_xor_b32 s13, exec_lo, s13
; %bb.4638:                             ;   in Loop: Header=BB4_4231 Depth=2
	v_cmp_lt_u32_e32 vcc_lo, 0xffffff, v41
	v_sub_nc_u32_e32 v113, v42, v43
	v_cndmask_b32_e64 v42, 0, 1, vcc_lo
	v_add_co_ci_u32_e64 v113, null, 0, v113, vcc_lo
	v_lshrrev_b32_e32 v41, v42, v41
; %bb.4639:                             ;   in Loop: Header=BB4_4231 Depth=2
	s_andn2_saveexec_b32 s13, s13
; %bb.4640:                             ;   in Loop: Header=BB4_4231 Depth=2
	v_bfe_u32 v113, v41, 23, 1
; %bb.4641:                             ;   in Loop: Header=BB4_4231 Depth=2
	s_or_b32 exec_lo, exec_lo, s13
	v_lshrrev_b32_e32 v41, 20, v41
	v_min_i32_e32 v42, 15, v113
	v_cmp_gt_i32_e32 vcc_lo, 16, v113
	v_and_b32_sdwa v117, v117, v85 dst_sel:DWORD dst_unused:UNUSED_PAD src0_sel:BYTE_3 src1_sel:DWORD
	v_lshlrev_b32_e32 v42, 3, v42
	v_cndmask_b32_e32 v41, 7, v41, vcc_lo
	v_and_b32_e32 v42, 0xf8, v42
	v_and_b32_e32 v43, 7, v41
	v_or_b32_e32 v113, v113, v41
	v_or3_b32 v117, v42, v117, v43
	v_cmp_ne_u32_e32 vcc_lo, 0, v113
	v_cndmask_b32_e32 v113, 0, v117, vcc_lo
.LBB4_4642:                             ;   in Loop: Header=BB4_4231 Depth=2
	s_or_b32 exec_lo, exec_lo, s41
.LBB4_4643:                             ;   in Loop: Header=BB4_4231 Depth=2
	s_or_b32 exec_lo, exec_lo, s40
	v_cmp_gt_i16_sdwa s40, v119, v84 src0_sel:BYTE_1 src1_sel:DWORD
	s_mov_b32 s13, 0
	s_and_saveexec_b32 s41, s40
	s_xor_b32 s40, exec_lo, s41
	s_cbranch_execz .LBB4_4849
; %bb.4644:                             ;   in Loop: Header=BB4_4231 Depth=2
	v_cmp_eq_u16_sdwa s42, v119, v85 src0_sel:BYTE_1 src1_sel:DWORD
	s_mov_b32 s13, -1
	s_and_saveexec_b32 s41, s42
; %bb.4645:                             ;   in Loop: Header=BB4_4231 Depth=2
	s_xor_b32 s13, exec_lo, -1
; %bb.4646:                             ;   in Loop: Header=BB4_4231 Depth=2
	s_or_b32 exec_lo, exec_lo, s41
	s_and_b32 s13, s13, exec_lo
	s_or_saveexec_b32 s40, s40
	v_mov_b32_e32 v117, 0x7f800001
	s_xor_b32 exec_lo, exec_lo, s40
	s_cbranch_execnz .LBB4_4850
.LBB4_4647:                             ;   in Loop: Header=BB4_4231 Depth=2
	s_or_b32 exec_lo, exec_lo, s40
	s_and_saveexec_b32 s40, s13
	s_cbranch_execz .LBB4_4649
.LBB4_4648:                             ;   in Loop: Header=BB4_4231 Depth=2
	v_and_b32_sdwa v117, v86, v119 dst_sel:DWORD dst_unused:UNUSED_PAD src0_sel:DWORD src1_sel:BYTE_1
	v_and_b32_e32 v41, 7, v117
	v_bfe_u32 v44, v117, 3, 4
	v_ffbh_u32_e32 v42, v41
	v_cmp_eq_u32_e32 vcc_lo, 0, v44
	v_min_u32_e32 v42, 32, v42
	v_subrev_nc_u32_e32 v43, 28, v42
	v_sub_nc_u32_e32 v42, 29, v42
	v_lshlrev_b32_e32 v117, v43, v117
	v_lshlrev_b32_sdwa v43, v87, v119 dst_sel:DWORD dst_unused:UNUSED_PAD src0_sel:DWORD src1_sel:BYTE_1
	v_cndmask_b32_e32 v42, v44, v42, vcc_lo
	v_and_b32_e32 v117, 7, v117
	v_lshl_add_u32 v42, v42, 23, 0x3b800000
	v_cndmask_b32_e32 v117, v41, v117, vcc_lo
	v_and_b32_e32 v41, 0x80000000, v43
	v_lshlrev_b32_e32 v117, 20, v117
	v_or3_b32 v117, v41, v42, v117
.LBB4_4649:                             ;   in Loop: Header=BB4_4231 Depth=2
	s_or_b32 exec_lo, exec_lo, s40
	v_cmp_gt_i16_sdwa s40, v12, v84 src0_sel:BYTE_1 src1_sel:DWORD
	s_mov_b32 s13, 0
	s_and_saveexec_b32 s41, s40
	s_xor_b32 s40, exec_lo, s41
	s_cbranch_execz .LBB4_4851
; %bb.4650:                             ;   in Loop: Header=BB4_4231 Depth=2
	v_cmp_eq_u16_sdwa s42, v12, v85 src0_sel:BYTE_1 src1_sel:DWORD
	s_mov_b32 s13, -1
	s_and_saveexec_b32 s41, s42
; %bb.4651:                             ;   in Loop: Header=BB4_4231 Depth=2
	s_xor_b32 s13, exec_lo, -1
; %bb.4652:                             ;   in Loop: Header=BB4_4231 Depth=2
	s_or_b32 exec_lo, exec_lo, s41
	s_and_b32 s13, s13, exec_lo
	s_or_saveexec_b32 s40, s40
	v_mov_b32_e32 v41, 0x7f800001
	s_xor_b32 exec_lo, exec_lo, s40
	s_cbranch_execnz .LBB4_4852
.LBB4_4653:                             ;   in Loop: Header=BB4_4231 Depth=2
	s_or_b32 exec_lo, exec_lo, s40
	s_and_saveexec_b32 s40, s13
	s_cbranch_execz .LBB4_4655
.LBB4_4654:                             ;   in Loop: Header=BB4_4231 Depth=2
	v_and_b32_sdwa v41, v86, v12 dst_sel:DWORD dst_unused:UNUSED_PAD src0_sel:DWORD src1_sel:BYTE_1
	v_and_b32_e32 v42, 7, v41
	v_bfe_u32 v45, v41, 3, 4
	v_ffbh_u32_e32 v43, v42
	v_cmp_eq_u32_e32 vcc_lo, 0, v45
	v_min_u32_e32 v43, 32, v43
	v_subrev_nc_u32_e32 v44, 28, v43
	v_sub_nc_u32_e32 v43, 29, v43
	v_lshlrev_b32_e32 v41, v44, v41
	v_lshlrev_b32_sdwa v44, v87, v12 dst_sel:DWORD dst_unused:UNUSED_PAD src0_sel:DWORD src1_sel:BYTE_1
	v_cndmask_b32_e32 v43, v45, v43, vcc_lo
	v_and_b32_e32 v41, 7, v41
	v_lshl_add_u32 v43, v43, 23, 0x3b800000
	v_cndmask_b32_e32 v41, v42, v41, vcc_lo
	v_and_b32_e32 v42, 0x80000000, v44
	v_lshlrev_b32_e32 v41, 20, v41
	v_or3_b32 v41, v42, v43, v41
.LBB4_4655:                             ;   in Loop: Header=BB4_4231 Depth=2
	s_or_b32 exec_lo, exec_lo, s40
	v_add_f32_e32 v41, v117, v41
	v_and_b32_e32 v117, 0x7f800000, v41
	v_cmp_ne_u32_e32 vcc_lo, 0x7f800000, v117
	v_mov_b32_e32 v117, 0x8000
	s_and_saveexec_b32 s40, vcc_lo
	s_cbranch_execz .LBB4_4663
; %bb.4656:                             ;   in Loop: Header=BB4_4231 Depth=2
	v_mov_b32_e32 v117, 0
	s_mov_b32 s41, exec_lo
	v_cmpx_ne_u32_e32 0, v41
	s_cbranch_execz .LBB4_4662
; %bb.4657:                             ;   in Loop: Header=BB4_4231 Depth=2
	v_bfe_u32 v117, v41, 23, 8
	v_and_b32_e32 v42, 0x7fffff, v41
	v_sub_nc_u32_e32 v43, 0x78, v117
	v_cmp_gt_u32_e32 vcc_lo, 0x79, v117
	v_or_b32_e32 v44, 0x800000, v42
	v_cndmask_b32_e32 v43, 0, v43, vcc_lo
	v_cmp_eq_u32_e32 vcc_lo, 0, v117
	v_add_nc_u32_e32 v117, 0xffffff89, v117
	v_cndmask_b32_e64 v43, v43, 0x77, vcc_lo
	v_cndmask_b32_e32 v42, v44, v42, vcc_lo
	v_cndmask_b32_e64 v117, v117, 0xffffff8a, vcc_lo
	v_lshl_add_u32 v44, 0x100000, v43, -1
	v_lshrrev_b32_e32 v45, v43, v42
	v_lshlrev_b32_e64 v47, v43, 0x80000
	v_add_nc_u32_e32 v43, v43, v117
	v_and_b32_e32 v42, v44, v42
	v_bfe_u32 v46, v45, 20, 1
	v_cmp_eq_u32_e64 s13, v42, v47
	v_add_nc_u32_e32 v44, -1, v46
	v_cndmask_b32_e64 v42, 0, v44, s13
	v_lshrrev_b32_e32 v44, 23, v45
	s_mov_b32 s13, exec_lo
	v_add_nc_u32_e32 v42, v42, v45
	v_xor_b32_e32 v44, 1, v44
	v_and_b32_e32 v117, 0xfffff, v42
	v_add_nc_u32_e32 v42, v117, v45
                                        ; implicit-def: $vgpr117
	v_cmpx_ne_u32_e64 v43, v44
	s_xor_b32 s13, exec_lo, s13
; %bb.4658:                             ;   in Loop: Header=BB4_4231 Depth=2
	v_cmp_lt_u32_e32 vcc_lo, 0xffffff, v42
	v_sub_nc_u32_e32 v117, v43, v44
	v_cndmask_b32_e64 v43, 0, 1, vcc_lo
	v_add_co_ci_u32_e64 v117, null, 0, v117, vcc_lo
	v_lshrrev_b32_e32 v42, v43, v42
; %bb.4659:                             ;   in Loop: Header=BB4_4231 Depth=2
	s_andn2_saveexec_b32 s13, s13
; %bb.4660:                             ;   in Loop: Header=BB4_4231 Depth=2
	v_bfe_u32 v117, v42, 23, 1
; %bb.4661:                             ;   in Loop: Header=BB4_4231 Depth=2
	s_or_b32 exec_lo, exec_lo, s13
	v_lshrrev_b32_e32 v42, 20, v42
	v_min_i32_e32 v43, 15, v117
	v_cmp_gt_i32_e32 vcc_lo, 16, v117
	v_and_b32_sdwa v41, v41, v85 dst_sel:DWORD dst_unused:UNUSED_PAD src0_sel:BYTE_3 src1_sel:DWORD
	v_lshlrev_b32_e32 v43, 3, v43
	v_cndmask_b32_e32 v42, 7, v42, vcc_lo
	v_and_b32_e32 v43, 0xf8, v43
	v_and_b32_e32 v44, 7, v42
	v_or_b32_e32 v117, v117, v42
	v_or3_b32 v41, v41, v43, v44
	v_cmp_ne_u32_e32 vcc_lo, 0, v117
	v_lshlrev_b32_e32 v41, 8, v41
	v_cndmask_b32_e32 v117, 0, v41, vcc_lo
.LBB4_4662:                             ;   in Loop: Header=BB4_4231 Depth=2
	s_or_b32 exec_lo, exec_lo, s41
.LBB4_4663:                             ;   in Loop: Header=BB4_4231 Depth=2
	s_or_b32 exec_lo, exec_lo, s40
	v_or_b32_e32 v115, v115, v103
	s_mov_b32 s13, 0
	v_cmp_gt_i16_sdwa s40, v115, v84 src0_sel:BYTE_0 src1_sel:DWORD
	s_and_saveexec_b32 s41, s40
	s_xor_b32 s40, exec_lo, s41
	s_cbranch_execz .LBB4_4853
; %bb.4664:                             ;   in Loop: Header=BB4_4231 Depth=2
	v_cmp_eq_u16_sdwa s42, v115, v85 src0_sel:BYTE_0 src1_sel:DWORD
	s_mov_b32 s13, -1
	s_and_saveexec_b32 s41, s42
; %bb.4665:                             ;   in Loop: Header=BB4_4231 Depth=2
	s_xor_b32 s13, exec_lo, -1
; %bb.4666:                             ;   in Loop: Header=BB4_4231 Depth=2
	s_or_b32 exec_lo, exec_lo, s41
	s_and_b32 s13, s13, exec_lo
	s_or_saveexec_b32 s40, s40
	v_mov_b32_e32 v103, 0x7f800001
	s_xor_b32 exec_lo, exec_lo, s40
	s_cbranch_execnz .LBB4_4854
.LBB4_4667:                             ;   in Loop: Header=BB4_4231 Depth=2
	s_or_b32 exec_lo, exec_lo, s40
	v_lshl_or_b32 v115, v115, 16, v119
	s_and_saveexec_b32 s40, s13
	s_cbranch_execz .LBB4_4669
.LBB4_4668:                             ;   in Loop: Header=BB4_4231 Depth=2
	v_bfe_u32 v103, v115, 16, 3
	v_bfe_u32 v42, v115, 19, 4
	v_lshlrev_b32_e32 v43, 8, v115
	v_ffbh_u32_e32 v119, v103
	v_cmp_eq_u32_e32 vcc_lo, 0, v42
	v_min_u32_e32 v119, 32, v119
	v_subrev_nc_u32_e32 v41, 28, v119
	v_sub_nc_u32_e32 v119, 29, v119
	v_lshlrev_b32_sdwa v41, v41, v115 dst_sel:DWORD dst_unused:UNUSED_PAD src0_sel:DWORD src1_sel:WORD_1
	v_cndmask_b32_e32 v119, v42, v119, vcc_lo
	v_and_b32_e32 v41, 7, v41
	v_lshl_add_u32 v119, v119, 23, 0x3b800000
	v_cndmask_b32_e32 v103, v103, v41, vcc_lo
	v_and_b32_e32 v41, 0x80000000, v43
	v_lshlrev_b32_e32 v103, 20, v103
	v_or3_b32 v103, v41, v119, v103
.LBB4_4669:                             ;   in Loop: Header=BB4_4231 Depth=2
	s_or_b32 exec_lo, exec_lo, s40
	v_and_b32_sdwa v41, v12, v96 dst_sel:DWORD dst_unused:UNUSED_PAD src0_sel:WORD_1 src1_sel:DWORD
	s_mov_b32 s13, 0
	s_mov_b32 s40, exec_lo
	v_cmpx_lt_i16_e32 0x7f, v41
	s_xor_b32 s40, exec_lo, s40
	s_cbranch_execz .LBB4_4855
; %bb.4670:                             ;   in Loop: Header=BB4_4231 Depth=2
	s_mov_b32 s13, -1
	s_mov_b32 s41, exec_lo
	v_cmpx_eq_u16_e32 0x80, v41
; %bb.4671:                             ;   in Loop: Header=BB4_4231 Depth=2
	s_xor_b32 s13, exec_lo, -1
; %bb.4672:                             ;   in Loop: Header=BB4_4231 Depth=2
	s_or_b32 exec_lo, exec_lo, s41
	s_and_b32 s13, s13, exec_lo
                                        ; implicit-def: $vgpr41
	s_or_saveexec_b32 s40, s40
	v_mov_b32_e32 v119, 0x7f800001
	s_xor_b32 exec_lo, exec_lo, s40
	s_cbranch_execnz .LBB4_4856
.LBB4_4673:                             ;   in Loop: Header=BB4_4231 Depth=2
	s_or_b32 exec_lo, exec_lo, s40
	s_and_saveexec_b32 s40, s13
	s_cbranch_execz .LBB4_4675
.LBB4_4674:                             ;   in Loop: Header=BB4_4231 Depth=2
	v_and_b32_sdwa v119, v12, v97 dst_sel:DWORD dst_unused:UNUSED_PAD src0_sel:WORD_1 src1_sel:DWORD
	v_bfe_u32 v43, v12, 19, 4
	v_lshlrev_b32_sdwa v44, v87, v12 dst_sel:DWORD dst_unused:UNUSED_PAD src0_sel:DWORD src1_sel:WORD_1
	v_ffbh_u32_e32 v41, v119
	v_cmp_eq_u32_e32 vcc_lo, 0, v43
	v_min_u32_e32 v41, 32, v41
	v_subrev_nc_u32_e32 v42, 28, v41
	v_sub_nc_u32_e32 v41, 29, v41
	v_lshlrev_b32_sdwa v42, v42, v12 dst_sel:DWORD dst_unused:UNUSED_PAD src0_sel:DWORD src1_sel:WORD_1
	v_cndmask_b32_e32 v41, v43, v41, vcc_lo
	v_and_b32_e32 v42, 7, v42
	v_lshl_add_u32 v41, v41, 23, 0x3b800000
	v_cndmask_b32_e32 v119, v119, v42, vcc_lo
	v_and_b32_e32 v42, 0x80000000, v44
	v_lshlrev_b32_e32 v119, 20, v119
	v_or3_b32 v119, v42, v41, v119
.LBB4_4675:                             ;   in Loop: Header=BB4_4231 Depth=2
	s_or_b32 exec_lo, exec_lo, s40
	v_add_f32_e32 v119, v103, v119
	v_and_b32_e32 v103, 0x7f800000, v119
	v_cmp_ne_u32_e32 vcc_lo, 0x7f800000, v103
	v_mov_b32_e32 v103, 0x80
	s_and_saveexec_b32 s40, vcc_lo
	s_cbranch_execz .LBB4_4683
; %bb.4676:                             ;   in Loop: Header=BB4_4231 Depth=2
	v_mov_b32_e32 v103, 0
	s_mov_b32 s41, exec_lo
	v_cmpx_ne_u32_e32 0, v119
	s_cbranch_execz .LBB4_4682
; %bb.4677:                             ;   in Loop: Header=BB4_4231 Depth=2
	v_bfe_u32 v103, v119, 23, 8
	v_and_b32_e32 v41, 0x7fffff, v119
	v_sub_nc_u32_e32 v42, 0x78, v103
	v_cmp_gt_u32_e32 vcc_lo, 0x79, v103
	v_or_b32_e32 v43, 0x800000, v41
	v_cndmask_b32_e32 v42, 0, v42, vcc_lo
	v_cmp_eq_u32_e32 vcc_lo, 0, v103
	v_add_nc_u32_e32 v103, 0xffffff89, v103
	v_cndmask_b32_e64 v42, v42, 0x77, vcc_lo
	v_cndmask_b32_e32 v41, v43, v41, vcc_lo
	v_cndmask_b32_e64 v103, v103, 0xffffff8a, vcc_lo
	v_lshl_add_u32 v43, 0x100000, v42, -1
	v_lshrrev_b32_e32 v44, v42, v41
	v_lshlrev_b32_e64 v46, v42, 0x80000
	v_add_nc_u32_e32 v42, v42, v103
	v_and_b32_e32 v41, v43, v41
	v_bfe_u32 v45, v44, 20, 1
	v_cmp_eq_u32_e64 s13, v41, v46
	v_add_nc_u32_e32 v43, -1, v45
	v_cndmask_b32_e64 v41, 0, v43, s13
	v_lshrrev_b32_e32 v43, 23, v44
	s_mov_b32 s13, exec_lo
	v_add_nc_u32_e32 v41, v41, v44
	v_xor_b32_e32 v43, 1, v43
	v_and_b32_e32 v103, 0xfffff, v41
	v_add_nc_u32_e32 v41, v103, v44
                                        ; implicit-def: $vgpr103
	v_cmpx_ne_u32_e64 v42, v43
	s_xor_b32 s13, exec_lo, s13
; %bb.4678:                             ;   in Loop: Header=BB4_4231 Depth=2
	v_cmp_lt_u32_e32 vcc_lo, 0xffffff, v41
	v_sub_nc_u32_e32 v103, v42, v43
	v_cndmask_b32_e64 v42, 0, 1, vcc_lo
	v_add_co_ci_u32_e64 v103, null, 0, v103, vcc_lo
	v_lshrrev_b32_e32 v41, v42, v41
; %bb.4679:                             ;   in Loop: Header=BB4_4231 Depth=2
	s_andn2_saveexec_b32 s13, s13
; %bb.4680:                             ;   in Loop: Header=BB4_4231 Depth=2
	v_bfe_u32 v103, v41, 23, 1
; %bb.4681:                             ;   in Loop: Header=BB4_4231 Depth=2
	s_or_b32 exec_lo, exec_lo, s13
	v_lshrrev_b32_e32 v41, 20, v41
	v_min_i32_e32 v42, 15, v103
	v_cmp_gt_i32_e32 vcc_lo, 16, v103
	v_and_b32_sdwa v119, v119, v85 dst_sel:DWORD dst_unused:UNUSED_PAD src0_sel:BYTE_3 src1_sel:DWORD
	v_lshlrev_b32_e32 v42, 3, v42
	v_cndmask_b32_e32 v41, 7, v41, vcc_lo
	v_and_b32_e32 v42, 0xf8, v42
	v_and_b32_e32 v43, 7, v41
	v_or_b32_e32 v103, v103, v41
	v_or3_b32 v119, v42, v119, v43
	v_cmp_ne_u32_e32 vcc_lo, 0, v103
	v_cndmask_b32_e32 v103, 0, v119, vcc_lo
.LBB4_4682:                             ;   in Loop: Header=BB4_4231 Depth=2
	s_or_b32 exec_lo, exec_lo, s41
.LBB4_4683:                             ;   in Loop: Header=BB4_4231 Depth=2
	s_or_b32 exec_lo, exec_lo, s40
	v_cmp_gt_i16_sdwa s40, v115, v84 src0_sel:BYTE_3 src1_sel:DWORD
	s_mov_b32 s13, 0
	s_and_saveexec_b32 s41, s40
	s_xor_b32 s40, exec_lo, s41
	s_cbranch_execz .LBB4_4857
; %bb.4684:                             ;   in Loop: Header=BB4_4231 Depth=2
	v_cmp_eq_u16_sdwa s42, v115, v85 src0_sel:BYTE_3 src1_sel:DWORD
	s_mov_b32 s13, -1
	s_and_saveexec_b32 s41, s42
; %bb.4685:                             ;   in Loop: Header=BB4_4231 Depth=2
	s_xor_b32 s13, exec_lo, -1
; %bb.4686:                             ;   in Loop: Header=BB4_4231 Depth=2
	s_or_b32 exec_lo, exec_lo, s41
	s_and_b32 s13, s13, exec_lo
	s_or_saveexec_b32 s40, s40
	v_mov_b32_e32 v119, 0x7f800001
	s_xor_b32 exec_lo, exec_lo, s40
	s_cbranch_execnz .LBB4_4858
.LBB4_4687:                             ;   in Loop: Header=BB4_4231 Depth=2
	s_or_b32 exec_lo, exec_lo, s40
	s_and_saveexec_b32 s40, s13
	s_cbranch_execz .LBB4_4689
.LBB4_4688:                             ;   in Loop: Header=BB4_4231 Depth=2
	v_bfe_u32 v119, v115, 24, 3
	v_bfe_u32 v43, v115, 27, 4
	v_ffbh_u32_e32 v41, v119
	v_cmp_eq_u32_e32 vcc_lo, 0, v43
	v_min_u32_e32 v41, 32, v41
	v_subrev_nc_u32_e32 v42, 28, v41
	v_sub_nc_u32_e32 v41, 29, v41
	v_lshlrev_b32_sdwa v42, v42, v115 dst_sel:DWORD dst_unused:UNUSED_PAD src0_sel:DWORD src1_sel:BYTE_3
	v_cndmask_b32_e32 v41, v43, v41, vcc_lo
	v_and_b32_e32 v115, 0x80000000, v115
	v_and_b32_e32 v42, 7, v42
	v_lshl_add_u32 v41, v41, 23, 0x3b800000
	v_cndmask_b32_e32 v119, v119, v42, vcc_lo
	v_lshlrev_b32_e32 v119, 20, v119
	v_or3_b32 v119, v115, v41, v119
.LBB4_4689:                             ;   in Loop: Header=BB4_4231 Depth=2
	s_or_b32 exec_lo, exec_lo, s40
	v_cmp_gt_i16_sdwa s40, v12, v84 src0_sel:BYTE_3 src1_sel:DWORD
	s_mov_b32 s13, 0
	s_and_saveexec_b32 s41, s40
	s_xor_b32 s40, exec_lo, s41
	s_cbranch_execz .LBB4_4859
; %bb.4690:                             ;   in Loop: Header=BB4_4231 Depth=2
	v_cmp_eq_u16_sdwa s42, v12, v85 src0_sel:BYTE_3 src1_sel:DWORD
	s_mov_b32 s13, -1
	s_and_saveexec_b32 s41, s42
; %bb.4691:                             ;   in Loop: Header=BB4_4231 Depth=2
	s_xor_b32 s13, exec_lo, -1
; %bb.4692:                             ;   in Loop: Header=BB4_4231 Depth=2
	s_or_b32 exec_lo, exec_lo, s41
	s_and_b32 s13, s13, exec_lo
	s_or_saveexec_b32 s40, s40
	v_mov_b32_e32 v115, 0x7f800001
	s_xor_b32 exec_lo, exec_lo, s40
	s_cbranch_execnz .LBB4_4860
.LBB4_4693:                             ;   in Loop: Header=BB4_4231 Depth=2
	s_or_b32 exec_lo, exec_lo, s40
	s_and_saveexec_b32 s40, s13
	s_cbranch_execz .LBB4_4695
.LBB4_4694:                             ;   in Loop: Header=BB4_4231 Depth=2
	v_and_b32_sdwa v115, v12, v97 dst_sel:DWORD dst_unused:UNUSED_PAD src0_sel:BYTE_3 src1_sel:DWORD
	v_bfe_u32 v43, v12, 27, 4
	v_ffbh_u32_e32 v41, v115
	v_cmp_eq_u32_e32 vcc_lo, 0, v43
	v_min_u32_e32 v41, 32, v41
	v_subrev_nc_u32_e32 v42, 28, v41
	v_sub_nc_u32_e32 v41, 29, v41
	v_lshlrev_b32_sdwa v42, v42, v12 dst_sel:DWORD dst_unused:UNUSED_PAD src0_sel:DWORD src1_sel:BYTE_3
	v_cndmask_b32_e32 v41, v43, v41, vcc_lo
	v_and_b32_e32 v12, 0x80000000, v12
	v_and_b32_e32 v42, 7, v42
	v_lshl_add_u32 v41, v41, 23, 0x3b800000
	v_cndmask_b32_e32 v115, v115, v42, vcc_lo
	v_lshlrev_b32_e32 v115, 20, v115
	v_or3_b32 v115, v12, v41, v115
.LBB4_4695:                             ;   in Loop: Header=BB4_4231 Depth=2
	s_or_b32 exec_lo, exec_lo, s40
	v_add_f32_e32 v115, v119, v115
	v_and_b32_e32 v12, 0x7f800000, v115
	v_cmp_ne_u32_e32 vcc_lo, 0x7f800000, v12
	v_mov_b32_e32 v12, 0x8000
	s_and_saveexec_b32 s40, vcc_lo
	s_cbranch_execz .LBB4_4703
; %bb.4696:                             ;   in Loop: Header=BB4_4231 Depth=2
	v_mov_b32_e32 v12, 0
	s_mov_b32 s41, exec_lo
	v_cmpx_ne_u32_e32 0, v115
	s_cbranch_execz .LBB4_4702
; %bb.4697:                             ;   in Loop: Header=BB4_4231 Depth=2
	v_bfe_u32 v12, v115, 23, 8
	v_and_b32_e32 v119, 0x7fffff, v115
	v_sub_nc_u32_e32 v41, 0x78, v12
	v_cmp_gt_u32_e32 vcc_lo, 0x79, v12
	v_or_b32_e32 v42, 0x800000, v119
	v_cndmask_b32_e32 v41, 0, v41, vcc_lo
	v_cmp_eq_u32_e32 vcc_lo, 0, v12
	v_add_nc_u32_e32 v12, 0xffffff89, v12
	v_cndmask_b32_e64 v41, v41, 0x77, vcc_lo
	v_cndmask_b32_e32 v119, v42, v119, vcc_lo
	v_cndmask_b32_e64 v12, v12, 0xffffff8a, vcc_lo
	v_lshl_add_u32 v42, 0x100000, v41, -1
	v_lshrrev_b32_e32 v43, v41, v119
	v_lshlrev_b32_e64 v45, v41, 0x80000
	v_add_nc_u32_e32 v41, v41, v12
	v_and_b32_e32 v119, v42, v119
	v_bfe_u32 v44, v43, 20, 1
	v_cmp_eq_u32_e64 s13, v119, v45
	v_add_nc_u32_e32 v42, -1, v44
	v_cndmask_b32_e64 v119, 0, v42, s13
	v_lshrrev_b32_e32 v42, 23, v43
	s_mov_b32 s13, exec_lo
	v_add_nc_u32_e32 v119, v119, v43
	v_xor_b32_e32 v42, 1, v42
	v_and_b32_e32 v12, 0xfffff, v119
	v_add_nc_u32_e32 v119, v12, v43
                                        ; implicit-def: $vgpr12
	v_cmpx_ne_u32_e64 v41, v42
	s_xor_b32 s13, exec_lo, s13
; %bb.4698:                             ;   in Loop: Header=BB4_4231 Depth=2
	v_cmp_lt_u32_e32 vcc_lo, 0xffffff, v119
	v_sub_nc_u32_e32 v12, v41, v42
	v_cndmask_b32_e64 v41, 0, 1, vcc_lo
	v_add_co_ci_u32_e64 v12, null, 0, v12, vcc_lo
	v_lshrrev_b32_e32 v119, v41, v119
; %bb.4699:                             ;   in Loop: Header=BB4_4231 Depth=2
	s_andn2_saveexec_b32 s13, s13
; %bb.4700:                             ;   in Loop: Header=BB4_4231 Depth=2
	v_bfe_u32 v12, v119, 23, 1
; %bb.4701:                             ;   in Loop: Header=BB4_4231 Depth=2
	s_or_b32 exec_lo, exec_lo, s13
	v_lshrrev_b32_e32 v119, 20, v119
	v_min_i32_e32 v41, 15, v12
	v_cmp_gt_i32_e32 vcc_lo, 16, v12
	v_and_b32_sdwa v115, v115, v85 dst_sel:DWORD dst_unused:UNUSED_PAD src0_sel:BYTE_3 src1_sel:DWORD
	v_lshlrev_b32_e32 v41, 3, v41
	v_cndmask_b32_e32 v119, 7, v119, vcc_lo
	v_and_b32_e32 v41, 0xf8, v41
	v_and_b32_e32 v42, 7, v119
	v_or_b32_e32 v12, v12, v119
	v_or3_b32 v115, v115, v41, v42
	v_cmp_ne_u32_e32 vcc_lo, 0, v12
	v_lshlrev_b32_e32 v115, 8, v115
	v_cndmask_b32_e32 v12, 0, v115, vcc_lo
.LBB4_4702:                             ;   in Loop: Header=BB4_4231 Depth=2
	s_or_b32 exec_lo, exec_lo, s41
.LBB4_4703:                             ;   in Loop: Header=BB4_4231 Depth=2
	s_or_b32 exec_lo, exec_lo, s40
	v_or_b32_e32 v112, v112, v100
	s_mov_b32 s13, 0
	v_cmp_gt_i16_sdwa s40, v112, v84 src0_sel:BYTE_0 src1_sel:DWORD
	s_and_saveexec_b32 s41, s40
	s_xor_b32 s40, exec_lo, s41
	s_cbranch_execz .LBB4_4861
; %bb.4704:                             ;   in Loop: Header=BB4_4231 Depth=2
	v_cmp_eq_u16_sdwa s42, v112, v85 src0_sel:BYTE_0 src1_sel:DWORD
	s_mov_b32 s13, -1
	s_and_saveexec_b32 s41, s42
; %bb.4705:                             ;   in Loop: Header=BB4_4231 Depth=2
	s_xor_b32 s13, exec_lo, -1
; %bb.4706:                             ;   in Loop: Header=BB4_4231 Depth=2
	s_or_b32 exec_lo, exec_lo, s41
	s_and_b32 s13, s13, exec_lo
	s_or_saveexec_b32 s40, s40
	v_mov_b32_e32 v100, 0x7f800001
	s_xor_b32 exec_lo, exec_lo, s40
	s_cbranch_execnz .LBB4_4862
.LBB4_4707:                             ;   in Loop: Header=BB4_4231 Depth=2
	s_or_b32 exec_lo, exec_lo, s40
	s_and_saveexec_b32 s40, s13
	s_cbranch_execz .LBB4_4709
.LBB4_4708:                             ;   in Loop: Header=BB4_4231 Depth=2
	v_and_b32_e32 v100, 7, v112
	v_bfe_u32 v41, v112, 3, 4
	v_lshlrev_b32_e32 v42, 24, v112
	v_ffbh_u32_e32 v115, v100
	v_cmp_eq_u32_e32 vcc_lo, 0, v41
	v_min_u32_e32 v115, 32, v115
	v_subrev_nc_u32_e32 v119, 28, v115
	v_sub_nc_u32_e32 v115, 29, v115
	v_lshlrev_b32_e32 v119, v119, v112
	v_cndmask_b32_e32 v115, v41, v115, vcc_lo
	v_and_b32_e32 v119, 7, v119
	v_lshl_add_u32 v115, v115, 23, 0x3b800000
	v_cndmask_b32_e32 v100, v100, v119, vcc_lo
	v_and_b32_e32 v119, 0x80000000, v42
	v_lshlrev_b32_e32 v100, 20, v100
	v_or3_b32 v100, v119, v115, v100
.LBB4_4709:                             ;   in Loop: Header=BB4_4231 Depth=2
	s_or_b32 exec_lo, exec_lo, s40
	v_cmp_gt_i16_sdwa s40, v13, v84 src0_sel:BYTE_0 src1_sel:DWORD
	s_mov_b32 s13, 0
	s_and_saveexec_b32 s41, s40
	s_xor_b32 s40, exec_lo, s41
	s_cbranch_execz .LBB4_4863
; %bb.4710:                             ;   in Loop: Header=BB4_4231 Depth=2
	v_cmp_eq_u16_sdwa s42, v13, v85 src0_sel:BYTE_0 src1_sel:DWORD
	s_mov_b32 s13, -1
	s_and_saveexec_b32 s41, s42
; %bb.4711:                             ;   in Loop: Header=BB4_4231 Depth=2
	s_xor_b32 s13, exec_lo, -1
; %bb.4712:                             ;   in Loop: Header=BB4_4231 Depth=2
	s_or_b32 exec_lo, exec_lo, s41
	s_and_b32 s13, s13, exec_lo
	s_or_saveexec_b32 s40, s40
	v_mov_b32_e32 v115, 0x7f800001
	s_xor_b32 exec_lo, exec_lo, s40
	s_cbranch_execnz .LBB4_4864
.LBB4_4713:                             ;   in Loop: Header=BB4_4231 Depth=2
	s_or_b32 exec_lo, exec_lo, s40
	s_and_saveexec_b32 s40, s13
	s_cbranch_execz .LBB4_4715
.LBB4_4714:                             ;   in Loop: Header=BB4_4231 Depth=2
	v_and_b32_e32 v115, 7, v13
	v_bfe_u32 v42, v13, 3, 4
	v_lshlrev_b32_e32 v43, 24, v13
	v_ffbh_u32_e32 v119, v115
	v_cmp_eq_u32_e32 vcc_lo, 0, v42
	v_min_u32_e32 v119, 32, v119
	v_subrev_nc_u32_e32 v41, 28, v119
	v_sub_nc_u32_e32 v119, 29, v119
	v_lshlrev_b32_e32 v41, v41, v13
	v_cndmask_b32_e32 v119, v42, v119, vcc_lo
	v_and_b32_e32 v41, 7, v41
	v_lshl_add_u32 v119, v119, 23, 0x3b800000
	v_cndmask_b32_e32 v115, v115, v41, vcc_lo
	v_and_b32_e32 v41, 0x80000000, v43
	v_lshlrev_b32_e32 v115, 20, v115
	v_or3_b32 v115, v41, v119, v115
.LBB4_4715:                             ;   in Loop: Header=BB4_4231 Depth=2
	s_or_b32 exec_lo, exec_lo, s40
	v_add_f32_e32 v115, v100, v115
	v_and_b32_e32 v100, 0x7f800000, v115
	v_cmp_ne_u32_e32 vcc_lo, 0x7f800000, v100
	v_mov_b32_e32 v100, 0x80
	s_and_saveexec_b32 s40, vcc_lo
	s_cbranch_execz .LBB4_4723
; %bb.4716:                             ;   in Loop: Header=BB4_4231 Depth=2
	v_mov_b32_e32 v100, 0
	s_mov_b32 s41, exec_lo
	v_cmpx_ne_u32_e32 0, v115
	s_cbranch_execz .LBB4_4722
; %bb.4717:                             ;   in Loop: Header=BB4_4231 Depth=2
	v_bfe_u32 v100, v115, 23, 8
	v_and_b32_e32 v119, 0x7fffff, v115
	v_sub_nc_u32_e32 v41, 0x78, v100
	v_cmp_gt_u32_e32 vcc_lo, 0x79, v100
	v_or_b32_e32 v42, 0x800000, v119
	v_cndmask_b32_e32 v41, 0, v41, vcc_lo
	v_cmp_eq_u32_e32 vcc_lo, 0, v100
	v_add_nc_u32_e32 v100, 0xffffff89, v100
	v_cndmask_b32_e64 v41, v41, 0x77, vcc_lo
	v_cndmask_b32_e32 v119, v42, v119, vcc_lo
	v_cndmask_b32_e64 v100, v100, 0xffffff8a, vcc_lo
	v_lshl_add_u32 v42, 0x100000, v41, -1
	v_lshrrev_b32_e32 v43, v41, v119
	v_lshlrev_b32_e64 v45, v41, 0x80000
	v_add_nc_u32_e32 v41, v41, v100
	v_and_b32_e32 v119, v42, v119
	v_bfe_u32 v44, v43, 20, 1
	v_cmp_eq_u32_e64 s13, v119, v45
	v_add_nc_u32_e32 v42, -1, v44
	v_cndmask_b32_e64 v119, 0, v42, s13
	v_lshrrev_b32_e32 v42, 23, v43
	s_mov_b32 s13, exec_lo
	v_add_nc_u32_e32 v119, v119, v43
	v_xor_b32_e32 v42, 1, v42
	v_and_b32_e32 v100, 0xfffff, v119
	v_add_nc_u32_e32 v119, v100, v43
                                        ; implicit-def: $vgpr100
	v_cmpx_ne_u32_e64 v41, v42
	s_xor_b32 s13, exec_lo, s13
; %bb.4718:                             ;   in Loop: Header=BB4_4231 Depth=2
	v_cmp_lt_u32_e32 vcc_lo, 0xffffff, v119
	v_sub_nc_u32_e32 v100, v41, v42
	v_cndmask_b32_e64 v41, 0, 1, vcc_lo
	v_add_co_ci_u32_e64 v100, null, 0, v100, vcc_lo
	v_lshrrev_b32_e32 v119, v41, v119
; %bb.4719:                             ;   in Loop: Header=BB4_4231 Depth=2
	s_andn2_saveexec_b32 s13, s13
; %bb.4720:                             ;   in Loop: Header=BB4_4231 Depth=2
	v_bfe_u32 v100, v119, 23, 1
; %bb.4721:                             ;   in Loop: Header=BB4_4231 Depth=2
	s_or_b32 exec_lo, exec_lo, s13
	v_lshrrev_b32_e32 v119, 20, v119
	v_min_i32_e32 v41, 15, v100
	v_cmp_gt_i32_e32 vcc_lo, 16, v100
	v_and_b32_sdwa v115, v115, v85 dst_sel:DWORD dst_unused:UNUSED_PAD src0_sel:BYTE_3 src1_sel:DWORD
	v_lshlrev_b32_e32 v41, 3, v41
	v_cndmask_b32_e32 v119, 7, v119, vcc_lo
	v_and_b32_e32 v41, 0xf8, v41
	v_and_b32_e32 v42, 7, v119
	v_or_b32_e32 v100, v100, v119
	v_or3_b32 v115, v41, v115, v42
	v_cmp_ne_u32_e32 vcc_lo, 0, v100
	v_cndmask_b32_e32 v100, 0, v115, vcc_lo
.LBB4_4722:                             ;   in Loop: Header=BB4_4231 Depth=2
	s_or_b32 exec_lo, exec_lo, s41
.LBB4_4723:                             ;   in Loop: Header=BB4_4231 Depth=2
	s_or_b32 exec_lo, exec_lo, s40
	v_cmp_gt_i16_sdwa s40, v112, v84 src0_sel:BYTE_1 src1_sel:DWORD
	s_mov_b32 s13, 0
	s_and_saveexec_b32 s41, s40
	s_xor_b32 s40, exec_lo, s41
	s_cbranch_execz .LBB4_4865
; %bb.4724:                             ;   in Loop: Header=BB4_4231 Depth=2
	v_cmp_eq_u16_sdwa s42, v112, v85 src0_sel:BYTE_1 src1_sel:DWORD
	s_mov_b32 s13, -1
	s_and_saveexec_b32 s41, s42
; %bb.4725:                             ;   in Loop: Header=BB4_4231 Depth=2
	s_xor_b32 s13, exec_lo, -1
; %bb.4726:                             ;   in Loop: Header=BB4_4231 Depth=2
	s_or_b32 exec_lo, exec_lo, s41
	s_and_b32 s13, s13, exec_lo
	s_or_saveexec_b32 s40, s40
	v_mov_b32_e32 v115, 0x7f800001
	s_xor_b32 exec_lo, exec_lo, s40
	s_cbranch_execnz .LBB4_4866
.LBB4_4727:                             ;   in Loop: Header=BB4_4231 Depth=2
	s_or_b32 exec_lo, exec_lo, s40
	s_and_saveexec_b32 s40, s13
	s_cbranch_execz .LBB4_4729
.LBB4_4728:                             ;   in Loop: Header=BB4_4231 Depth=2
	v_and_b32_sdwa v115, v86, v112 dst_sel:DWORD dst_unused:UNUSED_PAD src0_sel:DWORD src1_sel:BYTE_1
	v_and_b32_e32 v119, 7, v115
	v_bfe_u32 v43, v115, 3, 4
	v_ffbh_u32_e32 v41, v119
	v_cmp_eq_u32_e32 vcc_lo, 0, v43
	v_min_u32_e32 v41, 32, v41
	v_subrev_nc_u32_e32 v42, 28, v41
	v_sub_nc_u32_e32 v41, 29, v41
	v_lshlrev_b32_e32 v115, v42, v115
	v_lshlrev_b32_sdwa v42, v87, v112 dst_sel:DWORD dst_unused:UNUSED_PAD src0_sel:DWORD src1_sel:BYTE_1
	v_cndmask_b32_e32 v41, v43, v41, vcc_lo
	v_and_b32_e32 v115, 7, v115
	v_lshl_add_u32 v41, v41, 23, 0x3b800000
	v_cndmask_b32_e32 v115, v119, v115, vcc_lo
	v_and_b32_e32 v119, 0x80000000, v42
	v_lshlrev_b32_e32 v115, 20, v115
	v_or3_b32 v115, v119, v41, v115
.LBB4_4729:                             ;   in Loop: Header=BB4_4231 Depth=2
	s_or_b32 exec_lo, exec_lo, s40
	v_cmp_gt_i16_sdwa s40, v13, v84 src0_sel:BYTE_1 src1_sel:DWORD
	s_mov_b32 s13, 0
	s_and_saveexec_b32 s41, s40
	s_xor_b32 s40, exec_lo, s41
	s_cbranch_execz .LBB4_4867
; %bb.4730:                             ;   in Loop: Header=BB4_4231 Depth=2
	v_cmp_eq_u16_sdwa s42, v13, v85 src0_sel:BYTE_1 src1_sel:DWORD
	s_mov_b32 s13, -1
	s_and_saveexec_b32 s41, s42
; %bb.4731:                             ;   in Loop: Header=BB4_4231 Depth=2
	s_xor_b32 s13, exec_lo, -1
; %bb.4732:                             ;   in Loop: Header=BB4_4231 Depth=2
	s_or_b32 exec_lo, exec_lo, s41
	s_and_b32 s13, s13, exec_lo
	s_or_saveexec_b32 s40, s40
	v_mov_b32_e32 v119, 0x7f800001
	s_xor_b32 exec_lo, exec_lo, s40
	s_cbranch_execnz .LBB4_4868
.LBB4_4733:                             ;   in Loop: Header=BB4_4231 Depth=2
	s_or_b32 exec_lo, exec_lo, s40
	s_and_saveexec_b32 s40, s13
	s_cbranch_execz .LBB4_4735
.LBB4_4734:                             ;   in Loop: Header=BB4_4231 Depth=2
	v_and_b32_sdwa v119, v86, v13 dst_sel:DWORD dst_unused:UNUSED_PAD src0_sel:DWORD src1_sel:BYTE_1
	v_and_b32_e32 v41, 7, v119
	v_bfe_u32 v44, v119, 3, 4
	v_ffbh_u32_e32 v42, v41
	v_cmp_eq_u32_e32 vcc_lo, 0, v44
	v_min_u32_e32 v42, 32, v42
	v_subrev_nc_u32_e32 v43, 28, v42
	v_sub_nc_u32_e32 v42, 29, v42
	v_lshlrev_b32_e32 v119, v43, v119
	v_lshlrev_b32_sdwa v43, v87, v13 dst_sel:DWORD dst_unused:UNUSED_PAD src0_sel:DWORD src1_sel:BYTE_1
	v_cndmask_b32_e32 v42, v44, v42, vcc_lo
	v_and_b32_e32 v119, 7, v119
	v_lshl_add_u32 v42, v42, 23, 0x3b800000
	v_cndmask_b32_e32 v119, v41, v119, vcc_lo
	v_and_b32_e32 v41, 0x80000000, v43
	v_lshlrev_b32_e32 v119, 20, v119
	v_or3_b32 v119, v41, v42, v119
.LBB4_4735:                             ;   in Loop: Header=BB4_4231 Depth=2
	s_or_b32 exec_lo, exec_lo, s40
	v_add_f32_e32 v119, v115, v119
	v_and_b32_e32 v115, 0x7f800000, v119
	v_cmp_ne_u32_e32 vcc_lo, 0x7f800000, v115
	v_mov_b32_e32 v115, 0x8000
	s_and_saveexec_b32 s40, vcc_lo
	s_cbranch_execz .LBB4_4743
; %bb.4736:                             ;   in Loop: Header=BB4_4231 Depth=2
	v_mov_b32_e32 v115, 0
	s_mov_b32 s41, exec_lo
	v_cmpx_ne_u32_e32 0, v119
	s_cbranch_execz .LBB4_4742
; %bb.4737:                             ;   in Loop: Header=BB4_4231 Depth=2
	v_bfe_u32 v115, v119, 23, 8
	v_and_b32_e32 v41, 0x7fffff, v119
	v_sub_nc_u32_e32 v42, 0x78, v115
	v_cmp_gt_u32_e32 vcc_lo, 0x79, v115
	v_or_b32_e32 v43, 0x800000, v41
	v_cndmask_b32_e32 v42, 0, v42, vcc_lo
	v_cmp_eq_u32_e32 vcc_lo, 0, v115
	v_add_nc_u32_e32 v115, 0xffffff89, v115
	v_cndmask_b32_e64 v42, v42, 0x77, vcc_lo
	v_cndmask_b32_e32 v41, v43, v41, vcc_lo
	v_cndmask_b32_e64 v115, v115, 0xffffff8a, vcc_lo
	v_lshl_add_u32 v43, 0x100000, v42, -1
	v_lshrrev_b32_e32 v44, v42, v41
	v_lshlrev_b32_e64 v46, v42, 0x80000
	v_add_nc_u32_e32 v42, v42, v115
	v_and_b32_e32 v41, v43, v41
	v_bfe_u32 v45, v44, 20, 1
	v_cmp_eq_u32_e64 s13, v41, v46
	v_add_nc_u32_e32 v43, -1, v45
	v_cndmask_b32_e64 v41, 0, v43, s13
	v_lshrrev_b32_e32 v43, 23, v44
	s_mov_b32 s13, exec_lo
	v_add_nc_u32_e32 v41, v41, v44
	v_xor_b32_e32 v43, 1, v43
	v_and_b32_e32 v115, 0xfffff, v41
	v_add_nc_u32_e32 v41, v115, v44
                                        ; implicit-def: $vgpr115
	v_cmpx_ne_u32_e64 v42, v43
	s_xor_b32 s13, exec_lo, s13
; %bb.4738:                             ;   in Loop: Header=BB4_4231 Depth=2
	v_cmp_lt_u32_e32 vcc_lo, 0xffffff, v41
	v_sub_nc_u32_e32 v115, v42, v43
	v_cndmask_b32_e64 v42, 0, 1, vcc_lo
	v_add_co_ci_u32_e64 v115, null, 0, v115, vcc_lo
	v_lshrrev_b32_e32 v41, v42, v41
; %bb.4739:                             ;   in Loop: Header=BB4_4231 Depth=2
	s_andn2_saveexec_b32 s13, s13
; %bb.4740:                             ;   in Loop: Header=BB4_4231 Depth=2
	v_bfe_u32 v115, v41, 23, 1
; %bb.4741:                             ;   in Loop: Header=BB4_4231 Depth=2
	s_or_b32 exec_lo, exec_lo, s13
	v_lshrrev_b32_e32 v41, 20, v41
	v_min_i32_e32 v42, 15, v115
	v_cmp_gt_i32_e32 vcc_lo, 16, v115
	v_and_b32_sdwa v119, v119, v85 dst_sel:DWORD dst_unused:UNUSED_PAD src0_sel:BYTE_3 src1_sel:DWORD
	v_lshlrev_b32_e32 v42, 3, v42
	v_cndmask_b32_e32 v41, 7, v41, vcc_lo
	v_and_b32_e32 v42, 0xf8, v42
	v_and_b32_e32 v43, 7, v41
	v_or_b32_e32 v115, v115, v41
	v_or3_b32 v119, v119, v42, v43
	v_cmp_ne_u32_e32 vcc_lo, 0, v115
	v_lshlrev_b32_e32 v119, 8, v119
	v_cndmask_b32_e32 v115, 0, v119, vcc_lo
.LBB4_4742:                             ;   in Loop: Header=BB4_4231 Depth=2
	s_or_b32 exec_lo, exec_lo, s41
.LBB4_4743:                             ;   in Loop: Header=BB4_4231 Depth=2
	s_or_b32 exec_lo, exec_lo, s40
	v_or_b32_e32 v102, v102, v99
	s_mov_b32 s13, 0
	v_cmp_gt_i16_sdwa s40, v102, v84 src0_sel:BYTE_0 src1_sel:DWORD
	s_and_saveexec_b32 s41, s40
	s_xor_b32 s40, exec_lo, s41
	s_cbranch_execz .LBB4_4869
; %bb.4744:                             ;   in Loop: Header=BB4_4231 Depth=2
	v_cmp_eq_u16_sdwa s42, v102, v85 src0_sel:BYTE_0 src1_sel:DWORD
	s_mov_b32 s13, -1
	s_and_saveexec_b32 s41, s42
; %bb.4745:                             ;   in Loop: Header=BB4_4231 Depth=2
	s_xor_b32 s13, exec_lo, -1
; %bb.4746:                             ;   in Loop: Header=BB4_4231 Depth=2
	s_or_b32 exec_lo, exec_lo, s41
	s_and_b32 s13, s13, exec_lo
	s_or_saveexec_b32 s40, s40
	v_mov_b32_e32 v99, 0x7f800001
	s_xor_b32 exec_lo, exec_lo, s40
	s_cbranch_execnz .LBB4_4870
.LBB4_4747:                             ;   in Loop: Header=BB4_4231 Depth=2
	s_or_b32 exec_lo, exec_lo, s40
	v_lshl_or_b32 v102, v102, 16, v112
	s_and_saveexec_b32 s40, s13
	s_cbranch_execz .LBB4_4749
.LBB4_4748:                             ;   in Loop: Header=BB4_4231 Depth=2
	v_bfe_u32 v99, v102, 16, 3
	v_bfe_u32 v41, v102, 19, 4
	v_lshlrev_b32_e32 v42, 8, v102
	v_ffbh_u32_e32 v112, v99
	v_cmp_eq_u32_e32 vcc_lo, 0, v41
	v_min_u32_e32 v112, 32, v112
	v_subrev_nc_u32_e32 v119, 28, v112
	v_sub_nc_u32_e32 v112, 29, v112
	v_lshlrev_b32_sdwa v119, v119, v102 dst_sel:DWORD dst_unused:UNUSED_PAD src0_sel:DWORD src1_sel:WORD_1
	v_cndmask_b32_e32 v112, v41, v112, vcc_lo
	v_and_b32_e32 v119, 7, v119
	v_lshl_add_u32 v112, v112, 23, 0x3b800000
	v_cndmask_b32_e32 v99, v99, v119, vcc_lo
	v_and_b32_e32 v119, 0x80000000, v42
	v_lshlrev_b32_e32 v99, 20, v99
	v_or3_b32 v99, v119, v112, v99
.LBB4_4749:                             ;   in Loop: Header=BB4_4231 Depth=2
	s_or_b32 exec_lo, exec_lo, s40
	v_and_b32_sdwa v119, v13, v96 dst_sel:DWORD dst_unused:UNUSED_PAD src0_sel:WORD_1 src1_sel:DWORD
	s_mov_b32 s13, 0
	s_mov_b32 s40, exec_lo
	v_cmpx_lt_i16_e32 0x7f, v119
	s_xor_b32 s40, exec_lo, s40
	s_cbranch_execz .LBB4_4871
; %bb.4750:                             ;   in Loop: Header=BB4_4231 Depth=2
	s_mov_b32 s13, -1
	s_mov_b32 s41, exec_lo
	v_cmpx_eq_u16_e32 0x80, v119
; %bb.4751:                             ;   in Loop: Header=BB4_4231 Depth=2
	s_xor_b32 s13, exec_lo, -1
; %bb.4752:                             ;   in Loop: Header=BB4_4231 Depth=2
	s_or_b32 exec_lo, exec_lo, s41
	s_and_b32 s13, s13, exec_lo
                                        ; implicit-def: $vgpr119
	s_or_saveexec_b32 s40, s40
	v_mov_b32_e32 v112, 0x7f800001
	s_xor_b32 exec_lo, exec_lo, s40
	s_cbranch_execnz .LBB4_4872
.LBB4_4753:                             ;   in Loop: Header=BB4_4231 Depth=2
	s_or_b32 exec_lo, exec_lo, s40
	s_and_saveexec_b32 s40, s13
	s_cbranch_execz .LBB4_4755
.LBB4_4754:                             ;   in Loop: Header=BB4_4231 Depth=2
	v_and_b32_sdwa v112, v13, v97 dst_sel:DWORD dst_unused:UNUSED_PAD src0_sel:WORD_1 src1_sel:DWORD
	v_bfe_u32 v42, v13, 19, 4
	v_lshlrev_b32_sdwa v43, v87, v13 dst_sel:DWORD dst_unused:UNUSED_PAD src0_sel:DWORD src1_sel:WORD_1
	v_ffbh_u32_e32 v119, v112
	v_cmp_eq_u32_e32 vcc_lo, 0, v42
	v_min_u32_e32 v119, 32, v119
	v_subrev_nc_u32_e32 v41, 28, v119
	v_sub_nc_u32_e32 v119, 29, v119
	v_lshlrev_b32_sdwa v41, v41, v13 dst_sel:DWORD dst_unused:UNUSED_PAD src0_sel:DWORD src1_sel:WORD_1
	v_cndmask_b32_e32 v119, v42, v119, vcc_lo
	v_and_b32_e32 v41, 7, v41
	v_lshl_add_u32 v119, v119, 23, 0x3b800000
	v_cndmask_b32_e32 v112, v112, v41, vcc_lo
	v_and_b32_e32 v41, 0x80000000, v43
	v_lshlrev_b32_e32 v112, 20, v112
	v_or3_b32 v112, v41, v119, v112
.LBB4_4755:                             ;   in Loop: Header=BB4_4231 Depth=2
	s_or_b32 exec_lo, exec_lo, s40
	v_add_f32_e32 v112, v99, v112
	v_and_b32_e32 v99, 0x7f800000, v112
	v_cmp_ne_u32_e32 vcc_lo, 0x7f800000, v99
	v_mov_b32_e32 v99, 0x80
	s_and_saveexec_b32 s40, vcc_lo
	s_cbranch_execz .LBB4_4763
; %bb.4756:                             ;   in Loop: Header=BB4_4231 Depth=2
	v_mov_b32_e32 v99, 0
	s_mov_b32 s41, exec_lo
	v_cmpx_ne_u32_e32 0, v112
	s_cbranch_execz .LBB4_4762
; %bb.4757:                             ;   in Loop: Header=BB4_4231 Depth=2
	v_bfe_u32 v99, v112, 23, 8
	v_and_b32_e32 v119, 0x7fffff, v112
	v_sub_nc_u32_e32 v41, 0x78, v99
	v_cmp_gt_u32_e32 vcc_lo, 0x79, v99
	v_or_b32_e32 v42, 0x800000, v119
	v_cndmask_b32_e32 v41, 0, v41, vcc_lo
	v_cmp_eq_u32_e32 vcc_lo, 0, v99
	v_add_nc_u32_e32 v99, 0xffffff89, v99
	v_cndmask_b32_e64 v41, v41, 0x77, vcc_lo
	v_cndmask_b32_e32 v119, v42, v119, vcc_lo
	v_cndmask_b32_e64 v99, v99, 0xffffff8a, vcc_lo
	v_lshl_add_u32 v42, 0x100000, v41, -1
	v_lshrrev_b32_e32 v43, v41, v119
	v_lshlrev_b32_e64 v45, v41, 0x80000
	v_add_nc_u32_e32 v41, v41, v99
	v_and_b32_e32 v119, v42, v119
	v_bfe_u32 v44, v43, 20, 1
	v_cmp_eq_u32_e64 s13, v119, v45
	v_add_nc_u32_e32 v42, -1, v44
	v_cndmask_b32_e64 v119, 0, v42, s13
	v_lshrrev_b32_e32 v42, 23, v43
	s_mov_b32 s13, exec_lo
	v_add_nc_u32_e32 v119, v119, v43
	v_xor_b32_e32 v42, 1, v42
	v_and_b32_e32 v99, 0xfffff, v119
	v_add_nc_u32_e32 v119, v99, v43
                                        ; implicit-def: $vgpr99
	v_cmpx_ne_u32_e64 v41, v42
	s_xor_b32 s13, exec_lo, s13
; %bb.4758:                             ;   in Loop: Header=BB4_4231 Depth=2
	v_cmp_lt_u32_e32 vcc_lo, 0xffffff, v119
	v_sub_nc_u32_e32 v99, v41, v42
	v_cndmask_b32_e64 v41, 0, 1, vcc_lo
	v_add_co_ci_u32_e64 v99, null, 0, v99, vcc_lo
	v_lshrrev_b32_e32 v119, v41, v119
; %bb.4759:                             ;   in Loop: Header=BB4_4231 Depth=2
	s_andn2_saveexec_b32 s13, s13
; %bb.4760:                             ;   in Loop: Header=BB4_4231 Depth=2
	v_bfe_u32 v99, v119, 23, 1
; %bb.4761:                             ;   in Loop: Header=BB4_4231 Depth=2
	s_or_b32 exec_lo, exec_lo, s13
	v_lshrrev_b32_e32 v119, 20, v119
	v_min_i32_e32 v41, 15, v99
	v_cmp_gt_i32_e32 vcc_lo, 16, v99
	v_and_b32_sdwa v112, v112, v85 dst_sel:DWORD dst_unused:UNUSED_PAD src0_sel:BYTE_3 src1_sel:DWORD
	v_lshlrev_b32_e32 v41, 3, v41
	v_cndmask_b32_e32 v119, 7, v119, vcc_lo
	v_and_b32_e32 v41, 0xf8, v41
	v_and_b32_e32 v42, 7, v119
	v_or_b32_e32 v99, v99, v119
	v_or3_b32 v112, v41, v112, v42
	v_cmp_ne_u32_e32 vcc_lo, 0, v99
	v_cndmask_b32_e32 v99, 0, v112, vcc_lo
.LBB4_4762:                             ;   in Loop: Header=BB4_4231 Depth=2
	s_or_b32 exec_lo, exec_lo, s41
.LBB4_4763:                             ;   in Loop: Header=BB4_4231 Depth=2
	s_or_b32 exec_lo, exec_lo, s40
	v_cmp_gt_i16_sdwa s40, v102, v84 src0_sel:BYTE_3 src1_sel:DWORD
	s_mov_b32 s13, 0
	s_and_saveexec_b32 s41, s40
	s_xor_b32 s40, exec_lo, s41
	s_cbranch_execz .LBB4_4873
; %bb.4764:                             ;   in Loop: Header=BB4_4231 Depth=2
	v_cmp_eq_u16_sdwa s42, v102, v85 src0_sel:BYTE_3 src1_sel:DWORD
	s_mov_b32 s13, -1
	s_and_saveexec_b32 s41, s42
; %bb.4765:                             ;   in Loop: Header=BB4_4231 Depth=2
	s_xor_b32 s13, exec_lo, -1
; %bb.4766:                             ;   in Loop: Header=BB4_4231 Depth=2
	s_or_b32 exec_lo, exec_lo, s41
	s_and_b32 s13, s13, exec_lo
	s_or_saveexec_b32 s40, s40
	v_mov_b32_e32 v112, 0x7f800001
	s_xor_b32 exec_lo, exec_lo, s40
	s_cbranch_execnz .LBB4_4874
.LBB4_4767:                             ;   in Loop: Header=BB4_4231 Depth=2
	s_or_b32 exec_lo, exec_lo, s40
	s_and_saveexec_b32 s40, s13
	s_cbranch_execz .LBB4_4769
.LBB4_4768:                             ;   in Loop: Header=BB4_4231 Depth=2
	v_bfe_u32 v112, v102, 24, 3
	v_bfe_u32 v42, v102, 27, 4
	v_ffbh_u32_e32 v119, v112
	v_cmp_eq_u32_e32 vcc_lo, 0, v42
	v_min_u32_e32 v119, 32, v119
	v_subrev_nc_u32_e32 v41, 28, v119
	v_sub_nc_u32_e32 v119, 29, v119
	v_lshlrev_b32_sdwa v41, v41, v102 dst_sel:DWORD dst_unused:UNUSED_PAD src0_sel:DWORD src1_sel:BYTE_3
	v_cndmask_b32_e32 v119, v42, v119, vcc_lo
	v_and_b32_e32 v102, 0x80000000, v102
	v_and_b32_e32 v41, 7, v41
	v_lshl_add_u32 v119, v119, 23, 0x3b800000
	v_cndmask_b32_e32 v112, v112, v41, vcc_lo
	v_lshlrev_b32_e32 v112, 20, v112
	v_or3_b32 v112, v102, v119, v112
.LBB4_4769:                             ;   in Loop: Header=BB4_4231 Depth=2
	s_or_b32 exec_lo, exec_lo, s40
	v_cmp_gt_i16_sdwa s40, v13, v84 src0_sel:BYTE_3 src1_sel:DWORD
	s_mov_b32 s13, 0
	s_and_saveexec_b32 s41, s40
	s_xor_b32 s40, exec_lo, s41
	s_cbranch_execz .LBB4_4875
; %bb.4770:                             ;   in Loop: Header=BB4_4231 Depth=2
	v_cmp_eq_u16_sdwa s42, v13, v85 src0_sel:BYTE_3 src1_sel:DWORD
	s_mov_b32 s13, -1
	s_and_saveexec_b32 s41, s42
; %bb.4771:                             ;   in Loop: Header=BB4_4231 Depth=2
	s_xor_b32 s13, exec_lo, -1
; %bb.4772:                             ;   in Loop: Header=BB4_4231 Depth=2
	s_or_b32 exec_lo, exec_lo, s41
	s_and_b32 s13, s13, exec_lo
	s_or_saveexec_b32 s40, s40
	v_mov_b32_e32 v102, 0x7f800001
	s_xor_b32 exec_lo, exec_lo, s40
	s_cbranch_execnz .LBB4_4876
.LBB4_4773:                             ;   in Loop: Header=BB4_4231 Depth=2
	s_or_b32 exec_lo, exec_lo, s40
	s_and_saveexec_b32 s40, s13
	s_cbranch_execz .LBB4_4775
.LBB4_4774:                             ;   in Loop: Header=BB4_4231 Depth=2
	v_and_b32_sdwa v102, v13, v97 dst_sel:DWORD dst_unused:UNUSED_PAD src0_sel:BYTE_3 src1_sel:DWORD
	v_bfe_u32 v42, v13, 27, 4
	v_ffbh_u32_e32 v119, v102
	v_cmp_eq_u32_e32 vcc_lo, 0, v42
	v_min_u32_e32 v119, 32, v119
	v_subrev_nc_u32_e32 v41, 28, v119
	v_sub_nc_u32_e32 v119, 29, v119
	v_lshlrev_b32_sdwa v41, v41, v13 dst_sel:DWORD dst_unused:UNUSED_PAD src0_sel:DWORD src1_sel:BYTE_3
	v_cndmask_b32_e32 v119, v42, v119, vcc_lo
	v_and_b32_e32 v13, 0x80000000, v13
	v_and_b32_e32 v41, 7, v41
	v_lshl_add_u32 v119, v119, 23, 0x3b800000
	v_cndmask_b32_e32 v102, v102, v41, vcc_lo
	v_lshlrev_b32_e32 v102, 20, v102
	v_or3_b32 v102, v13, v119, v102
.LBB4_4775:                             ;   in Loop: Header=BB4_4231 Depth=2
	s_or_b32 exec_lo, exec_lo, s40
	v_add_f32_e32 v13, v112, v102
	v_and_b32_e32 v102, 0x7f800000, v13
	v_cmp_ne_u32_e32 vcc_lo, 0x7f800000, v102
	v_mov_b32_e32 v102, 0x8000
	s_and_saveexec_b32 s40, vcc_lo
	s_cbranch_execz .LBB4_4230
; %bb.4776:                             ;   in Loop: Header=BB4_4231 Depth=2
	v_mov_b32_e32 v102, 0
	s_mov_b32 s41, exec_lo
	v_cmpx_ne_u32_e32 0, v13
	s_cbranch_execz .LBB4_4229
; %bb.4777:                             ;   in Loop: Header=BB4_4231 Depth=2
	v_bfe_u32 v102, v13, 23, 8
	v_and_b32_e32 v112, 0x7fffff, v13
	v_sub_nc_u32_e32 v119, 0x78, v102
	v_cmp_gt_u32_e32 vcc_lo, 0x79, v102
	v_or_b32_e32 v41, 0x800000, v112
	v_cndmask_b32_e32 v119, 0, v119, vcc_lo
	v_cmp_eq_u32_e32 vcc_lo, 0, v102
	v_add_nc_u32_e32 v102, 0xffffff89, v102
	v_cndmask_b32_e64 v119, v119, 0x77, vcc_lo
	v_cndmask_b32_e32 v112, v41, v112, vcc_lo
	v_cndmask_b32_e64 v102, v102, 0xffffff8a, vcc_lo
	v_lshl_add_u32 v41, 0x100000, v119, -1
	v_lshrrev_b32_e32 v42, v119, v112
	v_lshlrev_b32_e64 v44, v119, 0x80000
	v_add_nc_u32_e32 v119, v119, v102
	v_and_b32_e32 v112, v41, v112
	v_bfe_u32 v43, v42, 20, 1
	v_cmp_eq_u32_e64 s13, v112, v44
	v_add_nc_u32_e32 v41, -1, v43
	v_cndmask_b32_e64 v112, 0, v41, s13
	v_lshrrev_b32_e32 v41, 23, v42
	s_mov_b32 s13, exec_lo
	v_add_nc_u32_e32 v112, v112, v42
	v_xor_b32_e32 v41, 1, v41
	v_and_b32_e32 v102, 0xfffff, v112
	v_add_nc_u32_e32 v112, v102, v42
                                        ; implicit-def: $vgpr102
	v_cmpx_ne_u32_e64 v119, v41
	s_xor_b32 s13, exec_lo, s13
; %bb.4778:                             ;   in Loop: Header=BB4_4231 Depth=2
	v_cmp_lt_u32_e32 vcc_lo, 0xffffff, v112
	v_sub_nc_u32_e32 v102, v119, v41
	v_cndmask_b32_e64 v119, 0, 1, vcc_lo
	v_add_co_ci_u32_e64 v102, null, 0, v102, vcc_lo
	v_lshrrev_b32_e32 v112, v119, v112
; %bb.4779:                             ;   in Loop: Header=BB4_4231 Depth=2
	s_andn2_saveexec_b32 s13, s13
	s_cbranch_execz .LBB4_4228
; %bb.4780:                             ;   in Loop: Header=BB4_4231 Depth=2
	v_bfe_u32 v102, v112, 23, 1
	s_branch .LBB4_4228
.LBB4_4781:                             ;   in Loop: Header=BB4_4231 Depth=2
	s_or_saveexec_b32 s41, s41
	v_mov_b32_e32 v98, 0x7f800001
	s_xor_b32 exec_lo, exec_lo, s41
	s_cbranch_execz .LBB4_4243
.LBB4_4782:                             ;   in Loop: Header=BB4_4231 Depth=2
	v_cmp_ne_u16_sdwa s42, v10, v35 src0_sel:BYTE_0 src1_sel:DWORD
	v_mov_b32_e32 v98, 0
	s_andn2_b32 s13, s13, exec_lo
	s_and_b32 s42, s42, exec_lo
	s_or_b32 s13, s13, s42
	s_or_b32 exec_lo, exec_lo, s41
	s_and_saveexec_b32 s41, s13
	s_cbranch_execnz .LBB4_4244
	s_branch .LBB4_4245
.LBB4_4783:                             ;   in Loop: Header=BB4_4231 Depth=2
	s_or_saveexec_b32 s41, s41
	v_mov_b32_e32 v99, 0x7f800001
	s_xor_b32 exec_lo, exec_lo, s41
	s_cbranch_execz .LBB4_4257
.LBB4_4784:                             ;   in Loop: Header=BB4_4231 Depth=2
	v_cmp_ne_u16_sdwa s42, v10, v35 src0_sel:BYTE_1 src1_sel:DWORD
	v_mov_b32_e32 v99, 0
	s_andn2_b32 s13, s13, exec_lo
	s_and_b32 s42, s42, exec_lo
	s_or_b32 s13, s13, s42
	s_or_b32 exec_lo, exec_lo, s41
	s_and_saveexec_b32 s41, s13
	s_cbranch_execnz .LBB4_4258
	s_branch .LBB4_4259
.LBB4_4785:                             ;   in Loop: Header=BB4_4231 Depth=2
	s_or_saveexec_b32 s41, s41
	v_mov_b32_e32 v99, 0x7f800001
	s_xor_b32 exec_lo, exec_lo, s41
	s_cbranch_execz .LBB4_4271
.LBB4_4786:                             ;   in Loop: Header=BB4_4231 Depth=2
	v_cmp_ne_u16_e32 vcc_lo, 0, v100
	v_mov_b32_e32 v99, 0
	s_andn2_b32 s13, s13, exec_lo
	s_and_b32 s42, vcc_lo, exec_lo
	s_or_b32 s13, s13, s42
	s_or_b32 exec_lo, exec_lo, s41
	s_and_saveexec_b32 s41, s13
	s_cbranch_execnz .LBB4_4272
	s_branch .LBB4_4273
.LBB4_4787:                             ;   in Loop: Header=BB4_4231 Depth=2
	s_or_saveexec_b32 s41, s41
	v_mov_b32_e32 v99, 0x7f800001
	s_xor_b32 exec_lo, exec_lo, s41
	s_cbranch_execz .LBB4_4285
.LBB4_4788:                             ;   in Loop: Header=BB4_4231 Depth=2
	v_cmp_ne_u16_sdwa s42, v10, v35 src0_sel:BYTE_3 src1_sel:DWORD
	v_mov_b32_e32 v99, 0
	s_andn2_b32 s13, s13, exec_lo
	s_and_b32 s42, s42, exec_lo
	s_or_b32 s13, s13, s42
	s_or_b32 exec_lo, exec_lo, s41
	s_and_saveexec_b32 s41, s13
	s_cbranch_execnz .LBB4_4286
	s_branch .LBB4_4287
.LBB4_4789:                             ;   in Loop: Header=BB4_4231 Depth=2
	s_or_saveexec_b32 s41, s41
	v_mov_b32_e32 v10, 0x7f800001
	s_xor_b32 exec_lo, exec_lo, s41
	s_cbranch_execz .LBB4_4299
.LBB4_4790:                             ;   in Loop: Header=BB4_4231 Depth=2
	v_cmp_ne_u16_sdwa s42, v11, v35 src0_sel:BYTE_0 src1_sel:DWORD
	v_mov_b32_e32 v10, 0
	s_andn2_b32 s13, s13, exec_lo
	s_and_b32 s42, s42, exec_lo
	s_or_b32 s13, s13, s42
	s_or_b32 exec_lo, exec_lo, s41
	s_and_saveexec_b32 s41, s13
	s_cbranch_execnz .LBB4_4300
	s_branch .LBB4_4301
.LBB4_4791:                             ;   in Loop: Header=BB4_4231 Depth=2
	s_or_saveexec_b32 s41, s41
	v_mov_b32_e32 v10, 0x7f800001
	s_xor_b32 exec_lo, exec_lo, s41
	s_cbranch_execz .LBB4_4313
.LBB4_4792:                             ;   in Loop: Header=BB4_4231 Depth=2
	v_cmp_ne_u16_sdwa s42, v11, v35 src0_sel:BYTE_1 src1_sel:DWORD
	v_mov_b32_e32 v10, 0
	s_andn2_b32 s13, s13, exec_lo
	s_and_b32 s42, s42, exec_lo
	s_or_b32 s13, s13, s42
	s_or_b32 exec_lo, exec_lo, s41
	s_and_saveexec_b32 s41, s13
	s_cbranch_execnz .LBB4_4314
	s_branch .LBB4_4315
.LBB4_4793:                             ;   in Loop: Header=BB4_4231 Depth=2
	s_or_saveexec_b32 s41, s41
	v_mov_b32_e32 v10, 0x7f800001
	s_xor_b32 exec_lo, exec_lo, s41
	s_cbranch_execz .LBB4_4327
.LBB4_4794:                             ;   in Loop: Header=BB4_4231 Depth=2
	v_cmp_ne_u16_e32 vcc_lo, 0, v99
	v_mov_b32_e32 v10, 0
	s_andn2_b32 s13, s13, exec_lo
	s_and_b32 s42, vcc_lo, exec_lo
	s_or_b32 s13, s13, s42
	s_or_b32 exec_lo, exec_lo, s41
	s_and_saveexec_b32 s41, s13
	s_cbranch_execnz .LBB4_4328
	s_branch .LBB4_4329
.LBB4_4795:                             ;   in Loop: Header=BB4_4231 Depth=2
	s_or_saveexec_b32 s41, s41
	v_mov_b32_e32 v10, 0x7f800001
	s_xor_b32 exec_lo, exec_lo, s41
	s_cbranch_execz .LBB4_4341
.LBB4_4796:                             ;   in Loop: Header=BB4_4231 Depth=2
	v_cmp_ne_u16_sdwa s42, v11, v35 src0_sel:BYTE_3 src1_sel:DWORD
	v_mov_b32_e32 v10, 0
	s_andn2_b32 s13, s13, exec_lo
	s_and_b32 s42, s42, exec_lo
	s_or_b32 s13, s13, s42
	s_or_b32 exec_lo, exec_lo, s41
	s_and_saveexec_b32 s41, s13
	s_cbranch_execnz .LBB4_4342
	s_branch .LBB4_4343
.LBB4_4797:                             ;   in Loop: Header=BB4_4231 Depth=2
	s_or_saveexec_b32 s41, s41
	v_mov_b32_e32 v10, 0x7f800001
	s_xor_b32 exec_lo, exec_lo, s41
	s_cbranch_execz .LBB4_4355
.LBB4_4798:                             ;   in Loop: Header=BB4_4231 Depth=2
	v_cmp_ne_u16_sdwa s42, v12, v35 src0_sel:BYTE_0 src1_sel:DWORD
	v_mov_b32_e32 v10, 0
	s_andn2_b32 s13, s13, exec_lo
	s_and_b32 s42, s42, exec_lo
	s_or_b32 s13, s13, s42
	s_or_b32 exec_lo, exec_lo, s41
	s_and_saveexec_b32 s41, s13
	s_cbranch_execnz .LBB4_4356
	s_branch .LBB4_4357
.LBB4_4799:                             ;   in Loop: Header=BB4_4231 Depth=2
	s_or_saveexec_b32 s41, s41
	v_mov_b32_e32 v10, 0x7f800001
	s_xor_b32 exec_lo, exec_lo, s41
	s_cbranch_execz .LBB4_4369
.LBB4_4800:                             ;   in Loop: Header=BB4_4231 Depth=2
	v_cmp_ne_u16_sdwa s42, v12, v35 src0_sel:BYTE_1 src1_sel:DWORD
	v_mov_b32_e32 v10, 0
	s_andn2_b32 s13, s13, exec_lo
	s_and_b32 s42, s42, exec_lo
	s_or_b32 s13, s13, s42
	s_or_b32 exec_lo, exec_lo, s41
	s_and_saveexec_b32 s41, s13
	s_cbranch_execnz .LBB4_4370
	s_branch .LBB4_4371
.LBB4_4801:                             ;   in Loop: Header=BB4_4231 Depth=2
	s_or_saveexec_b32 s41, s41
	v_mov_b32_e32 v10, 0x7f800001
	s_xor_b32 exec_lo, exec_lo, s41
	s_cbranch_execz .LBB4_4383
.LBB4_4802:                             ;   in Loop: Header=BB4_4231 Depth=2
	v_cmp_ne_u16_e32 vcc_lo, 0, v11
	v_mov_b32_e32 v10, 0
	s_andn2_b32 s13, s13, exec_lo
	s_and_b32 s42, vcc_lo, exec_lo
	s_or_b32 s13, s13, s42
	s_or_b32 exec_lo, exec_lo, s41
	s_and_saveexec_b32 s41, s13
	s_cbranch_execnz .LBB4_4384
	s_branch .LBB4_4385
.LBB4_4803:                             ;   in Loop: Header=BB4_4231 Depth=2
	s_or_saveexec_b32 s41, s41
	v_mov_b32_e32 v10, 0x7f800001
	s_xor_b32 exec_lo, exec_lo, s41
	s_cbranch_execz .LBB4_4397
.LBB4_4804:                             ;   in Loop: Header=BB4_4231 Depth=2
	v_cmp_ne_u16_sdwa s42, v12, v35 src0_sel:BYTE_3 src1_sel:DWORD
	v_mov_b32_e32 v10, 0
	s_andn2_b32 s13, s13, exec_lo
	s_and_b32 s42, s42, exec_lo
	s_or_b32 s13, s13, s42
	s_or_b32 exec_lo, exec_lo, s41
	s_and_saveexec_b32 s41, s13
	s_cbranch_execnz .LBB4_4398
	s_branch .LBB4_4399
.LBB4_4805:                             ;   in Loop: Header=BB4_4231 Depth=2
	s_or_saveexec_b32 s41, s41
	v_mov_b32_e32 v10, 0x7f800001
	s_xor_b32 exec_lo, exec_lo, s41
	s_cbranch_execz .LBB4_4411
.LBB4_4806:                             ;   in Loop: Header=BB4_4231 Depth=2
	v_cmp_ne_u16_sdwa s42, v13, v35 src0_sel:BYTE_0 src1_sel:DWORD
	v_mov_b32_e32 v10, 0
	s_andn2_b32 s13, s13, exec_lo
	s_and_b32 s42, s42, exec_lo
	s_or_b32 s13, s13, s42
	s_or_b32 exec_lo, exec_lo, s41
	s_and_saveexec_b32 s41, s13
	s_cbranch_execnz .LBB4_4412
	s_branch .LBB4_4413
.LBB4_4807:                             ;   in Loop: Header=BB4_4231 Depth=2
	s_or_saveexec_b32 s41, s41
	v_mov_b32_e32 v10, 0x7f800001
	s_xor_b32 exec_lo, exec_lo, s41
	s_cbranch_execz .LBB4_4425
.LBB4_4808:                             ;   in Loop: Header=BB4_4231 Depth=2
	v_cmp_ne_u16_sdwa s42, v13, v35 src0_sel:BYTE_1 src1_sel:DWORD
	v_mov_b32_e32 v10, 0
	s_andn2_b32 s13, s13, exec_lo
	s_and_b32 s42, s42, exec_lo
	s_or_b32 s13, s13, s42
	s_or_b32 exec_lo, exec_lo, s41
	s_and_saveexec_b32 s41, s13
	s_cbranch_execnz .LBB4_4426
	s_branch .LBB4_4427
.LBB4_4809:                             ;   in Loop: Header=BB4_4231 Depth=2
	s_or_saveexec_b32 s41, s41
	v_mov_b32_e32 v10, 0x7f800001
	s_xor_b32 exec_lo, exec_lo, s41
	s_cbranch_execz .LBB4_4439
.LBB4_4810:                             ;   in Loop: Header=BB4_4231 Depth=2
	v_cmp_ne_u16_e32 vcc_lo, 0, v11
	v_mov_b32_e32 v10, 0
	s_andn2_b32 s13, s13, exec_lo
	s_and_b32 s42, vcc_lo, exec_lo
	s_or_b32 s13, s13, s42
	s_or_b32 exec_lo, exec_lo, s41
	s_and_saveexec_b32 s41, s13
	s_cbranch_execnz .LBB4_4440
	s_branch .LBB4_4441
.LBB4_4811:                             ;   in Loop: Header=BB4_4231 Depth=2
	s_or_saveexec_b32 s41, s41
	v_mov_b32_e32 v10, 0x7f800001
	s_xor_b32 exec_lo, exec_lo, s41
	s_cbranch_execz .LBB4_4453
.LBB4_4812:                             ;   in Loop: Header=BB4_4231 Depth=2
	v_cmp_ne_u16_sdwa s42, v13, v35 src0_sel:BYTE_3 src1_sel:DWORD
	v_mov_b32_e32 v10, 0
	s_andn2_b32 s13, s13, exec_lo
	s_and_b32 s42, s42, exec_lo
	s_or_b32 s13, s13, s42
	s_or_b32 exec_lo, exec_lo, s41
	s_and_saveexec_b32 s41, s13
	s_cbranch_execnz .LBB4_4454
	s_branch .LBB4_4455
.LBB4_4813:                             ;   in Loop: Header=BB4_4231 Depth=2
	s_or_saveexec_b32 s40, s40
	v_mov_b32_e32 v98, 0x7f800001
	s_xor_b32 exec_lo, exec_lo, s40
	s_cbranch_execz .LBB4_4467
.LBB4_4814:                             ;   in Loop: Header=BB4_4231 Depth=2
	v_cmp_ne_u16_sdwa s41, v42, v35 src0_sel:BYTE_0 src1_sel:DWORD
	v_mov_b32_e32 v98, 0
	s_andn2_b32 s13, s13, exec_lo
	s_and_b32 s41, s41, exec_lo
	s_or_b32 s13, s13, s41
	s_or_b32 exec_lo, exec_lo, s40
	s_and_saveexec_b32 s40, s13
	s_cbranch_execnz .LBB4_4468
	s_branch .LBB4_4469
.LBB4_4815:                             ;   in Loop: Header=BB4_4231 Depth=2
	s_or_saveexec_b32 s40, s40
	v_mov_b32_e32 v101, 0x7f800001
	s_xor_b32 exec_lo, exec_lo, s40
	s_cbranch_execz .LBB4_4473
.LBB4_4816:                             ;   in Loop: Header=BB4_4231 Depth=2
	v_cmp_ne_u16_sdwa s41, v10, v35 src0_sel:BYTE_0 src1_sel:DWORD
	v_mov_b32_e32 v101, 0
	s_andn2_b32 s13, s13, exec_lo
	s_and_b32 s41, s41, exec_lo
	s_or_b32 s13, s13, s41
	s_or_b32 exec_lo, exec_lo, s40
	s_and_saveexec_b32 s40, s13
	s_cbranch_execnz .LBB4_4474
	s_branch .LBB4_4475
.LBB4_4817:                             ;   in Loop: Header=BB4_4231 Depth=2
	s_or_saveexec_b32 s40, s40
	v_mov_b32_e32 v101, 0x7f800001
	s_xor_b32 exec_lo, exec_lo, s40
	s_cbranch_execz .LBB4_4487
.LBB4_4818:                             ;   in Loop: Header=BB4_4231 Depth=2
	v_cmp_ne_u16_sdwa s41, v42, v35 src0_sel:BYTE_1 src1_sel:DWORD
	v_mov_b32_e32 v101, 0
	s_andn2_b32 s13, s13, exec_lo
	s_and_b32 s41, s41, exec_lo
	s_or_b32 s13, s13, s41
	s_or_b32 exec_lo, exec_lo, s40
	s_and_saveexec_b32 s40, s13
	s_cbranch_execnz .LBB4_4488
	s_branch .LBB4_4489
.LBB4_4819:                             ;   in Loop: Header=BB4_4231 Depth=2
	s_or_saveexec_b32 s40, s40
	v_mov_b32_e32 v43, 0x7f800001
	s_xor_b32 exec_lo, exec_lo, s40
	s_cbranch_execz .LBB4_4493
.LBB4_4820:                             ;   in Loop: Header=BB4_4231 Depth=2
	v_cmp_ne_u16_sdwa s41, v10, v35 src0_sel:BYTE_1 src1_sel:DWORD
	v_mov_b32_e32 v43, 0
	s_andn2_b32 s13, s13, exec_lo
	s_and_b32 s41, s41, exec_lo
	s_or_b32 s13, s13, s41
	s_or_b32 exec_lo, exec_lo, s40
	s_and_saveexec_b32 s40, s13
	s_cbranch_execnz .LBB4_4494
	s_branch .LBB4_4495
.LBB4_4821:                             ;   in Loop: Header=BB4_4231 Depth=2
	s_or_saveexec_b32 s40, s40
	v_mov_b32_e32 v114, 0x7f800001
	s_xor_b32 exec_lo, exec_lo, s40
	s_cbranch_execz .LBB4_4507
.LBB4_4822:                             ;   in Loop: Header=BB4_4231 Depth=2
	v_cmp_ne_u16_sdwa s41, v41, v35 src0_sel:BYTE_0 src1_sel:DWORD
	v_mov_b32_e32 v114, 0
	s_andn2_b32 s13, s13, exec_lo
	s_and_b32 s41, s41, exec_lo
	s_or_b32 s13, s13, s41
	s_or_b32 exec_lo, exec_lo, s40
	v_lshl_or_b32 v41, v41, 16, v42
	s_and_saveexec_b32 s40, s13
	s_cbranch_execnz .LBB4_4508
	s_branch .LBB4_4509
.LBB4_4823:                             ;   in Loop: Header=BB4_4231 Depth=2
	s_or_saveexec_b32 s40, s40
	v_mov_b32_e32 v42, 0x7f800001
	s_xor_b32 exec_lo, exec_lo, s40
	s_cbranch_execz .LBB4_4513
.LBB4_4824:                             ;   in Loop: Header=BB4_4231 Depth=2
	v_cmp_ne_u16_e32 vcc_lo, 0, v43
	v_mov_b32_e32 v42, 0
	s_andn2_b32 s13, s13, exec_lo
	s_and_b32 s41, vcc_lo, exec_lo
	s_or_b32 s13, s13, s41
	s_or_b32 exec_lo, exec_lo, s40
	s_and_saveexec_b32 s40, s13
	s_cbranch_execnz .LBB4_4514
	s_branch .LBB4_4515
.LBB4_4825:                             ;   in Loop: Header=BB4_4231 Depth=2
	s_or_saveexec_b32 s40, s40
	v_mov_b32_e32 v42, 0x7f800001
	s_xor_b32 exec_lo, exec_lo, s40
	s_cbranch_execz .LBB4_4527
.LBB4_4826:                             ;   in Loop: Header=BB4_4231 Depth=2
	v_cmp_ne_u16_sdwa s41, v41, v35 src0_sel:BYTE_3 src1_sel:DWORD
	v_mov_b32_e32 v42, 0
	s_andn2_b32 s13, s13, exec_lo
	s_and_b32 s41, s41, exec_lo
	s_or_b32 s13, s13, s41
	s_or_b32 exec_lo, exec_lo, s40
	s_and_saveexec_b32 s40, s13
	s_cbranch_execnz .LBB4_4528
	s_branch .LBB4_4529
.LBB4_4827:                             ;   in Loop: Header=BB4_4231 Depth=2
	s_or_saveexec_b32 s40, s40
	v_mov_b32_e32 v41, 0x7f800001
	s_xor_b32 exec_lo, exec_lo, s40
	s_cbranch_execz .LBB4_4533
.LBB4_4828:                             ;   in Loop: Header=BB4_4231 Depth=2
	v_cmp_ne_u16_sdwa s41, v10, v35 src0_sel:BYTE_3 src1_sel:DWORD
	v_mov_b32_e32 v41, 0
	s_andn2_b32 s13, s13, exec_lo
	s_and_b32 s41, s41, exec_lo
	s_or_b32 s13, s13, s41
	s_or_b32 exec_lo, exec_lo, s40
	s_and_saveexec_b32 s40, s13
	s_cbranch_execnz .LBB4_4534
	s_branch .LBB4_4535
.LBB4_4829:                             ;   in Loop: Header=BB4_4231 Depth=2
	s_or_saveexec_b32 s40, s40
	v_mov_b32_e32 v118, 0x7f800001
	s_xor_b32 exec_lo, exec_lo, s40
	s_cbranch_execz .LBB4_4547
.LBB4_4830:                             ;   in Loop: Header=BB4_4231 Depth=2
	v_cmp_ne_u16_sdwa s41, v41, v35 src0_sel:BYTE_0 src1_sel:DWORD
	v_mov_b32_e32 v118, 0
	s_andn2_b32 s13, s13, exec_lo
	s_and_b32 s41, s41, exec_lo
	s_or_b32 s13, s13, s41
	s_or_b32 exec_lo, exec_lo, s40
	s_and_saveexec_b32 s40, s13
	s_cbranch_execnz .LBB4_4548
	s_branch .LBB4_4549
.LBB4_4831:                             ;   in Loop: Header=BB4_4231 Depth=2
	s_or_saveexec_b32 s40, s40
	v_mov_b32_e32 v40, 0x7f800001
	s_xor_b32 exec_lo, exec_lo, s40
	s_cbranch_execz .LBB4_4553
.LBB4_4832:                             ;   in Loop: Header=BB4_4231 Depth=2
	v_cmp_ne_u16_sdwa s41, v11, v35 src0_sel:BYTE_0 src1_sel:DWORD
	v_mov_b32_e32 v40, 0
	s_andn2_b32 s13, s13, exec_lo
	s_and_b32 s41, s41, exec_lo
	s_or_b32 s13, s13, s41
	s_or_b32 exec_lo, exec_lo, s40
	s_and_saveexec_b32 s40, s13
	s_cbranch_execnz .LBB4_4554
	s_branch .LBB4_4555
.LBB4_4833:                             ;   in Loop: Header=BB4_4231 Depth=2
	s_or_saveexec_b32 s40, s40
	v_mov_b32_e32 v40, 0x7f800001
	s_xor_b32 exec_lo, exec_lo, s40
	s_cbranch_execz .LBB4_4567
.LBB4_4834:                             ;   in Loop: Header=BB4_4231 Depth=2
	v_cmp_ne_u16_sdwa s41, v41, v35 src0_sel:BYTE_1 src1_sel:DWORD
	v_mov_b32_e32 v40, 0
	s_andn2_b32 s13, s13, exec_lo
	s_and_b32 s41, s41, exec_lo
	s_or_b32 s13, s13, s41
	s_or_b32 exec_lo, exec_lo, s40
	s_and_saveexec_b32 s40, s13
	s_cbranch_execnz .LBB4_4568
	s_branch .LBB4_4569
.LBB4_4835:                             ;   in Loop: Header=BB4_4231 Depth=2
	s_or_saveexec_b32 s40, s40
	v_mov_b32_e32 v42, 0x7f800001
	s_xor_b32 exec_lo, exec_lo, s40
	s_cbranch_execz .LBB4_4573
.LBB4_4836:                             ;   in Loop: Header=BB4_4231 Depth=2
	v_cmp_ne_u16_sdwa s41, v11, v35 src0_sel:BYTE_1 src1_sel:DWORD
	v_mov_b32_e32 v42, 0
	s_andn2_b32 s13, s13, exec_lo
	s_and_b32 s41, s41, exec_lo
	s_or_b32 s13, s13, s41
	s_or_b32 exec_lo, exec_lo, s40
	s_and_saveexec_b32 s40, s13
	s_cbranch_execnz .LBB4_4574
	s_branch .LBB4_4575
.LBB4_4837:                             ;   in Loop: Header=BB4_4231 Depth=2
	s_or_saveexec_b32 s40, s40
	v_mov_b32_e32 v116, 0x7f800001
	s_xor_b32 exec_lo, exec_lo, s40
	s_cbranch_execz .LBB4_4587
.LBB4_4838:                             ;   in Loop: Header=BB4_4231 Depth=2
	v_cmp_ne_u16_sdwa s41, v119, v35 src0_sel:BYTE_0 src1_sel:DWORD
	v_mov_b32_e32 v116, 0
	s_andn2_b32 s13, s13, exec_lo
	s_and_b32 s41, s41, exec_lo
	s_or_b32 s13, s13, s41
	s_or_b32 exec_lo, exec_lo, s40
	v_lshl_or_b32 v119, v119, 16, v41
	s_and_saveexec_b32 s40, s13
	s_cbranch_execnz .LBB4_4588
	s_branch .LBB4_4589
.LBB4_4839:                             ;   in Loop: Header=BB4_4231 Depth=2
	s_or_saveexec_b32 s40, s40
	v_mov_b32_e32 v41, 0x7f800001
	s_xor_b32 exec_lo, exec_lo, s40
	s_cbranch_execz .LBB4_4593
.LBB4_4840:                             ;   in Loop: Header=BB4_4231 Depth=2
	v_cmp_ne_u16_e32 vcc_lo, 0, v42
	v_mov_b32_e32 v41, 0
	s_andn2_b32 s13, s13, exec_lo
	s_and_b32 s41, vcc_lo, exec_lo
	s_or_b32 s13, s13, s41
	s_or_b32 exec_lo, exec_lo, s40
	s_and_saveexec_b32 s40, s13
	s_cbranch_execnz .LBB4_4594
	s_branch .LBB4_4595
.LBB4_4841:                             ;   in Loop: Header=BB4_4231 Depth=2
	s_or_saveexec_b32 s40, s40
	v_mov_b32_e32 v41, 0x7f800001
	s_xor_b32 exec_lo, exec_lo, s40
	s_cbranch_execz .LBB4_4607
.LBB4_4842:                             ;   in Loop: Header=BB4_4231 Depth=2
	v_cmp_ne_u16_sdwa s41, v119, v35 src0_sel:BYTE_3 src1_sel:DWORD
	v_mov_b32_e32 v41, 0
	s_andn2_b32 s13, s13, exec_lo
	s_and_b32 s41, s41, exec_lo
	s_or_b32 s13, s13, s41
	s_or_b32 exec_lo, exec_lo, s40
	s_and_saveexec_b32 s40, s13
	s_cbranch_execnz .LBB4_4608
	s_branch .LBB4_4609
.LBB4_4843:                             ;   in Loop: Header=BB4_4231 Depth=2
	s_or_saveexec_b32 s40, s40
	v_mov_b32_e32 v119, 0x7f800001
	s_xor_b32 exec_lo, exec_lo, s40
	s_cbranch_execz .LBB4_4613
.LBB4_4844:                             ;   in Loop: Header=BB4_4231 Depth=2
	v_cmp_ne_u16_sdwa s41, v11, v35 src0_sel:BYTE_3 src1_sel:DWORD
	v_mov_b32_e32 v119, 0
	s_andn2_b32 s13, s13, exec_lo
	s_and_b32 s41, s41, exec_lo
	s_or_b32 s13, s13, s41
	s_or_b32 exec_lo, exec_lo, s40
	s_and_saveexec_b32 s40, s13
	s_cbranch_execnz .LBB4_4614
	s_branch .LBB4_4615
.LBB4_4845:                             ;   in Loop: Header=BB4_4231 Depth=2
	s_or_saveexec_b32 s40, s40
	v_mov_b32_e32 v113, 0x7f800001
	s_xor_b32 exec_lo, exec_lo, s40
	s_cbranch_execz .LBB4_4627
.LBB4_4846:                             ;   in Loop: Header=BB4_4231 Depth=2
	v_cmp_ne_u16_sdwa s41, v119, v35 src0_sel:BYTE_0 src1_sel:DWORD
	v_mov_b32_e32 v113, 0
	s_andn2_b32 s13, s13, exec_lo
	s_and_b32 s41, s41, exec_lo
	s_or_b32 s13, s13, s41
	s_or_b32 exec_lo, exec_lo, s40
	s_and_saveexec_b32 s40, s13
	s_cbranch_execnz .LBB4_4628
	s_branch .LBB4_4629
.LBB4_4847:                             ;   in Loop: Header=BB4_4231 Depth=2
	s_or_saveexec_b32 s40, s40
	v_mov_b32_e32 v117, 0x7f800001
	s_xor_b32 exec_lo, exec_lo, s40
	s_cbranch_execz .LBB4_4633
.LBB4_4848:                             ;   in Loop: Header=BB4_4231 Depth=2
	v_cmp_ne_u16_sdwa s41, v12, v35 src0_sel:BYTE_0 src1_sel:DWORD
	v_mov_b32_e32 v117, 0
	s_andn2_b32 s13, s13, exec_lo
	s_and_b32 s41, s41, exec_lo
	s_or_b32 s13, s13, s41
	s_or_b32 exec_lo, exec_lo, s40
	s_and_saveexec_b32 s40, s13
	s_cbranch_execnz .LBB4_4634
	s_branch .LBB4_4635
.LBB4_4849:                             ;   in Loop: Header=BB4_4231 Depth=2
	s_or_saveexec_b32 s40, s40
	v_mov_b32_e32 v117, 0x7f800001
	s_xor_b32 exec_lo, exec_lo, s40
	s_cbranch_execz .LBB4_4647
.LBB4_4850:                             ;   in Loop: Header=BB4_4231 Depth=2
	v_cmp_ne_u16_sdwa s41, v119, v35 src0_sel:BYTE_1 src1_sel:DWORD
	v_mov_b32_e32 v117, 0
	s_andn2_b32 s13, s13, exec_lo
	s_and_b32 s41, s41, exec_lo
	s_or_b32 s13, s13, s41
	s_or_b32 exec_lo, exec_lo, s40
	s_and_saveexec_b32 s40, s13
	s_cbranch_execnz .LBB4_4648
	s_branch .LBB4_4649
.LBB4_4851:                             ;   in Loop: Header=BB4_4231 Depth=2
	s_or_saveexec_b32 s40, s40
	v_mov_b32_e32 v41, 0x7f800001
	s_xor_b32 exec_lo, exec_lo, s40
	s_cbranch_execz .LBB4_4653
.LBB4_4852:                             ;   in Loop: Header=BB4_4231 Depth=2
	v_cmp_ne_u16_sdwa s41, v12, v35 src0_sel:BYTE_1 src1_sel:DWORD
	v_mov_b32_e32 v41, 0
	s_andn2_b32 s13, s13, exec_lo
	s_and_b32 s41, s41, exec_lo
	s_or_b32 s13, s13, s41
	s_or_b32 exec_lo, exec_lo, s40
	s_and_saveexec_b32 s40, s13
	s_cbranch_execnz .LBB4_4654
	s_branch .LBB4_4655
.LBB4_4853:                             ;   in Loop: Header=BB4_4231 Depth=2
	s_or_saveexec_b32 s40, s40
	v_mov_b32_e32 v103, 0x7f800001
	s_xor_b32 exec_lo, exec_lo, s40
	s_cbranch_execz .LBB4_4667
.LBB4_4854:                             ;   in Loop: Header=BB4_4231 Depth=2
	v_cmp_ne_u16_sdwa s41, v115, v35 src0_sel:BYTE_0 src1_sel:DWORD
	v_mov_b32_e32 v103, 0
	s_andn2_b32 s13, s13, exec_lo
	s_and_b32 s41, s41, exec_lo
	s_or_b32 s13, s13, s41
	s_or_b32 exec_lo, exec_lo, s40
	v_lshl_or_b32 v115, v115, 16, v119
	s_and_saveexec_b32 s40, s13
	s_cbranch_execnz .LBB4_4668
	s_branch .LBB4_4669
.LBB4_4855:                             ;   in Loop: Header=BB4_4231 Depth=2
	s_or_saveexec_b32 s40, s40
	v_mov_b32_e32 v119, 0x7f800001
	s_xor_b32 exec_lo, exec_lo, s40
	s_cbranch_execz .LBB4_4673
.LBB4_4856:                             ;   in Loop: Header=BB4_4231 Depth=2
	v_cmp_ne_u16_e32 vcc_lo, 0, v41
	v_mov_b32_e32 v119, 0
	s_andn2_b32 s13, s13, exec_lo
	s_and_b32 s41, vcc_lo, exec_lo
	s_or_b32 s13, s13, s41
	s_or_b32 exec_lo, exec_lo, s40
	s_and_saveexec_b32 s40, s13
	s_cbranch_execnz .LBB4_4674
	s_branch .LBB4_4675
.LBB4_4857:                             ;   in Loop: Header=BB4_4231 Depth=2
	s_or_saveexec_b32 s40, s40
	v_mov_b32_e32 v119, 0x7f800001
	s_xor_b32 exec_lo, exec_lo, s40
	s_cbranch_execz .LBB4_4687
.LBB4_4858:                             ;   in Loop: Header=BB4_4231 Depth=2
	v_cmp_ne_u16_sdwa s41, v115, v35 src0_sel:BYTE_3 src1_sel:DWORD
	v_mov_b32_e32 v119, 0
	s_andn2_b32 s13, s13, exec_lo
	s_and_b32 s41, s41, exec_lo
	s_or_b32 s13, s13, s41
	s_or_b32 exec_lo, exec_lo, s40
	s_and_saveexec_b32 s40, s13
	s_cbranch_execnz .LBB4_4688
	s_branch .LBB4_4689
.LBB4_4859:                             ;   in Loop: Header=BB4_4231 Depth=2
	s_or_saveexec_b32 s40, s40
	v_mov_b32_e32 v115, 0x7f800001
	s_xor_b32 exec_lo, exec_lo, s40
	s_cbranch_execz .LBB4_4693
.LBB4_4860:                             ;   in Loop: Header=BB4_4231 Depth=2
	v_cmp_ne_u16_sdwa s41, v12, v35 src0_sel:BYTE_3 src1_sel:DWORD
	v_mov_b32_e32 v115, 0
	s_andn2_b32 s13, s13, exec_lo
	s_and_b32 s41, s41, exec_lo
	s_or_b32 s13, s13, s41
	s_or_b32 exec_lo, exec_lo, s40
	s_and_saveexec_b32 s40, s13
	s_cbranch_execnz .LBB4_4694
	s_branch .LBB4_4695
.LBB4_4861:                             ;   in Loop: Header=BB4_4231 Depth=2
	s_or_saveexec_b32 s40, s40
	v_mov_b32_e32 v100, 0x7f800001
	s_xor_b32 exec_lo, exec_lo, s40
	s_cbranch_execz .LBB4_4707
.LBB4_4862:                             ;   in Loop: Header=BB4_4231 Depth=2
	v_cmp_ne_u16_sdwa s41, v112, v35 src0_sel:BYTE_0 src1_sel:DWORD
	v_mov_b32_e32 v100, 0
	s_andn2_b32 s13, s13, exec_lo
	s_and_b32 s41, s41, exec_lo
	s_or_b32 s13, s13, s41
	s_or_b32 exec_lo, exec_lo, s40
	s_and_saveexec_b32 s40, s13
	s_cbranch_execnz .LBB4_4708
	s_branch .LBB4_4709
.LBB4_4863:                             ;   in Loop: Header=BB4_4231 Depth=2
	s_or_saveexec_b32 s40, s40
	v_mov_b32_e32 v115, 0x7f800001
	s_xor_b32 exec_lo, exec_lo, s40
	s_cbranch_execz .LBB4_4713
.LBB4_4864:                             ;   in Loop: Header=BB4_4231 Depth=2
	v_cmp_ne_u16_sdwa s41, v13, v35 src0_sel:BYTE_0 src1_sel:DWORD
	v_mov_b32_e32 v115, 0
	s_andn2_b32 s13, s13, exec_lo
	s_and_b32 s41, s41, exec_lo
	s_or_b32 s13, s13, s41
	s_or_b32 exec_lo, exec_lo, s40
	s_and_saveexec_b32 s40, s13
	s_cbranch_execnz .LBB4_4714
	s_branch .LBB4_4715
.LBB4_4865:                             ;   in Loop: Header=BB4_4231 Depth=2
	s_or_saveexec_b32 s40, s40
	v_mov_b32_e32 v115, 0x7f800001
	s_xor_b32 exec_lo, exec_lo, s40
	s_cbranch_execz .LBB4_4727
.LBB4_4866:                             ;   in Loop: Header=BB4_4231 Depth=2
	v_cmp_ne_u16_sdwa s41, v112, v35 src0_sel:BYTE_1 src1_sel:DWORD
	v_mov_b32_e32 v115, 0
	s_andn2_b32 s13, s13, exec_lo
	s_and_b32 s41, s41, exec_lo
	s_or_b32 s13, s13, s41
	s_or_b32 exec_lo, exec_lo, s40
	s_and_saveexec_b32 s40, s13
	s_cbranch_execnz .LBB4_4728
	s_branch .LBB4_4729
.LBB4_4867:                             ;   in Loop: Header=BB4_4231 Depth=2
	s_or_saveexec_b32 s40, s40
	v_mov_b32_e32 v119, 0x7f800001
	s_xor_b32 exec_lo, exec_lo, s40
	s_cbranch_execz .LBB4_4733
.LBB4_4868:                             ;   in Loop: Header=BB4_4231 Depth=2
	v_cmp_ne_u16_sdwa s41, v13, v35 src0_sel:BYTE_1 src1_sel:DWORD
	v_mov_b32_e32 v119, 0
	s_andn2_b32 s13, s13, exec_lo
	s_and_b32 s41, s41, exec_lo
	s_or_b32 s13, s13, s41
	s_or_b32 exec_lo, exec_lo, s40
	s_and_saveexec_b32 s40, s13
	s_cbranch_execnz .LBB4_4734
	s_branch .LBB4_4735
.LBB4_4869:                             ;   in Loop: Header=BB4_4231 Depth=2
	s_or_saveexec_b32 s40, s40
	v_mov_b32_e32 v99, 0x7f800001
	s_xor_b32 exec_lo, exec_lo, s40
	s_cbranch_execz .LBB4_4747
.LBB4_4870:                             ;   in Loop: Header=BB4_4231 Depth=2
	v_cmp_ne_u16_sdwa s41, v102, v35 src0_sel:BYTE_0 src1_sel:DWORD
	v_mov_b32_e32 v99, 0
	s_andn2_b32 s13, s13, exec_lo
	s_and_b32 s41, s41, exec_lo
	s_or_b32 s13, s13, s41
	s_or_b32 exec_lo, exec_lo, s40
	v_lshl_or_b32 v102, v102, 16, v112
	s_and_saveexec_b32 s40, s13
	s_cbranch_execnz .LBB4_4748
	s_branch .LBB4_4749
.LBB4_4871:                             ;   in Loop: Header=BB4_4231 Depth=2
	s_or_saveexec_b32 s40, s40
	v_mov_b32_e32 v112, 0x7f800001
	s_xor_b32 exec_lo, exec_lo, s40
	s_cbranch_execz .LBB4_4753
.LBB4_4872:                             ;   in Loop: Header=BB4_4231 Depth=2
	v_cmp_ne_u16_e32 vcc_lo, 0, v119
	v_mov_b32_e32 v112, 0
	s_andn2_b32 s13, s13, exec_lo
	s_and_b32 s41, vcc_lo, exec_lo
	s_or_b32 s13, s13, s41
	s_or_b32 exec_lo, exec_lo, s40
	s_and_saveexec_b32 s40, s13
	s_cbranch_execnz .LBB4_4754
	s_branch .LBB4_4755
.LBB4_4873:                             ;   in Loop: Header=BB4_4231 Depth=2
	s_or_saveexec_b32 s40, s40
	v_mov_b32_e32 v112, 0x7f800001
	s_xor_b32 exec_lo, exec_lo, s40
	s_cbranch_execz .LBB4_4767
.LBB4_4874:                             ;   in Loop: Header=BB4_4231 Depth=2
	v_cmp_ne_u16_sdwa s41, v102, v35 src0_sel:BYTE_3 src1_sel:DWORD
	v_mov_b32_e32 v112, 0
	s_andn2_b32 s13, s13, exec_lo
	s_and_b32 s41, s41, exec_lo
	s_or_b32 s13, s13, s41
	s_or_b32 exec_lo, exec_lo, s40
	s_and_saveexec_b32 s40, s13
	s_cbranch_execnz .LBB4_4768
	s_branch .LBB4_4769
.LBB4_4875:                             ;   in Loop: Header=BB4_4231 Depth=2
	s_or_saveexec_b32 s40, s40
	v_mov_b32_e32 v102, 0x7f800001
	s_xor_b32 exec_lo, exec_lo, s40
	s_cbranch_execz .LBB4_4773
.LBB4_4876:                             ;   in Loop: Header=BB4_4231 Depth=2
	v_cmp_ne_u16_sdwa s41, v13, v35 src0_sel:BYTE_3 src1_sel:DWORD
	v_mov_b32_e32 v102, 0
	s_andn2_b32 s13, s13, exec_lo
	s_and_b32 s41, s41, exec_lo
	s_or_b32 s13, s13, s41
	s_or_b32 exec_lo, exec_lo, s40
	s_and_saveexec_b32 s40, s13
	s_cbranch_execnz .LBB4_4774
	s_branch .LBB4_4775
.LBB4_4877:                             ;   in Loop: Header=BB4_2861 Depth=1
	s_or_b32 exec_lo, exec_lo, s27
.LBB4_4878:                             ;   in Loop: Header=BB4_2861 Depth=1
	s_or_b32 exec_lo, exec_lo, s26
	v_cmp_lt_i32_e32 vcc_lo, 0, v64
	v_and_b32_e32 v10, 15, v34
	v_and_b32_e32 v11, 0x1f0, v34
	v_cndmask_b32_e32 v12, 0, v70, vcc_lo
	v_cndmask_b32_e64 v53, v55, v10, s12
	v_cndmask_b32_e64 v10, 0, v11, s12
	v_sub_nc_u32_e32 v11, v12, v64
	v_cmp_ne_u32_e32 vcc_lo, 0, v53
	v_and_or_b32 v52, 0x3ffffe00, v34, v10
	v_lshl_add_u32 v54, v11, 5, v54
	s_and_b32 s12, vcc_lo, exec_lo
.LBB4_4879:                             ;   in Loop: Header=BB4_2861 Depth=1
	s_or_b32 exec_lo, exec_lo, s25
	s_and_saveexec_b32 s13, s12
	s_cbranch_execz .LBB4_5584
.LBB4_4880:                             ;   in Loop: Header=BB4_2861 Depth=1
	v_ashrrev_i32_e32 v10, 31, v54
	v_lshrrev_b32_e32 v11, 9, v53
	s_mov_b32 s25, exec_lo
	v_lshrrev_b32_e32 v10, 27, v10
	v_add_nc_u32_e32 v10, v54, v10
	v_ashrrev_i32_e32 v55, 5, v10
	v_sub_nc_u32_e32 v64, v11, v55
	v_cmpx_lt_i32_e32 0, v64
	s_cbranch_execz .LBB4_5532
; %bb.4881:                             ;   in Loop: Header=BB4_2861 Depth=1
	v_and_b32_e32 v10, 0xffffffe0, v10
	s_trap 2
	ds_read_b64 v[12:13], v0
	v_lshlrev_b32_e32 v11, 9, v55
	v_add_co_u32 v16, vcc_lo, 0x1e0, v50
	v_sub_nc_u32_e32 v10, v54, v10
	v_add_co_ci_u32_e64 v17, null, 0, v51, vcc_lo
	s_mov_b32 s26, 0
	v_add3_u32 v14, v52, v10, v11
	v_ashrrev_i32_e32 v15, 31, v14
	v_add_co_u32 v10, vcc_lo, v14, v48
	v_add_co_ci_u32_e64 v11, null, v15, v49, vcc_lo
	s_waitcnt lgkmcnt(0)
	v_add_co_u32 v12, vcc_lo, v12, v14
	v_add_co_ci_u32_e64 v13, null, v13, v15, vcc_lo
	v_add_co_u32 v14, vcc_lo, v16, v14
	v_add_co_ci_u32_e64 v15, null, v17, v15, vcc_lo
	s_branch .LBB4_4885
.LBB4_4882:                             ;   in Loop: Header=BB4_4885 Depth=2
	s_or_b32 exec_lo, exec_lo, s12
	v_lshrrev_b32_e32 v51, 20, v51
	v_cmp_gt_i32_e32 vcc_lo, 16, v16
	v_min_i32_e32 v102, 15, v16
	v_and_b32_sdwa v17, v17, v85 dst_sel:DWORD dst_unused:UNUSED_PAD src0_sel:BYTE_3 src1_sel:DWORD
	v_cndmask_b32_e32 v51, 7, v51, vcc_lo
	v_lshlrev_b32_e32 v102, 3, v102
	v_and_b32_e32 v115, 7, v51
	v_or_b32_e32 v16, v16, v51
	v_or3_b32 v17, v102, v17, v115
	v_cmp_ne_u32_e32 vcc_lo, 0, v16
	v_cndmask_b32_e32 v16, 0, v17, vcc_lo
.LBB4_4883:                             ;   in Loop: Header=BB4_4885 Depth=2
	s_or_b32 exec_lo, exec_lo, s28
.LBB4_4884:                             ;   in Loop: Header=BB4_4885 Depth=2
	s_or_b32 exec_lo, exec_lo, s27
	v_add_co_u32 v40, vcc_lo, 0xfffffe20, v14
	v_add_co_ci_u32_e64 v41, null, -1, v15, vcc_lo
	v_add_co_u32 v42, vcc_lo, 0xfffffe40, v14
	v_add_co_ci_u32_e64 v43, null, -1, v15, vcc_lo
	;; [unrolled: 2-line block ×5, first 2 shown]
	flat_store_byte v[40:41], v48 glc slc
	flat_store_byte v[42:43], v99 glc slc
	;; [unrolled: 1-line block ×5, first 2 shown]
	v_add_co_u32 v117, vcc_lo, 0xfffffec0, v14
	v_add_co_ci_u32_e64 v118, null, -1, v15, vcc_lo
	v_add_co_u32 v40, vcc_lo, 0xfffffee0, v14
	v_add_co_ci_u32_e64 v41, null, -1, v15, vcc_lo
	;; [unrolled: 2-line block ×5, first 2 shown]
	flat_store_byte v[117:118], v116 glc slc
	flat_store_byte v[40:41], v114 glc slc
	;; [unrolled: 1-line block ×5, first 2 shown]
	v_add_co_u32 v101, vcc_lo, 0xffffff60, v14
	v_add_co_ci_u32_e64 v102, null, -1, v15, vcc_lo
	v_add_co_u32 v112, vcc_lo, 0xffffff80, v14
	v_add_co_ci_u32_e64 v113, null, -1, v15, vcc_lo
	;; [unrolled: 2-line block ×4, first 2 shown]
	v_add_co_u32 v118, vcc_lo, 0xffffffe0, v14
	v_sub_nc_u32_e32 v64, v64, v70
	v_add_co_ci_u32_e64 v119, null, -1, v15, vcc_lo
	v_add_co_u32 v10, vcc_lo, v10, v81
	v_add_co_ci_u32_e64 v11, null, 0, v11, vcc_lo
	v_add_co_u32 v12, vcc_lo, v12, v81
	flat_store_byte v[101:102], v100 glc slc
	flat_store_byte v[112:113], v98 glc slc
	flat_store_byte v[114:115], v65 glc slc
	flat_store_byte v[116:117], v50 glc slc
	flat_store_byte v[118:119], v49 glc slc
	flat_store_byte v[14:15], v16 glc slc
	v_add_co_ci_u32_e64 v13, null, 0, v13, vcc_lo
	v_cmp_gt_i32_e32 vcc_lo, 1, v64
	v_add_co_u32 v14, s12, v14, v81
	v_add_co_ci_u32_e64 v15, null, 0, v15, s12
	s_or_b32 s26, vcc_lo, s26
	s_andn2_b32 exec_lo, exec_lo, s26
	s_cbranch_execz .LBB4_5531
.LBB4_4885:                             ;   Parent Loop BB4_2861 Depth=1
                                        ; =>  This Inner Loop Header: Depth=2
	s_trap 2
	ds_read_b64 v[16:17], v0
	s_waitcnt lgkmcnt(0)
	v_readfirstlane_b32 s12, v16
	s_and_b32 s27, s12, 0xff
	s_cmpk_lt_i32 s27, 0x80
	s_cbranch_scc1 .LBB4_4889
; %bb.4886:                             ;   in Loop: Header=BB4_4885 Depth=2
	s_and_b32 s28, 0xffff, s27
	s_cmpk_eq_i32 s28, 0x80
	s_mov_b32 s28, -1
	s_cbranch_scc0 .LBB4_4888
; %bb.4887:                             ;   in Loop: Header=BB4_4885 Depth=2
	s_mov_b32 s28, 0
.LBB4_4888:                             ;   in Loop: Header=BB4_4885 Depth=2
	s_mov_b32 s29, 0x7f800001
	s_branch .LBB4_4891
.LBB4_4889:                             ;   in Loop: Header=BB4_4885 Depth=2
	s_mov_b32 s28, 0
	s_mov_b32 s29, 0x7f800001
	s_cbranch_execz .LBB4_4891
; %bb.4890:                             ;   in Loop: Header=BB4_4885 Depth=2
	s_and_b32 s27, 0xffff, s27
	s_mov_b32 s29, 0
	s_cmp_lg_u32 s27, 0
	s_cselect_b32 s28, -1, 0
.LBB4_4891:                             ;   in Loop: Header=BB4_4885 Depth=2
	v_mov_b32_e32 v17, s29
	s_andn2_b32 vcc_lo, exec_lo, s28
	s_cbranch_vccnz .LBB4_4893
; %bb.4892:                             ;   in Loop: Header=BB4_4885 Depth=2
	s_and_b32 s27, s12, 7
	s_bfe_u32 s29, s12, 0x40003
	s_flbit_i32_b32 s28, s27
	v_lshlrev_b32_e32 v16, 24, v16
	s_min_u32 s28, s28, 32
	s_sub_i32 s40, s28, 28
	s_sub_i32 s28, 29, s28
	s_lshl_b32 s12, s12, s40
	v_and_b32_e32 v16, 0x80000000, v16
	s_and_b32 s12, s12, 7
	s_cmp_eq_u32 s29, 0
	s_cselect_b32 s28, s28, s29
	s_cselect_b32 s12, s12, s27
	s_lshl_b32 s27, s28, 23
	s_lshl_b32 s12, s12, 20
	s_add_i32 s27, s27, 0x3b800000
	v_or_b32_e32 v16, s27, v16
	v_or_b32_e32 v17, s12, v16
.LBB4_4893:                             ;   in Loop: Header=BB4_4885 Depth=2
	flat_load_ubyte v16, v[10:11] slc
	s_mov_b32 s12, 0
	s_mov_b32 s27, exec_lo
	s_waitcnt vmcnt(0) lgkmcnt(0)
	v_cmpx_lt_i16_e32 0x7f, v16
	s_xor_b32 s27, exec_lo, s27
	s_cbranch_execz .LBB4_5435
; %bb.4894:                             ;   in Loop: Header=BB4_4885 Depth=2
	s_mov_b32 s12, -1
	s_mov_b32 s28, exec_lo
	v_cmpx_eq_u16_e32 0x80, v16
; %bb.4895:                             ;   in Loop: Header=BB4_4885 Depth=2
	s_xor_b32 s12, exec_lo, -1
; %bb.4896:                             ;   in Loop: Header=BB4_4885 Depth=2
	s_or_b32 exec_lo, exec_lo, s28
	s_and_b32 s12, s12, exec_lo
	s_or_saveexec_b32 s27, s27
	v_mov_b32_e32 v48, 0x7f800001
	s_xor_b32 exec_lo, exec_lo, s27
	s_cbranch_execnz .LBB4_5436
.LBB4_4897:                             ;   in Loop: Header=BB4_4885 Depth=2
	s_or_b32 exec_lo, exec_lo, s27
	s_and_saveexec_b32 s27, s12
	s_cbranch_execz .LBB4_4899
.LBB4_4898:                             ;   in Loop: Header=BB4_4885 Depth=2
	v_and_b32_e32 v48, 0xffff, v16
	v_lshlrev_b32_e32 v16, 24, v16
	v_and_b32_e32 v49, 7, v48
	v_bfe_u32 v65, v48, 3, 4
	v_and_b32_e32 v16, 0x80000000, v16
	v_ffbh_u32_e32 v50, v49
	v_cmp_eq_u32_e32 vcc_lo, 0, v65
	v_min_u32_e32 v50, 32, v50
	v_subrev_nc_u32_e32 v51, 28, v50
	v_sub_nc_u32_e32 v50, 29, v50
	v_lshlrev_b32_e32 v48, v51, v48
	v_cndmask_b32_e32 v50, v65, v50, vcc_lo
	v_and_b32_e32 v48, 7, v48
	v_cndmask_b32_e32 v48, v49, v48, vcc_lo
	v_lshl_add_u32 v49, v50, 23, 0x3b800000
	v_lshlrev_b32_e32 v48, 20, v48
	v_or3_b32 v48, v16, v49, v48
.LBB4_4899:                             ;   in Loop: Header=BB4_4885 Depth=2
	s_or_b32 exec_lo, exec_lo, s27
	v_mul_f32_e32 v16, v17, v48
	v_and_b32_e32 v48, 0x7f800000, v16
	v_cmp_ne_u32_e32 vcc_lo, 0x7f800000, v48
	v_mov_b32_e32 v48, 0x80
	s_and_saveexec_b32 s27, vcc_lo
	s_cbranch_execz .LBB4_4907
; %bb.4900:                             ;   in Loop: Header=BB4_4885 Depth=2
	v_mov_b32_e32 v48, 0
	s_mov_b32 s28, exec_lo
	v_cmpx_ne_u32_e32 0, v16
	s_cbranch_execz .LBB4_4906
; %bb.4901:                             ;   in Loop: Header=BB4_4885 Depth=2
	v_bfe_u32 v48, v16, 23, 8
	v_and_b32_e32 v49, 0x7fffff, v16
	v_sub_nc_u32_e32 v50, 0x78, v48
	v_cmp_gt_u32_e32 vcc_lo, 0x79, v48
	v_or_b32_e32 v51, 0x800000, v49
	v_cndmask_b32_e32 v50, 0, v50, vcc_lo
	v_cmp_eq_u32_e32 vcc_lo, 0, v48
	v_add_nc_u32_e32 v48, 0xffffff89, v48
	v_cndmask_b32_e64 v50, v50, 0x77, vcc_lo
	v_cndmask_b32_e32 v49, v51, v49, vcc_lo
	v_cndmask_b32_e64 v48, v48, 0xffffff8a, vcc_lo
	v_lshl_add_u32 v51, 0x100000, v50, -1
	v_lshrrev_b32_e32 v65, v50, v49
	v_lshlrev_b32_e64 v99, v50, 0x80000
	v_add_nc_u32_e32 v50, v50, v48
	v_and_b32_e32 v49, v51, v49
	v_bfe_u32 v98, v65, 20, 1
	v_cmp_eq_u32_e64 s12, v49, v99
	v_add_nc_u32_e32 v51, -1, v98
	v_cndmask_b32_e64 v49, 0, v51, s12
	v_lshrrev_b32_e32 v51, 23, v65
	s_mov_b32 s12, exec_lo
	v_add_nc_u32_e32 v49, v49, v65
	v_xor_b32_e32 v51, 1, v51
	v_and_b32_e32 v48, 0xfffff, v49
	v_add_nc_u32_e32 v49, v48, v65
                                        ; implicit-def: $vgpr48
	v_cmpx_ne_u32_e64 v50, v51
	s_xor_b32 s12, exec_lo, s12
; %bb.4902:                             ;   in Loop: Header=BB4_4885 Depth=2
	v_cmp_lt_u32_e32 vcc_lo, 0xffffff, v49
	v_sub_nc_u32_e32 v48, v50, v51
	v_cndmask_b32_e64 v50, 0, 1, vcc_lo
	v_add_co_ci_u32_e64 v48, null, 0, v48, vcc_lo
	v_lshrrev_b32_e32 v49, v50, v49
; %bb.4903:                             ;   in Loop: Header=BB4_4885 Depth=2
	s_andn2_saveexec_b32 s12, s12
; %bb.4904:                             ;   in Loop: Header=BB4_4885 Depth=2
	v_bfe_u32 v48, v49, 23, 1
; %bb.4905:                             ;   in Loop: Header=BB4_4885 Depth=2
	s_or_b32 exec_lo, exec_lo, s12
	v_lshrrev_b32_e32 v49, 20, v49
	v_cmp_gt_i32_e32 vcc_lo, 16, v48
	v_min_i32_e32 v50, 15, v48
	v_and_b32_sdwa v16, v16, v85 dst_sel:DWORD dst_unused:UNUSED_PAD src0_sel:BYTE_3 src1_sel:DWORD
	v_cndmask_b32_e32 v49, 7, v49, vcc_lo
	v_lshlrev_b32_e32 v50, 3, v50
	v_and_b32_e32 v51, 7, v49
	v_or_b32_e32 v48, v48, v49
	v_or3_b32 v16, v50, v16, v51
	v_cmp_ne_u32_e32 vcc_lo, 0, v48
	v_cndmask_b32_e32 v48, 0, v16, vcc_lo
.LBB4_4906:                             ;   in Loop: Header=BB4_4885 Depth=2
	s_or_b32 exec_lo, exec_lo, s28
.LBB4_4907:                             ;   in Loop: Header=BB4_4885 Depth=2
	s_or_b32 exec_lo, exec_lo, s27
	flat_load_ubyte v16, v[10:11] offset:32 slc
	s_mov_b32 s12, 0
	s_mov_b32 s27, exec_lo
	s_waitcnt vmcnt(0) lgkmcnt(0)
	v_cmpx_lt_i16_e32 0x7f, v16
	s_xor_b32 s27, exec_lo, s27
	s_cbranch_execz .LBB4_5437
; %bb.4908:                             ;   in Loop: Header=BB4_4885 Depth=2
	s_mov_b32 s12, -1
	s_mov_b32 s28, exec_lo
	v_cmpx_eq_u16_e32 0x80, v16
; %bb.4909:                             ;   in Loop: Header=BB4_4885 Depth=2
	s_xor_b32 s12, exec_lo, -1
; %bb.4910:                             ;   in Loop: Header=BB4_4885 Depth=2
	s_or_b32 exec_lo, exec_lo, s28
	s_and_b32 s12, s12, exec_lo
	s_or_saveexec_b32 s27, s27
	v_mov_b32_e32 v49, 0x7f800001
	s_xor_b32 exec_lo, exec_lo, s27
	s_cbranch_execnz .LBB4_5438
.LBB4_4911:                             ;   in Loop: Header=BB4_4885 Depth=2
	s_or_b32 exec_lo, exec_lo, s27
	s_and_saveexec_b32 s27, s12
	s_cbranch_execz .LBB4_4913
.LBB4_4912:                             ;   in Loop: Header=BB4_4885 Depth=2
	v_and_b32_e32 v49, 0xffff, v16
	v_lshlrev_b32_e32 v16, 24, v16
	v_and_b32_e32 v50, 7, v49
	v_bfe_u32 v98, v49, 3, 4
	v_and_b32_e32 v16, 0x80000000, v16
	v_ffbh_u32_e32 v51, v50
	v_cmp_eq_u32_e32 vcc_lo, 0, v98
	v_min_u32_e32 v51, 32, v51
	v_subrev_nc_u32_e32 v65, 28, v51
	v_sub_nc_u32_e32 v51, 29, v51
	v_lshlrev_b32_e32 v49, v65, v49
	v_cndmask_b32_e32 v51, v98, v51, vcc_lo
	v_and_b32_e32 v49, 7, v49
	v_cndmask_b32_e32 v49, v50, v49, vcc_lo
	v_lshl_add_u32 v50, v51, 23, 0x3b800000
	v_lshlrev_b32_e32 v49, 20, v49
	v_or3_b32 v49, v16, v50, v49
.LBB4_4913:                             ;   in Loop: Header=BB4_4885 Depth=2
	s_or_b32 exec_lo, exec_lo, s27
	v_mul_f32_e32 v16, v17, v49
	v_mov_b32_e32 v99, 0x80
	s_mov_b32 s27, exec_lo
	v_and_b32_e32 v49, 0x7f800000, v16
	v_cmpx_ne_u32_e32 0x7f800000, v49
	s_cbranch_execz .LBB4_4921
; %bb.4914:                             ;   in Loop: Header=BB4_4885 Depth=2
	v_mov_b32_e32 v99, 0
	s_mov_b32 s28, exec_lo
	v_cmpx_ne_u32_e32 0, v16
	s_cbranch_execz .LBB4_4920
; %bb.4915:                             ;   in Loop: Header=BB4_4885 Depth=2
	v_bfe_u32 v49, v16, 23, 8
	v_and_b32_e32 v50, 0x7fffff, v16
	v_sub_nc_u32_e32 v51, 0x78, v49
	v_cmp_gt_u32_e32 vcc_lo, 0x79, v49
	v_or_b32_e32 v65, 0x800000, v50
	v_cndmask_b32_e32 v51, 0, v51, vcc_lo
	v_cmp_eq_u32_e32 vcc_lo, 0, v49
	v_add_nc_u32_e32 v49, 0xffffff89, v49
	v_cndmask_b32_e64 v51, v51, 0x77, vcc_lo
	v_cndmask_b32_e32 v50, v65, v50, vcc_lo
	v_cndmask_b32_e64 v49, v49, 0xffffff8a, vcc_lo
	v_lshl_add_u32 v65, 0x100000, v51, -1
	v_lshrrev_b32_e32 v98, v51, v50
	v_lshlrev_b32_e64 v100, v51, 0x80000
	v_add_nc_u32_e32 v51, v51, v49
	v_and_b32_e32 v50, v65, v50
	v_bfe_u32 v99, v98, 20, 1
	v_cmp_eq_u32_e64 s12, v50, v100
	v_add_nc_u32_e32 v65, -1, v99
	v_cndmask_b32_e64 v50, 0, v65, s12
	v_lshrrev_b32_e32 v65, 23, v98
	s_mov_b32 s12, exec_lo
	v_add_nc_u32_e32 v50, v50, v98
	v_xor_b32_e32 v65, 1, v65
	v_and_b32_e32 v49, 0xfffff, v50
	v_add_nc_u32_e32 v50, v49, v98
                                        ; implicit-def: $vgpr49
	v_cmpx_ne_u32_e64 v51, v65
	s_xor_b32 s12, exec_lo, s12
; %bb.4916:                             ;   in Loop: Header=BB4_4885 Depth=2
	v_cmp_lt_u32_e32 vcc_lo, 0xffffff, v50
	v_sub_nc_u32_e32 v49, v51, v65
	v_cndmask_b32_e64 v51, 0, 1, vcc_lo
	v_add_co_ci_u32_e64 v49, null, 0, v49, vcc_lo
	v_lshrrev_b32_e32 v50, v51, v50
; %bb.4917:                             ;   in Loop: Header=BB4_4885 Depth=2
	s_andn2_saveexec_b32 s12, s12
; %bb.4918:                             ;   in Loop: Header=BB4_4885 Depth=2
	v_bfe_u32 v49, v50, 23, 1
; %bb.4919:                             ;   in Loop: Header=BB4_4885 Depth=2
	s_or_b32 exec_lo, exec_lo, s12
	v_lshrrev_b32_e32 v50, 20, v50
	v_cmp_gt_i32_e32 vcc_lo, 16, v49
	v_min_i32_e32 v51, 15, v49
	v_and_b32_sdwa v16, v16, v85 dst_sel:DWORD dst_unused:UNUSED_PAD src0_sel:BYTE_3 src1_sel:DWORD
	v_cndmask_b32_e32 v50, 7, v50, vcc_lo
	v_lshlrev_b32_e32 v51, 3, v51
	v_and_b32_e32 v65, 7, v50
	v_or_b32_e32 v49, v49, v50
	v_or3_b32 v16, v51, v16, v65
	v_cmp_ne_u32_e32 vcc_lo, 0, v49
	v_cndmask_b32_e32 v99, 0, v16, vcc_lo
.LBB4_4920:                             ;   in Loop: Header=BB4_4885 Depth=2
	s_or_b32 exec_lo, exec_lo, s28
.LBB4_4921:                             ;   in Loop: Header=BB4_4885 Depth=2
	s_or_b32 exec_lo, exec_lo, s27
	flat_load_ubyte v16, v[10:11] offset:64 slc
	s_mov_b32 s12, 0
	s_mov_b32 s27, exec_lo
	s_waitcnt vmcnt(0) lgkmcnt(0)
	v_cmpx_lt_i16_e32 0x7f, v16
	s_xor_b32 s27, exec_lo, s27
	s_cbranch_execz .LBB4_5439
; %bb.4922:                             ;   in Loop: Header=BB4_4885 Depth=2
	s_mov_b32 s12, -1
	s_mov_b32 s28, exec_lo
	v_cmpx_eq_u16_e32 0x80, v16
; %bb.4923:                             ;   in Loop: Header=BB4_4885 Depth=2
	s_xor_b32 s12, exec_lo, -1
; %bb.4924:                             ;   in Loop: Header=BB4_4885 Depth=2
	s_or_b32 exec_lo, exec_lo, s28
	s_and_b32 s12, s12, exec_lo
	s_or_saveexec_b32 s27, s27
	v_mov_b32_e32 v49, 0x7f800001
	s_xor_b32 exec_lo, exec_lo, s27
	s_cbranch_execnz .LBB4_5440
.LBB4_4925:                             ;   in Loop: Header=BB4_4885 Depth=2
	s_or_b32 exec_lo, exec_lo, s27
	s_and_saveexec_b32 s27, s12
	s_cbranch_execz .LBB4_4927
.LBB4_4926:                             ;   in Loop: Header=BB4_4885 Depth=2
	v_and_b32_e32 v49, 0xffff, v16
	v_lshlrev_b32_e32 v16, 24, v16
	v_and_b32_e32 v50, 7, v49
	v_bfe_u32 v98, v49, 3, 4
	v_and_b32_e32 v16, 0x80000000, v16
	v_ffbh_u32_e32 v51, v50
	v_cmp_eq_u32_e32 vcc_lo, 0, v98
	v_min_u32_e32 v51, 32, v51
	v_subrev_nc_u32_e32 v65, 28, v51
	v_sub_nc_u32_e32 v51, 29, v51
	v_lshlrev_b32_e32 v49, v65, v49
	v_cndmask_b32_e32 v51, v98, v51, vcc_lo
	v_and_b32_e32 v49, 7, v49
	v_cndmask_b32_e32 v49, v50, v49, vcc_lo
	v_lshl_add_u32 v50, v51, 23, 0x3b800000
	v_lshlrev_b32_e32 v49, 20, v49
	v_or3_b32 v49, v16, v50, v49
.LBB4_4927:                             ;   in Loop: Header=BB4_4885 Depth=2
	s_or_b32 exec_lo, exec_lo, s27
	v_mul_f32_e32 v16, v17, v49
	v_mov_b32_e32 v112, 0x80
	s_mov_b32 s27, exec_lo
	v_and_b32_e32 v49, 0x7f800000, v16
	v_cmpx_ne_u32_e32 0x7f800000, v49
	s_cbranch_execz .LBB4_4935
; %bb.4928:                             ;   in Loop: Header=BB4_4885 Depth=2
	v_mov_b32_e32 v112, 0
	s_mov_b32 s28, exec_lo
	v_cmpx_ne_u32_e32 0, v16
	s_cbranch_execz .LBB4_4934
; %bb.4929:                             ;   in Loop: Header=BB4_4885 Depth=2
	v_bfe_u32 v49, v16, 23, 8
	v_and_b32_e32 v50, 0x7fffff, v16
	v_sub_nc_u32_e32 v51, 0x78, v49
	v_cmp_gt_u32_e32 vcc_lo, 0x79, v49
	v_or_b32_e32 v65, 0x800000, v50
	v_cndmask_b32_e32 v51, 0, v51, vcc_lo
	v_cmp_eq_u32_e32 vcc_lo, 0, v49
	v_add_nc_u32_e32 v49, 0xffffff89, v49
	v_cndmask_b32_e64 v51, v51, 0x77, vcc_lo
	v_cndmask_b32_e32 v50, v65, v50, vcc_lo
	v_cndmask_b32_e64 v49, v49, 0xffffff8a, vcc_lo
	v_lshl_add_u32 v65, 0x100000, v51, -1
	v_lshrrev_b32_e32 v98, v51, v50
	v_lshlrev_b32_e64 v101, v51, 0x80000
	v_add_nc_u32_e32 v51, v51, v49
	v_and_b32_e32 v50, v65, v50
	v_bfe_u32 v100, v98, 20, 1
	v_cmp_eq_u32_e64 s12, v50, v101
	v_add_nc_u32_e32 v65, -1, v100
	v_cndmask_b32_e64 v50, 0, v65, s12
	v_lshrrev_b32_e32 v65, 23, v98
	s_mov_b32 s12, exec_lo
	v_add_nc_u32_e32 v50, v50, v98
	v_xor_b32_e32 v65, 1, v65
	v_and_b32_e32 v49, 0xfffff, v50
	v_add_nc_u32_e32 v50, v49, v98
                                        ; implicit-def: $vgpr49
	v_cmpx_ne_u32_e64 v51, v65
	s_xor_b32 s12, exec_lo, s12
; %bb.4930:                             ;   in Loop: Header=BB4_4885 Depth=2
	v_cmp_lt_u32_e32 vcc_lo, 0xffffff, v50
	v_sub_nc_u32_e32 v49, v51, v65
	v_cndmask_b32_e64 v51, 0, 1, vcc_lo
	v_add_co_ci_u32_e64 v49, null, 0, v49, vcc_lo
	v_lshrrev_b32_e32 v50, v51, v50
; %bb.4931:                             ;   in Loop: Header=BB4_4885 Depth=2
	s_andn2_saveexec_b32 s12, s12
; %bb.4932:                             ;   in Loop: Header=BB4_4885 Depth=2
	v_bfe_u32 v49, v50, 23, 1
; %bb.4933:                             ;   in Loop: Header=BB4_4885 Depth=2
	s_or_b32 exec_lo, exec_lo, s12
	v_lshrrev_b32_e32 v50, 20, v50
	v_cmp_gt_i32_e32 vcc_lo, 16, v49
	v_min_i32_e32 v51, 15, v49
	v_and_b32_sdwa v16, v16, v85 dst_sel:DWORD dst_unused:UNUSED_PAD src0_sel:BYTE_3 src1_sel:DWORD
	v_cndmask_b32_e32 v50, 7, v50, vcc_lo
	v_lshlrev_b32_e32 v51, 3, v51
	v_and_b32_e32 v65, 7, v50
	v_or_b32_e32 v49, v49, v50
	v_or3_b32 v16, v51, v16, v65
	v_cmp_ne_u32_e32 vcc_lo, 0, v49
	v_cndmask_b32_e32 v112, 0, v16, vcc_lo
.LBB4_4934:                             ;   in Loop: Header=BB4_4885 Depth=2
	s_or_b32 exec_lo, exec_lo, s28
.LBB4_4935:                             ;   in Loop: Header=BB4_4885 Depth=2
	s_or_b32 exec_lo, exec_lo, s27
	flat_load_ubyte v16, v[10:11] offset:96 slc
	s_mov_b32 s12, 0
	s_mov_b32 s27, exec_lo
	s_waitcnt vmcnt(0) lgkmcnt(0)
	v_cmpx_lt_i16_e32 0x7f, v16
	s_xor_b32 s27, exec_lo, s27
	s_cbranch_execz .LBB4_5441
; %bb.4936:                             ;   in Loop: Header=BB4_4885 Depth=2
	s_mov_b32 s12, -1
	s_mov_b32 s28, exec_lo
	v_cmpx_eq_u16_e32 0x80, v16
; %bb.4937:                             ;   in Loop: Header=BB4_4885 Depth=2
	s_xor_b32 s12, exec_lo, -1
; %bb.4938:                             ;   in Loop: Header=BB4_4885 Depth=2
	s_or_b32 exec_lo, exec_lo, s28
	s_and_b32 s12, s12, exec_lo
	s_or_saveexec_b32 s27, s27
	v_mov_b32_e32 v49, 0x7f800001
	s_xor_b32 exec_lo, exec_lo, s27
	s_cbranch_execnz .LBB4_5442
.LBB4_4939:                             ;   in Loop: Header=BB4_4885 Depth=2
	s_or_b32 exec_lo, exec_lo, s27
	s_and_saveexec_b32 s27, s12
	s_cbranch_execz .LBB4_4941
.LBB4_4940:                             ;   in Loop: Header=BB4_4885 Depth=2
	v_and_b32_e32 v49, 0xffff, v16
	v_lshlrev_b32_e32 v16, 24, v16
	v_and_b32_e32 v50, 7, v49
	v_bfe_u32 v98, v49, 3, 4
	v_and_b32_e32 v16, 0x80000000, v16
	v_ffbh_u32_e32 v51, v50
	v_cmp_eq_u32_e32 vcc_lo, 0, v98
	v_min_u32_e32 v51, 32, v51
	v_subrev_nc_u32_e32 v65, 28, v51
	v_sub_nc_u32_e32 v51, 29, v51
	v_lshlrev_b32_e32 v49, v65, v49
	v_cndmask_b32_e32 v51, v98, v51, vcc_lo
	v_and_b32_e32 v49, 7, v49
	v_cndmask_b32_e32 v49, v50, v49, vcc_lo
	v_lshl_add_u32 v50, v51, 23, 0x3b800000
	v_lshlrev_b32_e32 v49, 20, v49
	v_or3_b32 v49, v16, v50, v49
.LBB4_4941:                             ;   in Loop: Header=BB4_4885 Depth=2
	s_or_b32 exec_lo, exec_lo, s27
	v_mul_f32_e32 v16, v17, v49
	v_mov_b32_e32 v117, 0x80
	s_mov_b32 s27, exec_lo
	v_and_b32_e32 v49, 0x7f800000, v16
	v_cmpx_ne_u32_e32 0x7f800000, v49
	s_cbranch_execz .LBB4_4949
; %bb.4942:                             ;   in Loop: Header=BB4_4885 Depth=2
	v_mov_b32_e32 v117, 0
	s_mov_b32 s28, exec_lo
	v_cmpx_ne_u32_e32 0, v16
	s_cbranch_execz .LBB4_4948
; %bb.4943:                             ;   in Loop: Header=BB4_4885 Depth=2
	v_bfe_u32 v49, v16, 23, 8
	v_and_b32_e32 v50, 0x7fffff, v16
	v_sub_nc_u32_e32 v51, 0x78, v49
	v_cmp_gt_u32_e32 vcc_lo, 0x79, v49
	v_or_b32_e32 v65, 0x800000, v50
	v_cndmask_b32_e32 v51, 0, v51, vcc_lo
	v_cmp_eq_u32_e32 vcc_lo, 0, v49
	v_add_nc_u32_e32 v49, 0xffffff89, v49
	v_cndmask_b32_e64 v51, v51, 0x77, vcc_lo
	v_cndmask_b32_e32 v50, v65, v50, vcc_lo
	v_cndmask_b32_e64 v49, v49, 0xffffff8a, vcc_lo
	v_lshl_add_u32 v65, 0x100000, v51, -1
	v_lshrrev_b32_e32 v98, v51, v50
	v_lshlrev_b32_e64 v101, v51, 0x80000
	v_add_nc_u32_e32 v51, v51, v49
	v_and_b32_e32 v50, v65, v50
	v_bfe_u32 v100, v98, 20, 1
	v_cmp_eq_u32_e64 s12, v50, v101
	v_add_nc_u32_e32 v65, -1, v100
	v_cndmask_b32_e64 v50, 0, v65, s12
	v_lshrrev_b32_e32 v65, 23, v98
	s_mov_b32 s12, exec_lo
	v_add_nc_u32_e32 v50, v50, v98
	v_xor_b32_e32 v65, 1, v65
	v_and_b32_e32 v49, 0xfffff, v50
	v_add_nc_u32_e32 v50, v49, v98
                                        ; implicit-def: $vgpr49
	v_cmpx_ne_u32_e64 v51, v65
	s_xor_b32 s12, exec_lo, s12
; %bb.4944:                             ;   in Loop: Header=BB4_4885 Depth=2
	v_cmp_lt_u32_e32 vcc_lo, 0xffffff, v50
	v_sub_nc_u32_e32 v49, v51, v65
	v_cndmask_b32_e64 v51, 0, 1, vcc_lo
	v_add_co_ci_u32_e64 v49, null, 0, v49, vcc_lo
	v_lshrrev_b32_e32 v50, v51, v50
; %bb.4945:                             ;   in Loop: Header=BB4_4885 Depth=2
	s_andn2_saveexec_b32 s12, s12
; %bb.4946:                             ;   in Loop: Header=BB4_4885 Depth=2
	v_bfe_u32 v49, v50, 23, 1
; %bb.4947:                             ;   in Loop: Header=BB4_4885 Depth=2
	s_or_b32 exec_lo, exec_lo, s12
	v_lshrrev_b32_e32 v50, 20, v50
	v_cmp_gt_i32_e32 vcc_lo, 16, v49
	v_min_i32_e32 v51, 15, v49
	v_and_b32_sdwa v16, v16, v85 dst_sel:DWORD dst_unused:UNUSED_PAD src0_sel:BYTE_3 src1_sel:DWORD
	v_cndmask_b32_e32 v50, 7, v50, vcc_lo
	v_lshlrev_b32_e32 v51, 3, v51
	v_and_b32_e32 v65, 7, v50
	v_or_b32_e32 v49, v49, v50
	v_or3_b32 v16, v51, v16, v65
	v_cmp_ne_u32_e32 vcc_lo, 0, v49
	v_cndmask_b32_e32 v117, 0, v16, vcc_lo
.LBB4_4948:                             ;   in Loop: Header=BB4_4885 Depth=2
	s_or_b32 exec_lo, exec_lo, s28
.LBB4_4949:                             ;   in Loop: Header=BB4_4885 Depth=2
	s_or_b32 exec_lo, exec_lo, s27
	flat_load_ubyte v16, v[10:11] offset:128 slc
	s_mov_b32 s12, 0
	s_mov_b32 s27, exec_lo
	s_waitcnt vmcnt(0) lgkmcnt(0)
	v_cmpx_lt_i16_e32 0x7f, v16
	s_xor_b32 s27, exec_lo, s27
	s_cbranch_execz .LBB4_5443
; %bb.4950:                             ;   in Loop: Header=BB4_4885 Depth=2
	s_mov_b32 s12, -1
	s_mov_b32 s28, exec_lo
	v_cmpx_eq_u16_e32 0x80, v16
; %bb.4951:                             ;   in Loop: Header=BB4_4885 Depth=2
	s_xor_b32 s12, exec_lo, -1
; %bb.4952:                             ;   in Loop: Header=BB4_4885 Depth=2
	s_or_b32 exec_lo, exec_lo, s28
	s_and_b32 s12, s12, exec_lo
	s_or_saveexec_b32 s27, s27
	v_mov_b32_e32 v49, 0x7f800001
	s_xor_b32 exec_lo, exec_lo, s27
	s_cbranch_execnz .LBB4_5444
.LBB4_4953:                             ;   in Loop: Header=BB4_4885 Depth=2
	s_or_b32 exec_lo, exec_lo, s27
	s_and_saveexec_b32 s27, s12
	s_cbranch_execz .LBB4_4955
.LBB4_4954:                             ;   in Loop: Header=BB4_4885 Depth=2
	v_and_b32_e32 v49, 0xffff, v16
	v_lshlrev_b32_e32 v16, 24, v16
	v_and_b32_e32 v50, 7, v49
	v_bfe_u32 v98, v49, 3, 4
	v_and_b32_e32 v16, 0x80000000, v16
	v_ffbh_u32_e32 v51, v50
	v_cmp_eq_u32_e32 vcc_lo, 0, v98
	v_min_u32_e32 v51, 32, v51
	v_subrev_nc_u32_e32 v65, 28, v51
	v_sub_nc_u32_e32 v51, 29, v51
	v_lshlrev_b32_e32 v49, v65, v49
	v_cndmask_b32_e32 v51, v98, v51, vcc_lo
	v_and_b32_e32 v49, 7, v49
	v_cndmask_b32_e32 v49, v50, v49, vcc_lo
	v_lshl_add_u32 v50, v51, 23, 0x3b800000
	v_lshlrev_b32_e32 v49, 20, v49
	v_or3_b32 v49, v16, v50, v49
.LBB4_4955:                             ;   in Loop: Header=BB4_4885 Depth=2
	s_or_b32 exec_lo, exec_lo, s27
	v_mul_f32_e32 v16, v17, v49
	v_mov_b32_e32 v118, 0x80
	s_mov_b32 s27, exec_lo
	v_and_b32_e32 v49, 0x7f800000, v16
	v_cmpx_ne_u32_e32 0x7f800000, v49
	s_cbranch_execz .LBB4_4963
; %bb.4956:                             ;   in Loop: Header=BB4_4885 Depth=2
	v_mov_b32_e32 v118, 0
	s_mov_b32 s28, exec_lo
	v_cmpx_ne_u32_e32 0, v16
	s_cbranch_execz .LBB4_4962
; %bb.4957:                             ;   in Loop: Header=BB4_4885 Depth=2
	v_bfe_u32 v49, v16, 23, 8
	v_and_b32_e32 v50, 0x7fffff, v16
	v_sub_nc_u32_e32 v51, 0x78, v49
	v_cmp_gt_u32_e32 vcc_lo, 0x79, v49
	v_or_b32_e32 v65, 0x800000, v50
	v_cndmask_b32_e32 v51, 0, v51, vcc_lo
	v_cmp_eq_u32_e32 vcc_lo, 0, v49
	v_add_nc_u32_e32 v49, 0xffffff89, v49
	v_cndmask_b32_e64 v51, v51, 0x77, vcc_lo
	v_cndmask_b32_e32 v50, v65, v50, vcc_lo
	v_cndmask_b32_e64 v49, v49, 0xffffff8a, vcc_lo
	v_lshl_add_u32 v65, 0x100000, v51, -1
	v_lshrrev_b32_e32 v98, v51, v50
	v_lshlrev_b32_e64 v101, v51, 0x80000
	v_add_nc_u32_e32 v51, v51, v49
	v_and_b32_e32 v50, v65, v50
	v_bfe_u32 v100, v98, 20, 1
	v_cmp_eq_u32_e64 s12, v50, v101
	v_add_nc_u32_e32 v65, -1, v100
	v_cndmask_b32_e64 v50, 0, v65, s12
	v_lshrrev_b32_e32 v65, 23, v98
	s_mov_b32 s12, exec_lo
	v_add_nc_u32_e32 v50, v50, v98
	v_xor_b32_e32 v65, 1, v65
	v_and_b32_e32 v49, 0xfffff, v50
	v_add_nc_u32_e32 v50, v49, v98
                                        ; implicit-def: $vgpr49
	v_cmpx_ne_u32_e64 v51, v65
	s_xor_b32 s12, exec_lo, s12
; %bb.4958:                             ;   in Loop: Header=BB4_4885 Depth=2
	v_cmp_lt_u32_e32 vcc_lo, 0xffffff, v50
	v_sub_nc_u32_e32 v49, v51, v65
	v_cndmask_b32_e64 v51, 0, 1, vcc_lo
	v_add_co_ci_u32_e64 v49, null, 0, v49, vcc_lo
	v_lshrrev_b32_e32 v50, v51, v50
; %bb.4959:                             ;   in Loop: Header=BB4_4885 Depth=2
	s_andn2_saveexec_b32 s12, s12
; %bb.4960:                             ;   in Loop: Header=BB4_4885 Depth=2
	v_bfe_u32 v49, v50, 23, 1
; %bb.4961:                             ;   in Loop: Header=BB4_4885 Depth=2
	s_or_b32 exec_lo, exec_lo, s12
	v_lshrrev_b32_e32 v50, 20, v50
	v_cmp_gt_i32_e32 vcc_lo, 16, v49
	v_min_i32_e32 v51, 15, v49
	v_and_b32_sdwa v16, v16, v85 dst_sel:DWORD dst_unused:UNUSED_PAD src0_sel:BYTE_3 src1_sel:DWORD
	v_cndmask_b32_e32 v50, 7, v50, vcc_lo
	v_lshlrev_b32_e32 v51, 3, v51
	v_and_b32_e32 v65, 7, v50
	v_or_b32_e32 v49, v49, v50
	v_or3_b32 v16, v51, v16, v65
	v_cmp_ne_u32_e32 vcc_lo, 0, v49
	v_cndmask_b32_e32 v118, 0, v16, vcc_lo
.LBB4_4962:                             ;   in Loop: Header=BB4_4885 Depth=2
	s_or_b32 exec_lo, exec_lo, s28
.LBB4_4963:                             ;   in Loop: Header=BB4_4885 Depth=2
	s_or_b32 exec_lo, exec_lo, s27
	flat_load_ubyte v16, v[10:11] offset:160 slc
	s_mov_b32 s12, 0
	s_mov_b32 s27, exec_lo
	s_waitcnt vmcnt(0) lgkmcnt(0)
	v_cmpx_lt_i16_e32 0x7f, v16
	s_xor_b32 s27, exec_lo, s27
	s_cbranch_execz .LBB4_5445
; %bb.4964:                             ;   in Loop: Header=BB4_4885 Depth=2
	s_mov_b32 s12, -1
	s_mov_b32 s28, exec_lo
	v_cmpx_eq_u16_e32 0x80, v16
; %bb.4965:                             ;   in Loop: Header=BB4_4885 Depth=2
	s_xor_b32 s12, exec_lo, -1
; %bb.4966:                             ;   in Loop: Header=BB4_4885 Depth=2
	s_or_b32 exec_lo, exec_lo, s28
	s_and_b32 s12, s12, exec_lo
	s_or_saveexec_b32 s27, s27
	v_mov_b32_e32 v49, 0x7f800001
	s_xor_b32 exec_lo, exec_lo, s27
	s_cbranch_execnz .LBB4_5446
.LBB4_4967:                             ;   in Loop: Header=BB4_4885 Depth=2
	s_or_b32 exec_lo, exec_lo, s27
	s_and_saveexec_b32 s27, s12
	s_cbranch_execz .LBB4_4969
.LBB4_4968:                             ;   in Loop: Header=BB4_4885 Depth=2
	v_and_b32_e32 v49, 0xffff, v16
	v_lshlrev_b32_e32 v16, 24, v16
	v_and_b32_e32 v50, 7, v49
	v_bfe_u32 v98, v49, 3, 4
	v_and_b32_e32 v16, 0x80000000, v16
	v_ffbh_u32_e32 v51, v50
	v_cmp_eq_u32_e32 vcc_lo, 0, v98
	v_min_u32_e32 v51, 32, v51
	v_subrev_nc_u32_e32 v65, 28, v51
	v_sub_nc_u32_e32 v51, 29, v51
	v_lshlrev_b32_e32 v49, v65, v49
	v_cndmask_b32_e32 v51, v98, v51, vcc_lo
	v_and_b32_e32 v49, 7, v49
	v_cndmask_b32_e32 v49, v50, v49, vcc_lo
	v_lshl_add_u32 v50, v51, 23, 0x3b800000
	v_lshlrev_b32_e32 v49, 20, v49
	v_or3_b32 v49, v16, v50, v49
.LBB4_4969:                             ;   in Loop: Header=BB4_4885 Depth=2
	s_or_b32 exec_lo, exec_lo, s27
	v_mul_f32_e32 v16, v17, v49
	v_mov_b32_e32 v116, 0x80
	s_mov_b32 s27, exec_lo
	v_and_b32_e32 v49, 0x7f800000, v16
	v_cmpx_ne_u32_e32 0x7f800000, v49
	s_cbranch_execz .LBB4_4977
; %bb.4970:                             ;   in Loop: Header=BB4_4885 Depth=2
	v_mov_b32_e32 v116, 0
	s_mov_b32 s28, exec_lo
	v_cmpx_ne_u32_e32 0, v16
	s_cbranch_execz .LBB4_4976
; %bb.4971:                             ;   in Loop: Header=BB4_4885 Depth=2
	v_bfe_u32 v49, v16, 23, 8
	v_and_b32_e32 v50, 0x7fffff, v16
	v_sub_nc_u32_e32 v51, 0x78, v49
	v_cmp_gt_u32_e32 vcc_lo, 0x79, v49
	v_or_b32_e32 v65, 0x800000, v50
	v_cndmask_b32_e32 v51, 0, v51, vcc_lo
	v_cmp_eq_u32_e32 vcc_lo, 0, v49
	v_add_nc_u32_e32 v49, 0xffffff89, v49
	v_cndmask_b32_e64 v51, v51, 0x77, vcc_lo
	v_cndmask_b32_e32 v50, v65, v50, vcc_lo
	v_cndmask_b32_e64 v49, v49, 0xffffff8a, vcc_lo
	v_lshl_add_u32 v65, 0x100000, v51, -1
	v_lshrrev_b32_e32 v98, v51, v50
	v_lshlrev_b32_e64 v101, v51, 0x80000
	v_add_nc_u32_e32 v51, v51, v49
	v_and_b32_e32 v50, v65, v50
	v_bfe_u32 v100, v98, 20, 1
	v_cmp_eq_u32_e64 s12, v50, v101
	v_add_nc_u32_e32 v65, -1, v100
	v_cndmask_b32_e64 v50, 0, v65, s12
	v_lshrrev_b32_e32 v65, 23, v98
	s_mov_b32 s12, exec_lo
	v_add_nc_u32_e32 v50, v50, v98
	v_xor_b32_e32 v65, 1, v65
	v_and_b32_e32 v49, 0xfffff, v50
	v_add_nc_u32_e32 v50, v49, v98
                                        ; implicit-def: $vgpr49
	v_cmpx_ne_u32_e64 v51, v65
	s_xor_b32 s12, exec_lo, s12
; %bb.4972:                             ;   in Loop: Header=BB4_4885 Depth=2
	v_cmp_lt_u32_e32 vcc_lo, 0xffffff, v50
	v_sub_nc_u32_e32 v49, v51, v65
	v_cndmask_b32_e64 v51, 0, 1, vcc_lo
	v_add_co_ci_u32_e64 v49, null, 0, v49, vcc_lo
	v_lshrrev_b32_e32 v50, v51, v50
; %bb.4973:                             ;   in Loop: Header=BB4_4885 Depth=2
	s_andn2_saveexec_b32 s12, s12
; %bb.4974:                             ;   in Loop: Header=BB4_4885 Depth=2
	v_bfe_u32 v49, v50, 23, 1
; %bb.4975:                             ;   in Loop: Header=BB4_4885 Depth=2
	s_or_b32 exec_lo, exec_lo, s12
	v_lshrrev_b32_e32 v50, 20, v50
	v_cmp_gt_i32_e32 vcc_lo, 16, v49
	v_min_i32_e32 v51, 15, v49
	v_and_b32_sdwa v16, v16, v85 dst_sel:DWORD dst_unused:UNUSED_PAD src0_sel:BYTE_3 src1_sel:DWORD
	v_cndmask_b32_e32 v50, 7, v50, vcc_lo
	v_lshlrev_b32_e32 v51, 3, v51
	v_and_b32_e32 v65, 7, v50
	v_or_b32_e32 v49, v49, v50
	v_or3_b32 v16, v51, v16, v65
	v_cmp_ne_u32_e32 vcc_lo, 0, v49
	v_cndmask_b32_e32 v116, 0, v16, vcc_lo
.LBB4_4976:                             ;   in Loop: Header=BB4_4885 Depth=2
	s_or_b32 exec_lo, exec_lo, s28
.LBB4_4977:                             ;   in Loop: Header=BB4_4885 Depth=2
	s_or_b32 exec_lo, exec_lo, s27
	flat_load_ubyte v16, v[10:11] offset:192 slc
	s_mov_b32 s12, 0
	s_mov_b32 s27, exec_lo
	s_waitcnt vmcnt(0) lgkmcnt(0)
	v_cmpx_lt_i16_e32 0x7f, v16
	s_xor_b32 s27, exec_lo, s27
	s_cbranch_execz .LBB4_5447
; %bb.4978:                             ;   in Loop: Header=BB4_4885 Depth=2
	s_mov_b32 s12, -1
	s_mov_b32 s28, exec_lo
	v_cmpx_eq_u16_e32 0x80, v16
; %bb.4979:                             ;   in Loop: Header=BB4_4885 Depth=2
	s_xor_b32 s12, exec_lo, -1
; %bb.4980:                             ;   in Loop: Header=BB4_4885 Depth=2
	s_or_b32 exec_lo, exec_lo, s28
	s_and_b32 s12, s12, exec_lo
	s_or_saveexec_b32 s27, s27
	v_mov_b32_e32 v49, 0x7f800001
	s_xor_b32 exec_lo, exec_lo, s27
	s_cbranch_execnz .LBB4_5448
.LBB4_4981:                             ;   in Loop: Header=BB4_4885 Depth=2
	s_or_b32 exec_lo, exec_lo, s27
	s_and_saveexec_b32 s27, s12
	s_cbranch_execz .LBB4_4983
.LBB4_4982:                             ;   in Loop: Header=BB4_4885 Depth=2
	v_and_b32_e32 v49, 0xffff, v16
	v_lshlrev_b32_e32 v16, 24, v16
	v_and_b32_e32 v50, 7, v49
	v_bfe_u32 v98, v49, 3, 4
	v_and_b32_e32 v16, 0x80000000, v16
	v_ffbh_u32_e32 v51, v50
	v_cmp_eq_u32_e32 vcc_lo, 0, v98
	v_min_u32_e32 v51, 32, v51
	v_subrev_nc_u32_e32 v65, 28, v51
	v_sub_nc_u32_e32 v51, 29, v51
	v_lshlrev_b32_e32 v49, v65, v49
	v_cndmask_b32_e32 v51, v98, v51, vcc_lo
	v_and_b32_e32 v49, 7, v49
	v_cndmask_b32_e32 v49, v50, v49, vcc_lo
	v_lshl_add_u32 v50, v51, 23, 0x3b800000
	v_lshlrev_b32_e32 v49, 20, v49
	v_or3_b32 v49, v16, v50, v49
.LBB4_4983:                             ;   in Loop: Header=BB4_4885 Depth=2
	s_or_b32 exec_lo, exec_lo, s27
	v_mul_f32_e32 v16, v17, v49
	v_mov_b32_e32 v114, 0x80
	s_mov_b32 s27, exec_lo
	v_and_b32_e32 v49, 0x7f800000, v16
	v_cmpx_ne_u32_e32 0x7f800000, v49
	s_cbranch_execz .LBB4_4991
; %bb.4984:                             ;   in Loop: Header=BB4_4885 Depth=2
	v_mov_b32_e32 v114, 0
	s_mov_b32 s28, exec_lo
	v_cmpx_ne_u32_e32 0, v16
	s_cbranch_execz .LBB4_4990
; %bb.4985:                             ;   in Loop: Header=BB4_4885 Depth=2
	v_bfe_u32 v49, v16, 23, 8
	v_and_b32_e32 v50, 0x7fffff, v16
	v_sub_nc_u32_e32 v51, 0x78, v49
	v_cmp_gt_u32_e32 vcc_lo, 0x79, v49
	v_or_b32_e32 v65, 0x800000, v50
	v_cndmask_b32_e32 v51, 0, v51, vcc_lo
	v_cmp_eq_u32_e32 vcc_lo, 0, v49
	v_add_nc_u32_e32 v49, 0xffffff89, v49
	v_cndmask_b32_e64 v51, v51, 0x77, vcc_lo
	v_cndmask_b32_e32 v50, v65, v50, vcc_lo
	v_cndmask_b32_e64 v49, v49, 0xffffff8a, vcc_lo
	v_lshl_add_u32 v65, 0x100000, v51, -1
	v_lshrrev_b32_e32 v98, v51, v50
	v_lshlrev_b32_e64 v101, v51, 0x80000
	v_add_nc_u32_e32 v51, v51, v49
	v_and_b32_e32 v50, v65, v50
	v_bfe_u32 v100, v98, 20, 1
	v_cmp_eq_u32_e64 s12, v50, v101
	v_add_nc_u32_e32 v65, -1, v100
	v_cndmask_b32_e64 v50, 0, v65, s12
	v_lshrrev_b32_e32 v65, 23, v98
	s_mov_b32 s12, exec_lo
	v_add_nc_u32_e32 v50, v50, v98
	v_xor_b32_e32 v65, 1, v65
	v_and_b32_e32 v49, 0xfffff, v50
	v_add_nc_u32_e32 v50, v49, v98
                                        ; implicit-def: $vgpr49
	v_cmpx_ne_u32_e64 v51, v65
	s_xor_b32 s12, exec_lo, s12
; %bb.4986:                             ;   in Loop: Header=BB4_4885 Depth=2
	v_cmp_lt_u32_e32 vcc_lo, 0xffffff, v50
	v_sub_nc_u32_e32 v49, v51, v65
	v_cndmask_b32_e64 v51, 0, 1, vcc_lo
	v_add_co_ci_u32_e64 v49, null, 0, v49, vcc_lo
	v_lshrrev_b32_e32 v50, v51, v50
; %bb.4987:                             ;   in Loop: Header=BB4_4885 Depth=2
	s_andn2_saveexec_b32 s12, s12
; %bb.4988:                             ;   in Loop: Header=BB4_4885 Depth=2
	v_bfe_u32 v49, v50, 23, 1
; %bb.4989:                             ;   in Loop: Header=BB4_4885 Depth=2
	s_or_b32 exec_lo, exec_lo, s12
	v_lshrrev_b32_e32 v50, 20, v50
	v_cmp_gt_i32_e32 vcc_lo, 16, v49
	v_min_i32_e32 v51, 15, v49
	v_and_b32_sdwa v16, v16, v85 dst_sel:DWORD dst_unused:UNUSED_PAD src0_sel:BYTE_3 src1_sel:DWORD
	v_cndmask_b32_e32 v50, 7, v50, vcc_lo
	v_lshlrev_b32_e32 v51, 3, v51
	v_and_b32_e32 v65, 7, v50
	v_or_b32_e32 v49, v49, v50
	v_or3_b32 v16, v51, v16, v65
	v_cmp_ne_u32_e32 vcc_lo, 0, v49
	v_cndmask_b32_e32 v114, 0, v16, vcc_lo
.LBB4_4990:                             ;   in Loop: Header=BB4_4885 Depth=2
	s_or_b32 exec_lo, exec_lo, s28
.LBB4_4991:                             ;   in Loop: Header=BB4_4885 Depth=2
	s_or_b32 exec_lo, exec_lo, s27
	flat_load_ubyte v16, v[10:11] offset:224 slc
	s_mov_b32 s12, 0
	s_mov_b32 s27, exec_lo
	s_waitcnt vmcnt(0) lgkmcnt(0)
	v_cmpx_lt_i16_e32 0x7f, v16
	s_xor_b32 s27, exec_lo, s27
	s_cbranch_execz .LBB4_5449
; %bb.4992:                             ;   in Loop: Header=BB4_4885 Depth=2
	s_mov_b32 s12, -1
	s_mov_b32 s28, exec_lo
	v_cmpx_eq_u16_e32 0x80, v16
; %bb.4993:                             ;   in Loop: Header=BB4_4885 Depth=2
	s_xor_b32 s12, exec_lo, -1
; %bb.4994:                             ;   in Loop: Header=BB4_4885 Depth=2
	s_or_b32 exec_lo, exec_lo, s28
	s_and_b32 s12, s12, exec_lo
	s_or_saveexec_b32 s27, s27
	v_mov_b32_e32 v49, 0x7f800001
	s_xor_b32 exec_lo, exec_lo, s27
	s_cbranch_execnz .LBB4_5450
.LBB4_4995:                             ;   in Loop: Header=BB4_4885 Depth=2
	s_or_b32 exec_lo, exec_lo, s27
	s_and_saveexec_b32 s27, s12
	s_cbranch_execz .LBB4_4997
.LBB4_4996:                             ;   in Loop: Header=BB4_4885 Depth=2
	v_and_b32_e32 v49, 0xffff, v16
	v_lshlrev_b32_e32 v16, 24, v16
	v_and_b32_e32 v50, 7, v49
	v_bfe_u32 v98, v49, 3, 4
	v_and_b32_e32 v16, 0x80000000, v16
	v_ffbh_u32_e32 v51, v50
	v_cmp_eq_u32_e32 vcc_lo, 0, v98
	v_min_u32_e32 v51, 32, v51
	v_subrev_nc_u32_e32 v65, 28, v51
	v_sub_nc_u32_e32 v51, 29, v51
	v_lshlrev_b32_e32 v49, v65, v49
	v_cndmask_b32_e32 v51, v98, v51, vcc_lo
	v_and_b32_e32 v49, 7, v49
	v_cndmask_b32_e32 v49, v50, v49, vcc_lo
	v_lshl_add_u32 v50, v51, 23, 0x3b800000
	v_lshlrev_b32_e32 v49, 20, v49
	v_or3_b32 v49, v16, v50, v49
.LBB4_4997:                             ;   in Loop: Header=BB4_4885 Depth=2
	s_or_b32 exec_lo, exec_lo, s27
	v_mul_f32_e32 v16, v17, v49
	v_mov_b32_e32 v113, 0x80
	s_mov_b32 s27, exec_lo
	v_and_b32_e32 v49, 0x7f800000, v16
	v_cmpx_ne_u32_e32 0x7f800000, v49
	s_cbranch_execz .LBB4_5005
; %bb.4998:                             ;   in Loop: Header=BB4_4885 Depth=2
	v_mov_b32_e32 v113, 0
	s_mov_b32 s28, exec_lo
	v_cmpx_ne_u32_e32 0, v16
	s_cbranch_execz .LBB4_5004
; %bb.4999:                             ;   in Loop: Header=BB4_4885 Depth=2
	v_bfe_u32 v49, v16, 23, 8
	v_and_b32_e32 v50, 0x7fffff, v16
	v_sub_nc_u32_e32 v51, 0x78, v49
	v_cmp_gt_u32_e32 vcc_lo, 0x79, v49
	v_or_b32_e32 v65, 0x800000, v50
	v_cndmask_b32_e32 v51, 0, v51, vcc_lo
	v_cmp_eq_u32_e32 vcc_lo, 0, v49
	v_add_nc_u32_e32 v49, 0xffffff89, v49
	v_cndmask_b32_e64 v51, v51, 0x77, vcc_lo
	v_cndmask_b32_e32 v50, v65, v50, vcc_lo
	v_cndmask_b32_e64 v49, v49, 0xffffff8a, vcc_lo
	v_lshl_add_u32 v65, 0x100000, v51, -1
	v_lshrrev_b32_e32 v98, v51, v50
	v_lshlrev_b32_e64 v101, v51, 0x80000
	v_add_nc_u32_e32 v51, v51, v49
	v_and_b32_e32 v50, v65, v50
	v_bfe_u32 v100, v98, 20, 1
	v_cmp_eq_u32_e64 s12, v50, v101
	v_add_nc_u32_e32 v65, -1, v100
	v_cndmask_b32_e64 v50, 0, v65, s12
	v_lshrrev_b32_e32 v65, 23, v98
	s_mov_b32 s12, exec_lo
	v_add_nc_u32_e32 v50, v50, v98
	v_xor_b32_e32 v65, 1, v65
	v_and_b32_e32 v49, 0xfffff, v50
	v_add_nc_u32_e32 v50, v49, v98
                                        ; implicit-def: $vgpr49
	v_cmpx_ne_u32_e64 v51, v65
	s_xor_b32 s12, exec_lo, s12
; %bb.5000:                             ;   in Loop: Header=BB4_4885 Depth=2
	v_cmp_lt_u32_e32 vcc_lo, 0xffffff, v50
	v_sub_nc_u32_e32 v49, v51, v65
	v_cndmask_b32_e64 v51, 0, 1, vcc_lo
	v_add_co_ci_u32_e64 v49, null, 0, v49, vcc_lo
	v_lshrrev_b32_e32 v50, v51, v50
; %bb.5001:                             ;   in Loop: Header=BB4_4885 Depth=2
	s_andn2_saveexec_b32 s12, s12
; %bb.5002:                             ;   in Loop: Header=BB4_4885 Depth=2
	v_bfe_u32 v49, v50, 23, 1
; %bb.5003:                             ;   in Loop: Header=BB4_4885 Depth=2
	s_or_b32 exec_lo, exec_lo, s12
	v_lshrrev_b32_e32 v50, 20, v50
	v_cmp_gt_i32_e32 vcc_lo, 16, v49
	v_min_i32_e32 v51, 15, v49
	v_and_b32_sdwa v16, v16, v85 dst_sel:DWORD dst_unused:UNUSED_PAD src0_sel:BYTE_3 src1_sel:DWORD
	v_cndmask_b32_e32 v50, 7, v50, vcc_lo
	v_lshlrev_b32_e32 v51, 3, v51
	v_and_b32_e32 v65, 7, v50
	v_or_b32_e32 v49, v49, v50
	v_or3_b32 v16, v51, v16, v65
	v_cmp_ne_u32_e32 vcc_lo, 0, v49
	v_cndmask_b32_e32 v113, 0, v16, vcc_lo
.LBB4_5004:                             ;   in Loop: Header=BB4_4885 Depth=2
	s_or_b32 exec_lo, exec_lo, s28
.LBB4_5005:                             ;   in Loop: Header=BB4_4885 Depth=2
	s_or_b32 exec_lo, exec_lo, s27
	flat_load_ubyte v16, v[10:11] offset:256 slc
	s_mov_b32 s12, 0
	s_mov_b32 s27, exec_lo
	s_waitcnt vmcnt(0) lgkmcnt(0)
	v_cmpx_lt_i16_e32 0x7f, v16
	s_xor_b32 s27, exec_lo, s27
	s_cbranch_execz .LBB4_5451
; %bb.5006:                             ;   in Loop: Header=BB4_4885 Depth=2
	s_mov_b32 s12, -1
	s_mov_b32 s28, exec_lo
	v_cmpx_eq_u16_e32 0x80, v16
; %bb.5007:                             ;   in Loop: Header=BB4_4885 Depth=2
	s_xor_b32 s12, exec_lo, -1
; %bb.5008:                             ;   in Loop: Header=BB4_4885 Depth=2
	s_or_b32 exec_lo, exec_lo, s28
	s_and_b32 s12, s12, exec_lo
	s_or_saveexec_b32 s27, s27
	v_mov_b32_e32 v49, 0x7f800001
	s_xor_b32 exec_lo, exec_lo, s27
	s_cbranch_execnz .LBB4_5452
.LBB4_5009:                             ;   in Loop: Header=BB4_4885 Depth=2
	s_or_b32 exec_lo, exec_lo, s27
	s_and_saveexec_b32 s27, s12
	s_cbranch_execz .LBB4_5011
.LBB4_5010:                             ;   in Loop: Header=BB4_4885 Depth=2
	v_and_b32_e32 v49, 0xffff, v16
	v_lshlrev_b32_e32 v16, 24, v16
	v_and_b32_e32 v50, 7, v49
	v_bfe_u32 v98, v49, 3, 4
	v_and_b32_e32 v16, 0x80000000, v16
	v_ffbh_u32_e32 v51, v50
	v_cmp_eq_u32_e32 vcc_lo, 0, v98
	v_min_u32_e32 v51, 32, v51
	v_subrev_nc_u32_e32 v65, 28, v51
	v_sub_nc_u32_e32 v51, 29, v51
	v_lshlrev_b32_e32 v49, v65, v49
	v_cndmask_b32_e32 v51, v98, v51, vcc_lo
	v_and_b32_e32 v49, 7, v49
	v_cndmask_b32_e32 v49, v50, v49, vcc_lo
	v_lshl_add_u32 v50, v51, 23, 0x3b800000
	v_lshlrev_b32_e32 v49, 20, v49
	v_or3_b32 v49, v16, v50, v49
.LBB4_5011:                             ;   in Loop: Header=BB4_4885 Depth=2
	s_or_b32 exec_lo, exec_lo, s27
	v_mul_f32_e32 v16, v17, v49
	v_mov_b32_e32 v103, 0x80
	s_mov_b32 s27, exec_lo
	v_and_b32_e32 v49, 0x7f800000, v16
	v_cmpx_ne_u32_e32 0x7f800000, v49
	s_cbranch_execz .LBB4_5019
; %bb.5012:                             ;   in Loop: Header=BB4_4885 Depth=2
	v_mov_b32_e32 v103, 0
	s_mov_b32 s28, exec_lo
	v_cmpx_ne_u32_e32 0, v16
	s_cbranch_execz .LBB4_5018
; %bb.5013:                             ;   in Loop: Header=BB4_4885 Depth=2
	v_bfe_u32 v49, v16, 23, 8
	v_and_b32_e32 v50, 0x7fffff, v16
	v_sub_nc_u32_e32 v51, 0x78, v49
	v_cmp_gt_u32_e32 vcc_lo, 0x79, v49
	v_or_b32_e32 v65, 0x800000, v50
	v_cndmask_b32_e32 v51, 0, v51, vcc_lo
	v_cmp_eq_u32_e32 vcc_lo, 0, v49
	v_add_nc_u32_e32 v49, 0xffffff89, v49
	v_cndmask_b32_e64 v51, v51, 0x77, vcc_lo
	v_cndmask_b32_e32 v50, v65, v50, vcc_lo
	v_cndmask_b32_e64 v49, v49, 0xffffff8a, vcc_lo
	v_lshl_add_u32 v65, 0x100000, v51, -1
	v_lshrrev_b32_e32 v98, v51, v50
	v_lshlrev_b32_e64 v101, v51, 0x80000
	v_add_nc_u32_e32 v51, v51, v49
	v_and_b32_e32 v50, v65, v50
	v_bfe_u32 v100, v98, 20, 1
	v_cmp_eq_u32_e64 s12, v50, v101
	v_add_nc_u32_e32 v65, -1, v100
	v_cndmask_b32_e64 v50, 0, v65, s12
	v_lshrrev_b32_e32 v65, 23, v98
	s_mov_b32 s12, exec_lo
	v_add_nc_u32_e32 v50, v50, v98
	v_xor_b32_e32 v65, 1, v65
	v_and_b32_e32 v49, 0xfffff, v50
	v_add_nc_u32_e32 v50, v49, v98
                                        ; implicit-def: $vgpr49
	v_cmpx_ne_u32_e64 v51, v65
	s_xor_b32 s12, exec_lo, s12
; %bb.5014:                             ;   in Loop: Header=BB4_4885 Depth=2
	v_cmp_lt_u32_e32 vcc_lo, 0xffffff, v50
	v_sub_nc_u32_e32 v49, v51, v65
	v_cndmask_b32_e64 v51, 0, 1, vcc_lo
	v_add_co_ci_u32_e64 v49, null, 0, v49, vcc_lo
	v_lshrrev_b32_e32 v50, v51, v50
; %bb.5015:                             ;   in Loop: Header=BB4_4885 Depth=2
	s_andn2_saveexec_b32 s12, s12
; %bb.5016:                             ;   in Loop: Header=BB4_4885 Depth=2
	v_bfe_u32 v49, v50, 23, 1
; %bb.5017:                             ;   in Loop: Header=BB4_4885 Depth=2
	s_or_b32 exec_lo, exec_lo, s12
	v_lshrrev_b32_e32 v50, 20, v50
	v_cmp_gt_i32_e32 vcc_lo, 16, v49
	v_min_i32_e32 v51, 15, v49
	v_and_b32_sdwa v16, v16, v85 dst_sel:DWORD dst_unused:UNUSED_PAD src0_sel:BYTE_3 src1_sel:DWORD
	v_cndmask_b32_e32 v50, 7, v50, vcc_lo
	v_lshlrev_b32_e32 v51, 3, v51
	v_and_b32_e32 v65, 7, v50
	v_or_b32_e32 v49, v49, v50
	v_or3_b32 v16, v51, v16, v65
	v_cmp_ne_u32_e32 vcc_lo, 0, v49
	v_cndmask_b32_e32 v103, 0, v16, vcc_lo
.LBB4_5018:                             ;   in Loop: Header=BB4_4885 Depth=2
	s_or_b32 exec_lo, exec_lo, s28
.LBB4_5019:                             ;   in Loop: Header=BB4_4885 Depth=2
	s_or_b32 exec_lo, exec_lo, s27
	flat_load_ubyte v16, v[10:11] offset:288 slc
	s_mov_b32 s12, 0
	s_mov_b32 s27, exec_lo
	s_waitcnt vmcnt(0) lgkmcnt(0)
	v_cmpx_lt_i16_e32 0x7f, v16
	s_xor_b32 s27, exec_lo, s27
	s_cbranch_execz .LBB4_5453
; %bb.5020:                             ;   in Loop: Header=BB4_4885 Depth=2
	s_mov_b32 s12, -1
	s_mov_b32 s28, exec_lo
	v_cmpx_eq_u16_e32 0x80, v16
; %bb.5021:                             ;   in Loop: Header=BB4_4885 Depth=2
	s_xor_b32 s12, exec_lo, -1
; %bb.5022:                             ;   in Loop: Header=BB4_4885 Depth=2
	s_or_b32 exec_lo, exec_lo, s28
	s_and_b32 s12, s12, exec_lo
	s_or_saveexec_b32 s27, s27
	v_mov_b32_e32 v49, 0x7f800001
	s_xor_b32 exec_lo, exec_lo, s27
	s_cbranch_execnz .LBB4_5454
.LBB4_5023:                             ;   in Loop: Header=BB4_4885 Depth=2
	s_or_b32 exec_lo, exec_lo, s27
	s_and_saveexec_b32 s27, s12
	s_cbranch_execz .LBB4_5025
.LBB4_5024:                             ;   in Loop: Header=BB4_4885 Depth=2
	v_and_b32_e32 v49, 0xffff, v16
	v_lshlrev_b32_e32 v16, 24, v16
	v_and_b32_e32 v50, 7, v49
	v_bfe_u32 v98, v49, 3, 4
	v_and_b32_e32 v16, 0x80000000, v16
	v_ffbh_u32_e32 v51, v50
	v_cmp_eq_u32_e32 vcc_lo, 0, v98
	v_min_u32_e32 v51, 32, v51
	v_subrev_nc_u32_e32 v65, 28, v51
	v_sub_nc_u32_e32 v51, 29, v51
	v_lshlrev_b32_e32 v49, v65, v49
	v_cndmask_b32_e32 v51, v98, v51, vcc_lo
	v_and_b32_e32 v49, 7, v49
	v_cndmask_b32_e32 v49, v50, v49, vcc_lo
	v_lshl_add_u32 v50, v51, 23, 0x3b800000
	v_lshlrev_b32_e32 v49, 20, v49
	v_or3_b32 v49, v16, v50, v49
.LBB4_5025:                             ;   in Loop: Header=BB4_4885 Depth=2
	s_or_b32 exec_lo, exec_lo, s27
	v_mul_f32_e32 v16, v17, v49
	v_mov_b32_e32 v101, 0x80
	s_mov_b32 s27, exec_lo
	v_and_b32_e32 v49, 0x7f800000, v16
	v_cmpx_ne_u32_e32 0x7f800000, v49
	s_cbranch_execz .LBB4_5033
; %bb.5026:                             ;   in Loop: Header=BB4_4885 Depth=2
	v_mov_b32_e32 v101, 0
	s_mov_b32 s28, exec_lo
	v_cmpx_ne_u32_e32 0, v16
	s_cbranch_execz .LBB4_5032
; %bb.5027:                             ;   in Loop: Header=BB4_4885 Depth=2
	v_bfe_u32 v49, v16, 23, 8
	v_and_b32_e32 v50, 0x7fffff, v16
	v_sub_nc_u32_e32 v51, 0x78, v49
	v_cmp_gt_u32_e32 vcc_lo, 0x79, v49
	v_or_b32_e32 v65, 0x800000, v50
	v_cndmask_b32_e32 v51, 0, v51, vcc_lo
	v_cmp_eq_u32_e32 vcc_lo, 0, v49
	v_add_nc_u32_e32 v49, 0xffffff89, v49
	v_cndmask_b32_e64 v51, v51, 0x77, vcc_lo
	v_cndmask_b32_e32 v50, v65, v50, vcc_lo
	v_cndmask_b32_e64 v49, v49, 0xffffff8a, vcc_lo
	v_lshl_add_u32 v65, 0x100000, v51, -1
	v_lshrrev_b32_e32 v98, v51, v50
	v_lshlrev_b32_e64 v101, v51, 0x80000
	v_add_nc_u32_e32 v51, v51, v49
	v_and_b32_e32 v50, v65, v50
	v_bfe_u32 v100, v98, 20, 1
	v_cmp_eq_u32_e64 s12, v50, v101
	v_add_nc_u32_e32 v65, -1, v100
	v_cndmask_b32_e64 v50, 0, v65, s12
	v_lshrrev_b32_e32 v65, 23, v98
	s_mov_b32 s12, exec_lo
	v_add_nc_u32_e32 v50, v50, v98
	v_xor_b32_e32 v65, 1, v65
	v_and_b32_e32 v49, 0xfffff, v50
	v_add_nc_u32_e32 v50, v49, v98
                                        ; implicit-def: $vgpr49
	v_cmpx_ne_u32_e64 v51, v65
	s_xor_b32 s12, exec_lo, s12
; %bb.5028:                             ;   in Loop: Header=BB4_4885 Depth=2
	v_cmp_lt_u32_e32 vcc_lo, 0xffffff, v50
	v_sub_nc_u32_e32 v49, v51, v65
	v_cndmask_b32_e64 v51, 0, 1, vcc_lo
	v_add_co_ci_u32_e64 v49, null, 0, v49, vcc_lo
	v_lshrrev_b32_e32 v50, v51, v50
; %bb.5029:                             ;   in Loop: Header=BB4_4885 Depth=2
	s_andn2_saveexec_b32 s12, s12
; %bb.5030:                             ;   in Loop: Header=BB4_4885 Depth=2
	v_bfe_u32 v49, v50, 23, 1
; %bb.5031:                             ;   in Loop: Header=BB4_4885 Depth=2
	s_or_b32 exec_lo, exec_lo, s12
	v_lshrrev_b32_e32 v50, 20, v50
	v_cmp_gt_i32_e32 vcc_lo, 16, v49
	v_min_i32_e32 v51, 15, v49
	v_and_b32_sdwa v16, v16, v85 dst_sel:DWORD dst_unused:UNUSED_PAD src0_sel:BYTE_3 src1_sel:DWORD
	v_cndmask_b32_e32 v50, 7, v50, vcc_lo
	v_lshlrev_b32_e32 v51, 3, v51
	v_and_b32_e32 v65, 7, v50
	v_or_b32_e32 v49, v49, v50
	v_or3_b32 v16, v51, v16, v65
	v_cmp_ne_u32_e32 vcc_lo, 0, v49
	v_cndmask_b32_e32 v101, 0, v16, vcc_lo
.LBB4_5032:                             ;   in Loop: Header=BB4_4885 Depth=2
	s_or_b32 exec_lo, exec_lo, s28
.LBB4_5033:                             ;   in Loop: Header=BB4_4885 Depth=2
	s_or_b32 exec_lo, exec_lo, s27
	flat_load_ubyte v16, v[10:11] offset:320 slc
	s_mov_b32 s12, 0
	s_mov_b32 s27, exec_lo
	s_waitcnt vmcnt(0) lgkmcnt(0)
	v_cmpx_lt_i16_e32 0x7f, v16
	s_xor_b32 s27, exec_lo, s27
	s_cbranch_execz .LBB4_5455
; %bb.5034:                             ;   in Loop: Header=BB4_4885 Depth=2
	s_mov_b32 s12, -1
	s_mov_b32 s28, exec_lo
	v_cmpx_eq_u16_e32 0x80, v16
; %bb.5035:                             ;   in Loop: Header=BB4_4885 Depth=2
	s_xor_b32 s12, exec_lo, -1
; %bb.5036:                             ;   in Loop: Header=BB4_4885 Depth=2
	s_or_b32 exec_lo, exec_lo, s28
	s_and_b32 s12, s12, exec_lo
	s_or_saveexec_b32 s27, s27
	v_mov_b32_e32 v49, 0x7f800001
	s_xor_b32 exec_lo, exec_lo, s27
	s_cbranch_execnz .LBB4_5456
.LBB4_5037:                             ;   in Loop: Header=BB4_4885 Depth=2
	s_or_b32 exec_lo, exec_lo, s27
	s_and_saveexec_b32 s27, s12
	s_cbranch_execz .LBB4_5039
.LBB4_5038:                             ;   in Loop: Header=BB4_4885 Depth=2
	v_and_b32_e32 v49, 0xffff, v16
	v_lshlrev_b32_e32 v16, 24, v16
	v_and_b32_e32 v50, 7, v49
	v_bfe_u32 v98, v49, 3, 4
	v_and_b32_e32 v16, 0x80000000, v16
	v_ffbh_u32_e32 v51, v50
	v_cmp_eq_u32_e32 vcc_lo, 0, v98
	v_min_u32_e32 v51, 32, v51
	v_subrev_nc_u32_e32 v65, 28, v51
	v_sub_nc_u32_e32 v51, 29, v51
	v_lshlrev_b32_e32 v49, v65, v49
	v_cndmask_b32_e32 v51, v98, v51, vcc_lo
	v_and_b32_e32 v49, 7, v49
	v_cndmask_b32_e32 v49, v50, v49, vcc_lo
	v_lshl_add_u32 v50, v51, 23, 0x3b800000
	v_lshlrev_b32_e32 v49, 20, v49
	v_or3_b32 v49, v16, v50, v49
.LBB4_5039:                             ;   in Loop: Header=BB4_4885 Depth=2
	s_or_b32 exec_lo, exec_lo, s27
	v_mul_f32_e32 v16, v17, v49
	v_mov_b32_e32 v100, 0x80
	s_mov_b32 s27, exec_lo
	v_and_b32_e32 v49, 0x7f800000, v16
	v_cmpx_ne_u32_e32 0x7f800000, v49
	s_cbranch_execz .LBB4_5047
; %bb.5040:                             ;   in Loop: Header=BB4_4885 Depth=2
	v_mov_b32_e32 v100, 0
	s_mov_b32 s28, exec_lo
	v_cmpx_ne_u32_e32 0, v16
	s_cbranch_execz .LBB4_5046
; %bb.5041:                             ;   in Loop: Header=BB4_4885 Depth=2
	v_bfe_u32 v49, v16, 23, 8
	v_and_b32_e32 v50, 0x7fffff, v16
	v_sub_nc_u32_e32 v51, 0x78, v49
	v_cmp_gt_u32_e32 vcc_lo, 0x79, v49
	v_or_b32_e32 v65, 0x800000, v50
	v_cndmask_b32_e32 v51, 0, v51, vcc_lo
	v_cmp_eq_u32_e32 vcc_lo, 0, v49
	v_add_nc_u32_e32 v49, 0xffffff89, v49
	v_cndmask_b32_e64 v51, v51, 0x77, vcc_lo
	v_cndmask_b32_e32 v50, v65, v50, vcc_lo
	v_cndmask_b32_e64 v49, v49, 0xffffff8a, vcc_lo
	v_lshl_add_u32 v65, 0x100000, v51, -1
	v_lshrrev_b32_e32 v98, v51, v50
	v_lshlrev_b32_e64 v102, v51, 0x80000
	v_add_nc_u32_e32 v51, v51, v49
	v_and_b32_e32 v50, v65, v50
	v_bfe_u32 v100, v98, 20, 1
	v_cmp_eq_u32_e64 s12, v50, v102
	v_add_nc_u32_e32 v65, -1, v100
	v_cndmask_b32_e64 v50, 0, v65, s12
	v_lshrrev_b32_e32 v65, 23, v98
	s_mov_b32 s12, exec_lo
	v_add_nc_u32_e32 v50, v50, v98
	v_xor_b32_e32 v65, 1, v65
	v_and_b32_e32 v49, 0xfffff, v50
	v_add_nc_u32_e32 v50, v49, v98
                                        ; implicit-def: $vgpr49
	v_cmpx_ne_u32_e64 v51, v65
	s_xor_b32 s12, exec_lo, s12
; %bb.5042:                             ;   in Loop: Header=BB4_4885 Depth=2
	v_cmp_lt_u32_e32 vcc_lo, 0xffffff, v50
	v_sub_nc_u32_e32 v49, v51, v65
	v_cndmask_b32_e64 v51, 0, 1, vcc_lo
	v_add_co_ci_u32_e64 v49, null, 0, v49, vcc_lo
	v_lshrrev_b32_e32 v50, v51, v50
; %bb.5043:                             ;   in Loop: Header=BB4_4885 Depth=2
	s_andn2_saveexec_b32 s12, s12
; %bb.5044:                             ;   in Loop: Header=BB4_4885 Depth=2
	v_bfe_u32 v49, v50, 23, 1
; %bb.5045:                             ;   in Loop: Header=BB4_4885 Depth=2
	s_or_b32 exec_lo, exec_lo, s12
	v_lshrrev_b32_e32 v50, 20, v50
	v_cmp_gt_i32_e32 vcc_lo, 16, v49
	v_min_i32_e32 v51, 15, v49
	v_and_b32_sdwa v16, v16, v85 dst_sel:DWORD dst_unused:UNUSED_PAD src0_sel:BYTE_3 src1_sel:DWORD
	v_cndmask_b32_e32 v50, 7, v50, vcc_lo
	v_lshlrev_b32_e32 v51, 3, v51
	v_and_b32_e32 v65, 7, v50
	v_or_b32_e32 v49, v49, v50
	v_or3_b32 v16, v51, v16, v65
	v_cmp_ne_u32_e32 vcc_lo, 0, v49
	v_cndmask_b32_e32 v100, 0, v16, vcc_lo
.LBB4_5046:                             ;   in Loop: Header=BB4_4885 Depth=2
	s_or_b32 exec_lo, exec_lo, s28
.LBB4_5047:                             ;   in Loop: Header=BB4_4885 Depth=2
	s_or_b32 exec_lo, exec_lo, s27
	flat_load_ubyte v16, v[10:11] offset:352 slc
	s_mov_b32 s12, 0
	s_mov_b32 s27, exec_lo
	s_waitcnt vmcnt(0) lgkmcnt(0)
	v_cmpx_lt_i16_e32 0x7f, v16
	s_xor_b32 s27, exec_lo, s27
	s_cbranch_execz .LBB4_5457
; %bb.5048:                             ;   in Loop: Header=BB4_4885 Depth=2
	s_mov_b32 s12, -1
	s_mov_b32 s28, exec_lo
	v_cmpx_eq_u16_e32 0x80, v16
; %bb.5049:                             ;   in Loop: Header=BB4_4885 Depth=2
	s_xor_b32 s12, exec_lo, -1
; %bb.5050:                             ;   in Loop: Header=BB4_4885 Depth=2
	s_or_b32 exec_lo, exec_lo, s28
	s_and_b32 s12, s12, exec_lo
	s_or_saveexec_b32 s27, s27
	v_mov_b32_e32 v49, 0x7f800001
	s_xor_b32 exec_lo, exec_lo, s27
	s_cbranch_execnz .LBB4_5458
.LBB4_5051:                             ;   in Loop: Header=BB4_4885 Depth=2
	s_or_b32 exec_lo, exec_lo, s27
	s_and_saveexec_b32 s27, s12
	s_cbranch_execz .LBB4_5053
.LBB4_5052:                             ;   in Loop: Header=BB4_4885 Depth=2
	v_and_b32_e32 v49, 0xffff, v16
	v_lshlrev_b32_e32 v16, 24, v16
	v_and_b32_e32 v50, 7, v49
	v_bfe_u32 v98, v49, 3, 4
	v_and_b32_e32 v16, 0x80000000, v16
	v_ffbh_u32_e32 v51, v50
	v_cmp_eq_u32_e32 vcc_lo, 0, v98
	v_min_u32_e32 v51, 32, v51
	v_subrev_nc_u32_e32 v65, 28, v51
	v_sub_nc_u32_e32 v51, 29, v51
	v_lshlrev_b32_e32 v49, v65, v49
	v_cndmask_b32_e32 v51, v98, v51, vcc_lo
	v_and_b32_e32 v49, 7, v49
	v_cndmask_b32_e32 v49, v50, v49, vcc_lo
	v_lshl_add_u32 v50, v51, 23, 0x3b800000
	v_lshlrev_b32_e32 v49, 20, v49
	v_or3_b32 v49, v16, v50, v49
.LBB4_5053:                             ;   in Loop: Header=BB4_4885 Depth=2
	s_or_b32 exec_lo, exec_lo, s27
	v_mul_f32_e32 v16, v17, v49
	v_mov_b32_e32 v98, 0x80
	s_mov_b32 s27, exec_lo
	v_and_b32_e32 v49, 0x7f800000, v16
	v_cmpx_ne_u32_e32 0x7f800000, v49
	s_cbranch_execz .LBB4_5061
; %bb.5054:                             ;   in Loop: Header=BB4_4885 Depth=2
	v_mov_b32_e32 v98, 0
	s_mov_b32 s28, exec_lo
	v_cmpx_ne_u32_e32 0, v16
	s_cbranch_execz .LBB4_5060
; %bb.5055:                             ;   in Loop: Header=BB4_4885 Depth=2
	v_bfe_u32 v49, v16, 23, 8
	v_and_b32_e32 v50, 0x7fffff, v16
	v_sub_nc_u32_e32 v51, 0x78, v49
	v_cmp_gt_u32_e32 vcc_lo, 0x79, v49
	v_or_b32_e32 v65, 0x800000, v50
	v_cndmask_b32_e32 v51, 0, v51, vcc_lo
	v_cmp_eq_u32_e32 vcc_lo, 0, v49
	v_add_nc_u32_e32 v49, 0xffffff89, v49
	v_cndmask_b32_e64 v51, v51, 0x77, vcc_lo
	v_cndmask_b32_e32 v50, v65, v50, vcc_lo
	v_cndmask_b32_e64 v49, v49, 0xffffff8a, vcc_lo
	v_lshl_add_u32 v65, 0x100000, v51, -1
	v_lshrrev_b32_e32 v98, v51, v50
	v_lshlrev_b32_e64 v115, v51, 0x80000
	v_add_nc_u32_e32 v51, v51, v49
	v_and_b32_e32 v50, v65, v50
	v_bfe_u32 v102, v98, 20, 1
	v_cmp_eq_u32_e64 s12, v50, v115
	v_add_nc_u32_e32 v65, -1, v102
	v_cndmask_b32_e64 v50, 0, v65, s12
	v_lshrrev_b32_e32 v65, 23, v98
	s_mov_b32 s12, exec_lo
	v_add_nc_u32_e32 v50, v50, v98
	v_xor_b32_e32 v65, 1, v65
	v_and_b32_e32 v49, 0xfffff, v50
	v_add_nc_u32_e32 v50, v49, v98
                                        ; implicit-def: $vgpr49
	v_cmpx_ne_u32_e64 v51, v65
	s_xor_b32 s12, exec_lo, s12
; %bb.5056:                             ;   in Loop: Header=BB4_4885 Depth=2
	v_cmp_lt_u32_e32 vcc_lo, 0xffffff, v50
	v_sub_nc_u32_e32 v49, v51, v65
	v_cndmask_b32_e64 v51, 0, 1, vcc_lo
	v_add_co_ci_u32_e64 v49, null, 0, v49, vcc_lo
	v_lshrrev_b32_e32 v50, v51, v50
; %bb.5057:                             ;   in Loop: Header=BB4_4885 Depth=2
	s_andn2_saveexec_b32 s12, s12
; %bb.5058:                             ;   in Loop: Header=BB4_4885 Depth=2
	v_bfe_u32 v49, v50, 23, 1
; %bb.5059:                             ;   in Loop: Header=BB4_4885 Depth=2
	s_or_b32 exec_lo, exec_lo, s12
	v_lshrrev_b32_e32 v50, 20, v50
	v_cmp_gt_i32_e32 vcc_lo, 16, v49
	v_min_i32_e32 v51, 15, v49
	v_and_b32_sdwa v16, v16, v85 dst_sel:DWORD dst_unused:UNUSED_PAD src0_sel:BYTE_3 src1_sel:DWORD
	v_cndmask_b32_e32 v50, 7, v50, vcc_lo
	v_lshlrev_b32_e32 v51, 3, v51
	v_and_b32_e32 v65, 7, v50
	v_or_b32_e32 v49, v49, v50
	v_or3_b32 v16, v51, v16, v65
	v_cmp_ne_u32_e32 vcc_lo, 0, v49
	v_cndmask_b32_e32 v98, 0, v16, vcc_lo
.LBB4_5060:                             ;   in Loop: Header=BB4_4885 Depth=2
	s_or_b32 exec_lo, exec_lo, s28
.LBB4_5061:                             ;   in Loop: Header=BB4_4885 Depth=2
	s_or_b32 exec_lo, exec_lo, s27
	flat_load_ubyte v16, v[10:11] offset:384 slc
	s_mov_b32 s12, 0
	s_mov_b32 s27, exec_lo
	s_waitcnt vmcnt(0) lgkmcnt(0)
	v_cmpx_lt_i16_e32 0x7f, v16
	s_xor_b32 s27, exec_lo, s27
	s_cbranch_execz .LBB4_5459
; %bb.5062:                             ;   in Loop: Header=BB4_4885 Depth=2
	s_mov_b32 s12, -1
	s_mov_b32 s28, exec_lo
	v_cmpx_eq_u16_e32 0x80, v16
; %bb.5063:                             ;   in Loop: Header=BB4_4885 Depth=2
	s_xor_b32 s12, exec_lo, -1
; %bb.5064:                             ;   in Loop: Header=BB4_4885 Depth=2
	s_or_b32 exec_lo, exec_lo, s28
	s_and_b32 s12, s12, exec_lo
	s_or_saveexec_b32 s27, s27
	v_mov_b32_e32 v49, 0x7f800001
	s_xor_b32 exec_lo, exec_lo, s27
	s_cbranch_execnz .LBB4_5460
.LBB4_5065:                             ;   in Loop: Header=BB4_4885 Depth=2
	s_or_b32 exec_lo, exec_lo, s27
	s_and_saveexec_b32 s27, s12
	s_cbranch_execz .LBB4_5067
.LBB4_5066:                             ;   in Loop: Header=BB4_4885 Depth=2
	v_and_b32_e32 v49, 0xffff, v16
	v_lshlrev_b32_e32 v16, 24, v16
	v_and_b32_e32 v50, 7, v49
	v_bfe_u32 v102, v49, 3, 4
	v_and_b32_e32 v16, 0x80000000, v16
	v_ffbh_u32_e32 v51, v50
	v_cmp_eq_u32_e32 vcc_lo, 0, v102
	v_min_u32_e32 v51, 32, v51
	v_subrev_nc_u32_e32 v65, 28, v51
	v_sub_nc_u32_e32 v51, 29, v51
	v_lshlrev_b32_e32 v49, v65, v49
	v_cndmask_b32_e32 v51, v102, v51, vcc_lo
	v_and_b32_e32 v49, 7, v49
	v_cndmask_b32_e32 v49, v50, v49, vcc_lo
	v_lshl_add_u32 v50, v51, 23, 0x3b800000
	v_lshlrev_b32_e32 v49, 20, v49
	v_or3_b32 v49, v16, v50, v49
.LBB4_5067:                             ;   in Loop: Header=BB4_4885 Depth=2
	s_or_b32 exec_lo, exec_lo, s27
	v_mul_f32_e32 v16, v17, v49
	v_mov_b32_e32 v65, 0x80
	s_mov_b32 s27, exec_lo
	v_and_b32_e32 v49, 0x7f800000, v16
	v_cmpx_ne_u32_e32 0x7f800000, v49
	s_cbranch_execz .LBB4_5075
; %bb.5068:                             ;   in Loop: Header=BB4_4885 Depth=2
	v_mov_b32_e32 v65, 0
	s_mov_b32 s28, exec_lo
	v_cmpx_ne_u32_e32 0, v16
	s_cbranch_execz .LBB4_5074
; %bb.5069:                             ;   in Loop: Header=BB4_4885 Depth=2
	v_bfe_u32 v49, v16, 23, 8
	v_and_b32_e32 v50, 0x7fffff, v16
	v_sub_nc_u32_e32 v51, 0x78, v49
	v_cmp_gt_u32_e32 vcc_lo, 0x79, v49
	v_or_b32_e32 v65, 0x800000, v50
	v_cndmask_b32_e32 v51, 0, v51, vcc_lo
	v_cmp_eq_u32_e32 vcc_lo, 0, v49
	v_add_nc_u32_e32 v49, 0xffffff89, v49
	v_cndmask_b32_e64 v51, v51, 0x77, vcc_lo
	v_cndmask_b32_e32 v50, v65, v50, vcc_lo
	v_cndmask_b32_e64 v49, v49, 0xffffff8a, vcc_lo
	v_lshl_add_u32 v65, 0x100000, v51, -1
	v_lshrrev_b32_e32 v102, v51, v50
	v_lshlrev_b32_e64 v119, v51, 0x80000
	v_add_nc_u32_e32 v51, v51, v49
	v_and_b32_e32 v50, v65, v50
	v_bfe_u32 v115, v102, 20, 1
	v_cmp_eq_u32_e64 s12, v50, v119
	v_add_nc_u32_e32 v65, -1, v115
	v_cndmask_b32_e64 v50, 0, v65, s12
	v_lshrrev_b32_e32 v65, 23, v102
	s_mov_b32 s12, exec_lo
	v_add_nc_u32_e32 v50, v50, v102
	v_xor_b32_e32 v65, 1, v65
	v_and_b32_e32 v49, 0xfffff, v50
	v_add_nc_u32_e32 v50, v49, v102
                                        ; implicit-def: $vgpr49
	v_cmpx_ne_u32_e64 v51, v65
	s_xor_b32 s12, exec_lo, s12
; %bb.5070:                             ;   in Loop: Header=BB4_4885 Depth=2
	v_cmp_lt_u32_e32 vcc_lo, 0xffffff, v50
	v_sub_nc_u32_e32 v49, v51, v65
	v_cndmask_b32_e64 v51, 0, 1, vcc_lo
	v_add_co_ci_u32_e64 v49, null, 0, v49, vcc_lo
	v_lshrrev_b32_e32 v50, v51, v50
; %bb.5071:                             ;   in Loop: Header=BB4_4885 Depth=2
	s_andn2_saveexec_b32 s12, s12
; %bb.5072:                             ;   in Loop: Header=BB4_4885 Depth=2
	v_bfe_u32 v49, v50, 23, 1
; %bb.5073:                             ;   in Loop: Header=BB4_4885 Depth=2
	s_or_b32 exec_lo, exec_lo, s12
	v_lshrrev_b32_e32 v50, 20, v50
	v_cmp_gt_i32_e32 vcc_lo, 16, v49
	v_min_i32_e32 v51, 15, v49
	v_and_b32_sdwa v16, v16, v85 dst_sel:DWORD dst_unused:UNUSED_PAD src0_sel:BYTE_3 src1_sel:DWORD
	v_cndmask_b32_e32 v50, 7, v50, vcc_lo
	v_lshlrev_b32_e32 v51, 3, v51
	v_and_b32_e32 v65, 7, v50
	v_or_b32_e32 v49, v49, v50
	v_or3_b32 v16, v51, v16, v65
	v_cmp_ne_u32_e32 vcc_lo, 0, v49
	v_cndmask_b32_e32 v65, 0, v16, vcc_lo
.LBB4_5074:                             ;   in Loop: Header=BB4_4885 Depth=2
	s_or_b32 exec_lo, exec_lo, s28
.LBB4_5075:                             ;   in Loop: Header=BB4_4885 Depth=2
	s_or_b32 exec_lo, exec_lo, s27
	flat_load_ubyte v16, v[10:11] offset:416 slc
	s_mov_b32 s12, 0
	s_mov_b32 s27, exec_lo
	s_waitcnt vmcnt(0) lgkmcnt(0)
	v_cmpx_lt_i16_e32 0x7f, v16
	s_xor_b32 s27, exec_lo, s27
	s_cbranch_execz .LBB4_5461
; %bb.5076:                             ;   in Loop: Header=BB4_4885 Depth=2
	s_mov_b32 s12, -1
	s_mov_b32 s28, exec_lo
	v_cmpx_eq_u16_e32 0x80, v16
; %bb.5077:                             ;   in Loop: Header=BB4_4885 Depth=2
	s_xor_b32 s12, exec_lo, -1
; %bb.5078:                             ;   in Loop: Header=BB4_4885 Depth=2
	s_or_b32 exec_lo, exec_lo, s28
	s_and_b32 s12, s12, exec_lo
	s_or_saveexec_b32 s27, s27
	v_mov_b32_e32 v49, 0x7f800001
	s_xor_b32 exec_lo, exec_lo, s27
	s_cbranch_execnz .LBB4_5462
.LBB4_5079:                             ;   in Loop: Header=BB4_4885 Depth=2
	s_or_b32 exec_lo, exec_lo, s27
	s_and_saveexec_b32 s27, s12
	s_cbranch_execz .LBB4_5081
.LBB4_5080:                             ;   in Loop: Header=BB4_4885 Depth=2
	v_and_b32_e32 v49, 0xffff, v16
	v_lshlrev_b32_e32 v16, 24, v16
	v_and_b32_e32 v50, 7, v49
	v_bfe_u32 v115, v49, 3, 4
	v_and_b32_e32 v16, 0x80000000, v16
	v_ffbh_u32_e32 v51, v50
	v_cmp_eq_u32_e32 vcc_lo, 0, v115
	v_min_u32_e32 v51, 32, v51
	v_subrev_nc_u32_e32 v102, 28, v51
	v_sub_nc_u32_e32 v51, 29, v51
	v_lshlrev_b32_e32 v49, v102, v49
	v_cndmask_b32_e32 v51, v115, v51, vcc_lo
	v_and_b32_e32 v49, 7, v49
	v_cndmask_b32_e32 v49, v50, v49, vcc_lo
	v_lshl_add_u32 v50, v51, 23, 0x3b800000
	v_lshlrev_b32_e32 v49, 20, v49
	v_or3_b32 v49, v16, v50, v49
.LBB4_5081:                             ;   in Loop: Header=BB4_4885 Depth=2
	s_or_b32 exec_lo, exec_lo, s27
	v_mul_f32_e32 v16, v17, v49
	v_mov_b32_e32 v50, 0x80
	s_mov_b32 s27, exec_lo
	v_and_b32_e32 v49, 0x7f800000, v16
	v_cmpx_ne_u32_e32 0x7f800000, v49
	s_cbranch_execz .LBB4_5089
; %bb.5082:                             ;   in Loop: Header=BB4_4885 Depth=2
	v_mov_b32_e32 v50, 0
	s_mov_b32 s28, exec_lo
	v_cmpx_ne_u32_e32 0, v16
	s_cbranch_execz .LBB4_5088
; %bb.5083:                             ;   in Loop: Header=BB4_4885 Depth=2
	v_bfe_u32 v49, v16, 23, 8
	v_and_b32_e32 v50, 0x7fffff, v16
	v_sub_nc_u32_e32 v51, 0x78, v49
	v_cmp_gt_u32_e32 vcc_lo, 0x79, v49
	v_or_b32_e32 v102, 0x800000, v50
	v_cndmask_b32_e32 v51, 0, v51, vcc_lo
	v_cmp_eq_u32_e32 vcc_lo, 0, v49
	v_add_nc_u32_e32 v49, 0xffffff89, v49
	v_cndmask_b32_e64 v51, v51, 0x77, vcc_lo
	v_cndmask_b32_e32 v50, v102, v50, vcc_lo
	v_cndmask_b32_e64 v49, v49, 0xffffff8a, vcc_lo
	v_lshl_add_u32 v102, 0x100000, v51, -1
	v_lshrrev_b32_e32 v115, v51, v50
	v_lshlrev_b32_e64 v40, v51, 0x80000
	v_add_nc_u32_e32 v51, v51, v49
	v_and_b32_e32 v50, v102, v50
	v_bfe_u32 v119, v115, 20, 1
	v_cmp_eq_u32_e64 s12, v50, v40
	v_add_nc_u32_e32 v102, -1, v119
	v_cndmask_b32_e64 v50, 0, v102, s12
	v_lshrrev_b32_e32 v102, 23, v115
	s_mov_b32 s12, exec_lo
	v_add_nc_u32_e32 v50, v50, v115
	v_xor_b32_e32 v102, 1, v102
	v_and_b32_e32 v49, 0xfffff, v50
	v_add_nc_u32_e32 v50, v49, v115
                                        ; implicit-def: $vgpr49
	v_cmpx_ne_u32_e64 v51, v102
	s_xor_b32 s12, exec_lo, s12
; %bb.5084:                             ;   in Loop: Header=BB4_4885 Depth=2
	v_cmp_lt_u32_e32 vcc_lo, 0xffffff, v50
	v_sub_nc_u32_e32 v49, v51, v102
	v_cndmask_b32_e64 v51, 0, 1, vcc_lo
	v_add_co_ci_u32_e64 v49, null, 0, v49, vcc_lo
	v_lshrrev_b32_e32 v50, v51, v50
; %bb.5085:                             ;   in Loop: Header=BB4_4885 Depth=2
	s_andn2_saveexec_b32 s12, s12
; %bb.5086:                             ;   in Loop: Header=BB4_4885 Depth=2
	v_bfe_u32 v49, v50, 23, 1
; %bb.5087:                             ;   in Loop: Header=BB4_4885 Depth=2
	s_or_b32 exec_lo, exec_lo, s12
	v_lshrrev_b32_e32 v50, 20, v50
	v_cmp_gt_i32_e32 vcc_lo, 16, v49
	v_min_i32_e32 v51, 15, v49
	v_and_b32_sdwa v16, v16, v85 dst_sel:DWORD dst_unused:UNUSED_PAD src0_sel:BYTE_3 src1_sel:DWORD
	v_cndmask_b32_e32 v50, 7, v50, vcc_lo
	v_lshlrev_b32_e32 v51, 3, v51
	v_and_b32_e32 v102, 7, v50
	v_or_b32_e32 v49, v49, v50
	v_or3_b32 v16, v51, v16, v102
	v_cmp_ne_u32_e32 vcc_lo, 0, v49
	v_cndmask_b32_e32 v50, 0, v16, vcc_lo
.LBB4_5088:                             ;   in Loop: Header=BB4_4885 Depth=2
	s_or_b32 exec_lo, exec_lo, s28
.LBB4_5089:                             ;   in Loop: Header=BB4_4885 Depth=2
	s_or_b32 exec_lo, exec_lo, s27
	flat_load_ubyte v16, v[10:11] offset:448 slc
	s_mov_b32 s12, 0
	s_mov_b32 s27, exec_lo
	s_waitcnt vmcnt(0) lgkmcnt(0)
	v_cmpx_lt_i16_e32 0x7f, v16
	s_xor_b32 s27, exec_lo, s27
	s_cbranch_execz .LBB4_5463
; %bb.5090:                             ;   in Loop: Header=BB4_4885 Depth=2
	s_mov_b32 s12, -1
	s_mov_b32 s28, exec_lo
	v_cmpx_eq_u16_e32 0x80, v16
; %bb.5091:                             ;   in Loop: Header=BB4_4885 Depth=2
	s_xor_b32 s12, exec_lo, -1
; %bb.5092:                             ;   in Loop: Header=BB4_4885 Depth=2
	s_or_b32 exec_lo, exec_lo, s28
	s_and_b32 s12, s12, exec_lo
	s_or_saveexec_b32 s27, s27
	v_mov_b32_e32 v49, 0x7f800001
	s_xor_b32 exec_lo, exec_lo, s27
	s_cbranch_execnz .LBB4_5464
.LBB4_5093:                             ;   in Loop: Header=BB4_4885 Depth=2
	s_or_b32 exec_lo, exec_lo, s27
	s_and_saveexec_b32 s27, s12
	s_cbranch_execz .LBB4_5095
.LBB4_5094:                             ;   in Loop: Header=BB4_4885 Depth=2
	v_and_b32_e32 v49, 0xffff, v16
	v_lshlrev_b32_e32 v16, 24, v16
	v_and_b32_e32 v51, 7, v49
	v_bfe_u32 v119, v49, 3, 4
	v_and_b32_e32 v16, 0x80000000, v16
	v_ffbh_u32_e32 v102, v51
	v_cmp_eq_u32_e32 vcc_lo, 0, v119
	v_min_u32_e32 v102, 32, v102
	v_subrev_nc_u32_e32 v115, 28, v102
	v_sub_nc_u32_e32 v102, 29, v102
	v_lshlrev_b32_e32 v49, v115, v49
	v_cndmask_b32_e32 v102, v119, v102, vcc_lo
	v_and_b32_e32 v49, 7, v49
	v_cndmask_b32_e32 v49, v51, v49, vcc_lo
	v_lshl_add_u32 v51, v102, 23, 0x3b800000
	v_lshlrev_b32_e32 v49, 20, v49
	v_or3_b32 v49, v16, v51, v49
.LBB4_5095:                             ;   in Loop: Header=BB4_4885 Depth=2
	s_or_b32 exec_lo, exec_lo, s27
	v_mul_f32_e32 v16, v17, v49
	v_and_b32_e32 v49, 0x7f800000, v16
	v_cmp_ne_u32_e32 vcc_lo, 0x7f800000, v49
	v_mov_b32_e32 v49, 0x80
	s_and_saveexec_b32 s27, vcc_lo
	s_cbranch_execz .LBB4_5103
; %bb.5096:                             ;   in Loop: Header=BB4_4885 Depth=2
	v_mov_b32_e32 v49, 0
	s_mov_b32 s28, exec_lo
	v_cmpx_ne_u32_e32 0, v16
	s_cbranch_execz .LBB4_5102
; %bb.5097:                             ;   in Loop: Header=BB4_4885 Depth=2
	v_bfe_u32 v49, v16, 23, 8
	v_and_b32_e32 v51, 0x7fffff, v16
	v_sub_nc_u32_e32 v102, 0x78, v49
	v_cmp_gt_u32_e32 vcc_lo, 0x79, v49
	v_or_b32_e32 v115, 0x800000, v51
	v_cndmask_b32_e32 v102, 0, v102, vcc_lo
	v_cmp_eq_u32_e32 vcc_lo, 0, v49
	v_add_nc_u32_e32 v49, 0xffffff89, v49
	v_cndmask_b32_e64 v102, v102, 0x77, vcc_lo
	v_cndmask_b32_e32 v51, v115, v51, vcc_lo
	v_cndmask_b32_e64 v49, v49, 0xffffff8a, vcc_lo
	v_lshl_add_u32 v115, 0x100000, v102, -1
	v_lshrrev_b32_e32 v119, v102, v51
	v_lshlrev_b32_e64 v41, v102, 0x80000
	v_add_nc_u32_e32 v102, v102, v49
	v_and_b32_e32 v51, v115, v51
	v_bfe_u32 v40, v119, 20, 1
	v_cmp_eq_u32_e64 s12, v51, v41
	v_add_nc_u32_e32 v115, -1, v40
	v_cndmask_b32_e64 v51, 0, v115, s12
	v_lshrrev_b32_e32 v115, 23, v119
	s_mov_b32 s12, exec_lo
	v_add_nc_u32_e32 v51, v51, v119
	v_xor_b32_e32 v115, 1, v115
	v_and_b32_e32 v49, 0xfffff, v51
	v_add_nc_u32_e32 v51, v49, v119
                                        ; implicit-def: $vgpr49
	v_cmpx_ne_u32_e64 v102, v115
	s_xor_b32 s12, exec_lo, s12
; %bb.5098:                             ;   in Loop: Header=BB4_4885 Depth=2
	v_cmp_lt_u32_e32 vcc_lo, 0xffffff, v51
	v_sub_nc_u32_e32 v49, v102, v115
	v_cndmask_b32_e64 v102, 0, 1, vcc_lo
	v_add_co_ci_u32_e64 v49, null, 0, v49, vcc_lo
	v_lshrrev_b32_e32 v51, v102, v51
; %bb.5099:                             ;   in Loop: Header=BB4_4885 Depth=2
	s_andn2_saveexec_b32 s12, s12
; %bb.5100:                             ;   in Loop: Header=BB4_4885 Depth=2
	v_bfe_u32 v49, v51, 23, 1
; %bb.5101:                             ;   in Loop: Header=BB4_4885 Depth=2
	s_or_b32 exec_lo, exec_lo, s12
	v_lshrrev_b32_e32 v51, 20, v51
	v_cmp_gt_i32_e32 vcc_lo, 16, v49
	v_min_i32_e32 v102, 15, v49
	v_and_b32_sdwa v16, v16, v85 dst_sel:DWORD dst_unused:UNUSED_PAD src0_sel:BYTE_3 src1_sel:DWORD
	v_cndmask_b32_e32 v51, 7, v51, vcc_lo
	v_lshlrev_b32_e32 v102, 3, v102
	v_and_b32_e32 v115, 7, v51
	v_or_b32_e32 v49, v49, v51
	v_or3_b32 v16, v102, v16, v115
	v_cmp_ne_u32_e32 vcc_lo, 0, v49
	v_cndmask_b32_e32 v49, 0, v16, vcc_lo
.LBB4_5102:                             ;   in Loop: Header=BB4_4885 Depth=2
	s_or_b32 exec_lo, exec_lo, s28
.LBB4_5103:                             ;   in Loop: Header=BB4_4885 Depth=2
	s_or_b32 exec_lo, exec_lo, s27
	flat_load_ubyte v16, v[10:11] offset:480 slc
	s_mov_b32 s12, 0
	s_mov_b32 s27, exec_lo
	s_waitcnt vmcnt(0) lgkmcnt(0)
	v_cmpx_lt_i16_e32 0x7f, v16
	s_xor_b32 s27, exec_lo, s27
	s_cbranch_execz .LBB4_5465
; %bb.5104:                             ;   in Loop: Header=BB4_4885 Depth=2
	s_mov_b32 s12, -1
	s_mov_b32 s28, exec_lo
	v_cmpx_eq_u16_e32 0x80, v16
; %bb.5105:                             ;   in Loop: Header=BB4_4885 Depth=2
	s_xor_b32 s12, exec_lo, -1
; %bb.5106:                             ;   in Loop: Header=BB4_4885 Depth=2
	s_or_b32 exec_lo, exec_lo, s28
	s_and_b32 s12, s12, exec_lo
	s_or_saveexec_b32 s27, s27
	v_mov_b32_e32 v51, 0x7f800001
	s_xor_b32 exec_lo, exec_lo, s27
	s_cbranch_execnz .LBB4_5466
.LBB4_5107:                             ;   in Loop: Header=BB4_4885 Depth=2
	s_or_b32 exec_lo, exec_lo, s27
	s_and_saveexec_b32 s27, s12
	s_cbranch_execz .LBB4_5109
.LBB4_5108:                             ;   in Loop: Header=BB4_4885 Depth=2
	v_and_b32_e32 v51, 0xffff, v16
	v_lshlrev_b32_e32 v16, 24, v16
	v_and_b32_e32 v102, 7, v51
	v_bfe_u32 v40, v51, 3, 4
	v_and_b32_e32 v16, 0x80000000, v16
	v_ffbh_u32_e32 v115, v102
	v_cmp_eq_u32_e32 vcc_lo, 0, v40
	v_min_u32_e32 v115, 32, v115
	v_subrev_nc_u32_e32 v119, 28, v115
	v_sub_nc_u32_e32 v115, 29, v115
	v_lshlrev_b32_e32 v51, v119, v51
	v_cndmask_b32_e32 v115, v40, v115, vcc_lo
	v_and_b32_e32 v51, 7, v51
	v_cndmask_b32_e32 v51, v102, v51, vcc_lo
	v_lshl_add_u32 v102, v115, 23, 0x3b800000
	v_lshlrev_b32_e32 v51, 20, v51
	v_or3_b32 v51, v16, v102, v51
.LBB4_5109:                             ;   in Loop: Header=BB4_4885 Depth=2
	s_or_b32 exec_lo, exec_lo, s27
	v_mul_f32_e32 v16, v17, v51
	v_and_b32_e32 v17, 0x7f800000, v16
	v_cmp_ne_u32_e32 vcc_lo, 0x7f800000, v17
	v_mov_b32_e32 v17, 0x80
	s_and_saveexec_b32 s27, vcc_lo
	s_cbranch_execz .LBB4_5117
; %bb.5110:                             ;   in Loop: Header=BB4_4885 Depth=2
	v_mov_b32_e32 v17, 0
	s_mov_b32 s28, exec_lo
	v_cmpx_ne_u32_e32 0, v16
	s_cbranch_execz .LBB4_5116
; %bb.5111:                             ;   in Loop: Header=BB4_4885 Depth=2
	v_bfe_u32 v17, v16, 23, 8
	v_and_b32_e32 v51, 0x7fffff, v16
	v_sub_nc_u32_e32 v102, 0x78, v17
	v_cmp_gt_u32_e32 vcc_lo, 0x79, v17
	v_or_b32_e32 v115, 0x800000, v51
	v_cndmask_b32_e32 v102, 0, v102, vcc_lo
	v_cmp_eq_u32_e32 vcc_lo, 0, v17
	v_add_nc_u32_e32 v17, 0xffffff89, v17
	v_cndmask_b32_e64 v102, v102, 0x77, vcc_lo
	v_cndmask_b32_e32 v51, v115, v51, vcc_lo
	v_cndmask_b32_e64 v17, v17, 0xffffff8a, vcc_lo
	v_lshl_add_u32 v115, 0x100000, v102, -1
	v_lshrrev_b32_e32 v119, v102, v51
	v_lshlrev_b32_e64 v41, v102, 0x80000
	v_add_nc_u32_e32 v102, v102, v17
	v_and_b32_e32 v51, v115, v51
	v_bfe_u32 v40, v119, 20, 1
	v_cmp_eq_u32_e64 s12, v51, v41
	v_add_nc_u32_e32 v115, -1, v40
	v_cndmask_b32_e64 v51, 0, v115, s12
	v_lshrrev_b32_e32 v115, 23, v119
	s_mov_b32 s12, exec_lo
	v_add_nc_u32_e32 v51, v51, v119
	v_xor_b32_e32 v115, 1, v115
	v_and_b32_e32 v17, 0xfffff, v51
	v_add_nc_u32_e32 v51, v17, v119
                                        ; implicit-def: $vgpr17
	v_cmpx_ne_u32_e64 v102, v115
	s_xor_b32 s12, exec_lo, s12
; %bb.5112:                             ;   in Loop: Header=BB4_4885 Depth=2
	v_cmp_lt_u32_e32 vcc_lo, 0xffffff, v51
	v_sub_nc_u32_e32 v17, v102, v115
	v_cndmask_b32_e64 v102, 0, 1, vcc_lo
	v_add_co_ci_u32_e64 v17, null, 0, v17, vcc_lo
	v_lshrrev_b32_e32 v51, v102, v51
; %bb.5113:                             ;   in Loop: Header=BB4_4885 Depth=2
	s_andn2_saveexec_b32 s12, s12
; %bb.5114:                             ;   in Loop: Header=BB4_4885 Depth=2
	v_bfe_u32 v17, v51, 23, 1
; %bb.5115:                             ;   in Loop: Header=BB4_4885 Depth=2
	s_or_b32 exec_lo, exec_lo, s12
	v_lshrrev_b32_e32 v51, 20, v51
	v_cmp_gt_i32_e32 vcc_lo, 16, v17
	v_min_i32_e32 v102, 15, v17
	v_and_b32_sdwa v16, v16, v85 dst_sel:DWORD dst_unused:UNUSED_PAD src0_sel:BYTE_3 src1_sel:DWORD
	v_cndmask_b32_e32 v51, 7, v51, vcc_lo
	v_lshlrev_b32_e32 v102, 3, v102
	v_and_b32_e32 v115, 7, v51
	v_or_b32_e32 v17, v17, v51
	v_or3_b32 v16, v102, v16, v115
	v_cmp_ne_u32_e32 vcc_lo, 0, v17
	v_cndmask_b32_e32 v17, 0, v16, vcc_lo
.LBB4_5116:                             ;   in Loop: Header=BB4_4885 Depth=2
	s_or_b32 exec_lo, exec_lo, s28
.LBB4_5117:                             ;   in Loop: Header=BB4_4885 Depth=2
	s_or_b32 exec_lo, exec_lo, s27
	s_clause 0xf
	flat_load_ubyte v58, v[12:13] slc
	flat_load_ubyte v57, v[12:13] offset:32 slc
	flat_load_ubyte v56, v[12:13] offset:64 slc
	;; [unrolled: 1-line block ×15, first 2 shown]
	v_cmp_gt_i16_sdwa s27, v48, v84 src0_sel:BYTE_0 src1_sel:DWORD
	s_mov_b32 s12, 0
	s_and_saveexec_b32 s28, s27
	s_xor_b32 s27, exec_lo, s28
	s_cbranch_execz .LBB4_5467
; %bb.5118:                             ;   in Loop: Header=BB4_4885 Depth=2
	v_cmp_eq_u16_sdwa s29, v48, v85 src0_sel:BYTE_0 src1_sel:DWORD
	s_mov_b32 s12, -1
	s_and_saveexec_b32 s28, s29
; %bb.5119:                             ;   in Loop: Header=BB4_4885 Depth=2
	s_xor_b32 s12, exec_lo, -1
; %bb.5120:                             ;   in Loop: Header=BB4_4885 Depth=2
	s_or_b32 exec_lo, exec_lo, s28
	s_and_b32 s12, s12, exec_lo
	s_or_saveexec_b32 s27, s27
	v_mov_b32_e32 v59, 0x7f800001
	s_xor_b32 exec_lo, exec_lo, s27
	s_cbranch_execnz .LBB4_5468
.LBB4_5121:                             ;   in Loop: Header=BB4_4885 Depth=2
	s_or_b32 exec_lo, exec_lo, s27
	s_and_saveexec_b32 s27, s12
	s_cbranch_execz .LBB4_5123
.LBB4_5122:                             ;   in Loop: Header=BB4_4885 Depth=2
	v_and_b32_e32 v59, 7, v48
	v_lshrrev_b16 v61, 3, v48
	v_ffbh_u32_e32 v60, v59
	v_and_b32_e32 v61, 15, v61
	v_min_u32_e32 v60, 32, v60
	v_cmp_eq_u32_e32 vcc_lo, 0, v61
	v_subrev_nc_u32_e32 v62, 28, v60
	v_sub_nc_u32_e32 v60, 29, v60
	v_lshlrev_b32_e32 v62, v62, v48
	v_lshlrev_b32_e32 v48, 24, v48
	v_cndmask_b32_e32 v60, v61, v60, vcc_lo
	v_and_b32_e32 v62, 7, v62
	v_and_b32_e32 v48, 0x80000000, v48
	v_lshl_add_u32 v60, v60, 23, 0x3b800000
	v_cndmask_b32_e32 v59, v59, v62, vcc_lo
	v_lshlrev_b32_e32 v59, 20, v59
	v_or3_b32 v59, v48, v60, v59
.LBB4_5123:                             ;   in Loop: Header=BB4_4885 Depth=2
	s_or_b32 exec_lo, exec_lo, s27
	s_waitcnt vmcnt(15) lgkmcnt(15)
	v_cmp_gt_i16_sdwa s27, v58, v84 src0_sel:BYTE_0 src1_sel:DWORD
	s_mov_b32 s12, 0
	s_and_saveexec_b32 s28, s27
	s_xor_b32 s27, exec_lo, s28
	s_cbranch_execz .LBB4_5469
; %bb.5124:                             ;   in Loop: Header=BB4_4885 Depth=2
	v_cmp_eq_u16_sdwa s29, v58, v85 src0_sel:BYTE_0 src1_sel:DWORD
	s_mov_b32 s12, -1
	s_and_saveexec_b32 s28, s29
; %bb.5125:                             ;   in Loop: Header=BB4_4885 Depth=2
	s_xor_b32 s12, exec_lo, -1
; %bb.5126:                             ;   in Loop: Header=BB4_4885 Depth=2
	s_or_b32 exec_lo, exec_lo, s28
	s_and_b32 s12, s12, exec_lo
	s_or_saveexec_b32 s27, s27
	v_mov_b32_e32 v48, 0x7f800001
	s_xor_b32 exec_lo, exec_lo, s27
	s_cbranch_execnz .LBB4_5470
.LBB4_5127:                             ;   in Loop: Header=BB4_4885 Depth=2
	s_or_b32 exec_lo, exec_lo, s27
	s_and_saveexec_b32 s27, s12
	s_cbranch_execz .LBB4_5129
.LBB4_5128:                             ;   in Loop: Header=BB4_4885 Depth=2
	v_and_b32_e32 v48, 7, v58
	v_lshrrev_b16 v61, 3, v58
	v_ffbh_u32_e32 v60, v48
	v_and_b32_e32 v61, 15, v61
	v_min_u32_e32 v60, 32, v60
	v_cmp_eq_u32_e32 vcc_lo, 0, v61
	v_subrev_nc_u32_e32 v62, 28, v60
	v_sub_nc_u32_e32 v60, 29, v60
	v_lshlrev_b32_e32 v62, v62, v58
	v_lshlrev_b32_e32 v58, 24, v58
	v_cndmask_b32_e32 v60, v61, v60, vcc_lo
	v_and_b32_e32 v62, 7, v62
	v_and_b32_e32 v58, 0x80000000, v58
	v_lshl_add_u32 v60, v60, 23, 0x3b800000
	v_cndmask_b32_e32 v48, v48, v62, vcc_lo
	v_lshlrev_b32_e32 v48, 20, v48
	v_or3_b32 v48, v58, v60, v48
.LBB4_5129:                             ;   in Loop: Header=BB4_4885 Depth=2
	s_or_b32 exec_lo, exec_lo, s27
	v_add_f32_e32 v58, v59, v48
	v_and_b32_e32 v48, 0x7f800000, v58
	v_cmp_ne_u32_e32 vcc_lo, 0x7f800000, v48
	v_mov_b32_e32 v48, 0x80
	s_and_saveexec_b32 s27, vcc_lo
	s_cbranch_execz .LBB4_5137
; %bb.5130:                             ;   in Loop: Header=BB4_4885 Depth=2
	v_mov_b32_e32 v48, 0
	s_mov_b32 s28, exec_lo
	v_cmpx_ne_u32_e32 0, v58
	s_cbranch_execz .LBB4_5136
; %bb.5131:                             ;   in Loop: Header=BB4_4885 Depth=2
	v_bfe_u32 v48, v58, 23, 8
	v_and_b32_e32 v59, 0x7fffff, v58
	v_sub_nc_u32_e32 v60, 0x78, v48
	v_cmp_gt_u32_e32 vcc_lo, 0x79, v48
	v_or_b32_e32 v61, 0x800000, v59
	v_cndmask_b32_e32 v60, 0, v60, vcc_lo
	v_cmp_eq_u32_e32 vcc_lo, 0, v48
	v_add_nc_u32_e32 v48, 0xffffff89, v48
	v_cndmask_b32_e64 v60, v60, 0x77, vcc_lo
	v_cndmask_b32_e32 v59, v61, v59, vcc_lo
	v_cndmask_b32_e64 v48, v48, 0xffffff8a, vcc_lo
	v_lshl_add_u32 v61, 0x100000, v60, -1
	v_lshrrev_b32_e32 v62, v60, v59
	v_lshlrev_b32_e64 v72, v60, 0x80000
	v_add_nc_u32_e32 v60, v60, v48
	v_and_b32_e32 v59, v61, v59
	v_bfe_u32 v63, v62, 20, 1
	v_cmp_eq_u32_e64 s12, v59, v72
	v_add_nc_u32_e32 v61, -1, v63
	v_cndmask_b32_e64 v59, 0, v61, s12
	v_lshrrev_b32_e32 v61, 23, v62
	s_mov_b32 s12, exec_lo
	v_add_nc_u32_e32 v59, v59, v62
	v_xor_b32_e32 v61, 1, v61
	v_and_b32_e32 v48, 0xfffff, v59
	v_add_nc_u32_e32 v59, v48, v62
                                        ; implicit-def: $vgpr48
	v_cmpx_ne_u32_e64 v60, v61
	s_xor_b32 s12, exec_lo, s12
; %bb.5132:                             ;   in Loop: Header=BB4_4885 Depth=2
	v_cmp_lt_u32_e32 vcc_lo, 0xffffff, v59
	v_sub_nc_u32_e32 v48, v60, v61
	v_cndmask_b32_e64 v60, 0, 1, vcc_lo
	v_add_co_ci_u32_e64 v48, null, 0, v48, vcc_lo
	v_lshrrev_b32_e32 v59, v60, v59
; %bb.5133:                             ;   in Loop: Header=BB4_4885 Depth=2
	s_andn2_saveexec_b32 s12, s12
; %bb.5134:                             ;   in Loop: Header=BB4_4885 Depth=2
	v_bfe_u32 v48, v59, 23, 1
; %bb.5135:                             ;   in Loop: Header=BB4_4885 Depth=2
	s_or_b32 exec_lo, exec_lo, s12
	v_lshrrev_b32_e32 v59, 20, v59
	v_cmp_gt_i32_e32 vcc_lo, 16, v48
	v_min_i32_e32 v60, 15, v48
	v_and_b32_sdwa v58, v58, v85 dst_sel:DWORD dst_unused:UNUSED_PAD src0_sel:BYTE_3 src1_sel:DWORD
	v_cndmask_b32_e32 v59, 7, v59, vcc_lo
	v_lshlrev_b32_e32 v60, 3, v60
	v_and_b32_e32 v61, 7, v59
	v_or_b32_e32 v48, v48, v59
	v_or3_b32 v58, v60, v58, v61
	v_cmp_ne_u32_e32 vcc_lo, 0, v48
	v_cndmask_b32_e32 v48, 0, v58, vcc_lo
.LBB4_5136:                             ;   in Loop: Header=BB4_4885 Depth=2
	s_or_b32 exec_lo, exec_lo, s28
.LBB4_5137:                             ;   in Loop: Header=BB4_4885 Depth=2
	s_or_b32 exec_lo, exec_lo, s27
	v_cmp_gt_i16_sdwa s27, v99, v84 src0_sel:BYTE_0 src1_sel:DWORD
	s_mov_b32 s12, 0
	s_and_saveexec_b32 s28, s27
	s_xor_b32 s27, exec_lo, s28
	s_cbranch_execz .LBB4_5471
; %bb.5138:                             ;   in Loop: Header=BB4_4885 Depth=2
	v_cmp_eq_u16_sdwa s29, v99, v85 src0_sel:BYTE_0 src1_sel:DWORD
	s_mov_b32 s12, -1
	s_and_saveexec_b32 s28, s29
; %bb.5139:                             ;   in Loop: Header=BB4_4885 Depth=2
	s_xor_b32 s12, exec_lo, -1
; %bb.5140:                             ;   in Loop: Header=BB4_4885 Depth=2
	s_or_b32 exec_lo, exec_lo, s28
	s_and_b32 s12, s12, exec_lo
	s_or_saveexec_b32 s27, s27
	v_mov_b32_e32 v58, 0x7f800001
	s_xor_b32 exec_lo, exec_lo, s27
	s_cbranch_execnz .LBB4_5472
.LBB4_5141:                             ;   in Loop: Header=BB4_4885 Depth=2
	s_or_b32 exec_lo, exec_lo, s27
	s_and_saveexec_b32 s27, s12
	s_cbranch_execz .LBB4_5143
.LBB4_5142:                             ;   in Loop: Header=BB4_4885 Depth=2
	v_and_b32_e32 v58, 7, v99
	v_lshrrev_b16 v60, 3, v99
	v_ffbh_u32_e32 v59, v58
	v_and_b32_e32 v60, 15, v60
	v_min_u32_e32 v59, 32, v59
	v_cmp_eq_u32_e32 vcc_lo, 0, v60
	v_subrev_nc_u32_e32 v61, 28, v59
	v_sub_nc_u32_e32 v59, 29, v59
	v_lshlrev_b32_e32 v61, v61, v99
	v_lshlrev_b32_e32 v99, 24, v99
	v_cndmask_b32_e32 v59, v60, v59, vcc_lo
	v_and_b32_e32 v61, 7, v61
	v_and_b32_e32 v99, 0x80000000, v99
	v_lshl_add_u32 v59, v59, 23, 0x3b800000
	v_cndmask_b32_e32 v58, v58, v61, vcc_lo
	v_lshlrev_b32_e32 v58, 20, v58
	v_or3_b32 v58, v99, v59, v58
.LBB4_5143:                             ;   in Loop: Header=BB4_4885 Depth=2
	s_or_b32 exec_lo, exec_lo, s27
	s_waitcnt vmcnt(14) lgkmcnt(14)
	v_cmp_gt_i16_sdwa s27, v57, v84 src0_sel:BYTE_0 src1_sel:DWORD
	s_mov_b32 s12, 0
	s_and_saveexec_b32 s28, s27
	s_xor_b32 s27, exec_lo, s28
	s_cbranch_execz .LBB4_5473
; %bb.5144:                             ;   in Loop: Header=BB4_4885 Depth=2
	v_cmp_eq_u16_sdwa s29, v57, v85 src0_sel:BYTE_0 src1_sel:DWORD
	s_mov_b32 s12, -1
	s_and_saveexec_b32 s28, s29
; %bb.5145:                             ;   in Loop: Header=BB4_4885 Depth=2
	s_xor_b32 s12, exec_lo, -1
; %bb.5146:                             ;   in Loop: Header=BB4_4885 Depth=2
	s_or_b32 exec_lo, exec_lo, s28
	s_and_b32 s12, s12, exec_lo
	s_or_saveexec_b32 s27, s27
	v_mov_b32_e32 v99, 0x7f800001
	s_xor_b32 exec_lo, exec_lo, s27
	s_cbranch_execnz .LBB4_5474
.LBB4_5147:                             ;   in Loop: Header=BB4_4885 Depth=2
	s_or_b32 exec_lo, exec_lo, s27
	s_and_saveexec_b32 s27, s12
	s_cbranch_execz .LBB4_5149
.LBB4_5148:                             ;   in Loop: Header=BB4_4885 Depth=2
	v_and_b32_e32 v99, 7, v57
	v_lshrrev_b16 v60, 3, v57
	v_ffbh_u32_e32 v59, v99
	v_and_b32_e32 v60, 15, v60
	v_min_u32_e32 v59, 32, v59
	v_cmp_eq_u32_e32 vcc_lo, 0, v60
	v_subrev_nc_u32_e32 v61, 28, v59
	v_sub_nc_u32_e32 v59, 29, v59
	v_lshlrev_b32_e32 v61, v61, v57
	v_lshlrev_b32_e32 v57, 24, v57
	v_cndmask_b32_e32 v59, v60, v59, vcc_lo
	v_and_b32_e32 v61, 7, v61
	v_and_b32_e32 v57, 0x80000000, v57
	v_lshl_add_u32 v59, v59, 23, 0x3b800000
	v_cndmask_b32_e32 v99, v99, v61, vcc_lo
	v_lshlrev_b32_e32 v99, 20, v99
	v_or3_b32 v99, v57, v59, v99
.LBB4_5149:                             ;   in Loop: Header=BB4_4885 Depth=2
	s_or_b32 exec_lo, exec_lo, s27
	v_add_f32_e32 v57, v58, v99
	v_and_b32_e32 v99, 0x7f800000, v57
	v_cmp_ne_u32_e32 vcc_lo, 0x7f800000, v99
	v_mov_b32_e32 v99, 0x80
	s_and_saveexec_b32 s27, vcc_lo
	s_cbranch_execz .LBB4_5157
; %bb.5150:                             ;   in Loop: Header=BB4_4885 Depth=2
	v_mov_b32_e32 v99, 0
	s_mov_b32 s28, exec_lo
	v_cmpx_ne_u32_e32 0, v57
	s_cbranch_execz .LBB4_5156
; %bb.5151:                             ;   in Loop: Header=BB4_4885 Depth=2
	v_bfe_u32 v99, v57, 23, 8
	v_and_b32_e32 v58, 0x7fffff, v57
	v_sub_nc_u32_e32 v59, 0x78, v99
	v_cmp_gt_u32_e32 vcc_lo, 0x79, v99
	v_or_b32_e32 v60, 0x800000, v58
	v_cndmask_b32_e32 v59, 0, v59, vcc_lo
	v_cmp_eq_u32_e32 vcc_lo, 0, v99
	v_add_nc_u32_e32 v99, 0xffffff89, v99
	v_cndmask_b32_e64 v59, v59, 0x77, vcc_lo
	v_cndmask_b32_e32 v58, v60, v58, vcc_lo
	v_cndmask_b32_e64 v99, v99, 0xffffff8a, vcc_lo
	v_lshl_add_u32 v60, 0x100000, v59, -1
	v_lshrrev_b32_e32 v61, v59, v58
	v_lshlrev_b32_e64 v63, v59, 0x80000
	v_add_nc_u32_e32 v59, v59, v99
	v_and_b32_e32 v58, v60, v58
	v_bfe_u32 v62, v61, 20, 1
	v_cmp_eq_u32_e64 s12, v58, v63
	v_add_nc_u32_e32 v60, -1, v62
	v_cndmask_b32_e64 v58, 0, v60, s12
	v_lshrrev_b32_e32 v60, 23, v61
	s_mov_b32 s12, exec_lo
	v_add_nc_u32_e32 v58, v58, v61
	v_xor_b32_e32 v60, 1, v60
	v_and_b32_e32 v99, 0xfffff, v58
	v_add_nc_u32_e32 v58, v99, v61
                                        ; implicit-def: $vgpr99
	v_cmpx_ne_u32_e64 v59, v60
	s_xor_b32 s12, exec_lo, s12
; %bb.5152:                             ;   in Loop: Header=BB4_4885 Depth=2
	v_cmp_lt_u32_e32 vcc_lo, 0xffffff, v58
	v_sub_nc_u32_e32 v99, v59, v60
	v_cndmask_b32_e64 v59, 0, 1, vcc_lo
	v_add_co_ci_u32_e64 v99, null, 0, v99, vcc_lo
	v_lshrrev_b32_e32 v58, v59, v58
; %bb.5153:                             ;   in Loop: Header=BB4_4885 Depth=2
	s_andn2_saveexec_b32 s12, s12
; %bb.5154:                             ;   in Loop: Header=BB4_4885 Depth=2
	v_bfe_u32 v99, v58, 23, 1
; %bb.5155:                             ;   in Loop: Header=BB4_4885 Depth=2
	s_or_b32 exec_lo, exec_lo, s12
	v_lshrrev_b32_e32 v58, 20, v58
	v_cmp_gt_i32_e32 vcc_lo, 16, v99
	v_min_i32_e32 v59, 15, v99
	v_and_b32_sdwa v57, v57, v85 dst_sel:DWORD dst_unused:UNUSED_PAD src0_sel:BYTE_3 src1_sel:DWORD
	v_cndmask_b32_e32 v58, 7, v58, vcc_lo
	v_lshlrev_b32_e32 v59, 3, v59
	v_and_b32_e32 v60, 7, v58
	v_or_b32_e32 v99, v99, v58
	v_or3_b32 v57, v59, v57, v60
	v_cmp_ne_u32_e32 vcc_lo, 0, v99
	v_cndmask_b32_e32 v99, 0, v57, vcc_lo
.LBB4_5156:                             ;   in Loop: Header=BB4_4885 Depth=2
	s_or_b32 exec_lo, exec_lo, s28
.LBB4_5157:                             ;   in Loop: Header=BB4_4885 Depth=2
	s_or_b32 exec_lo, exec_lo, s27
	v_cmp_gt_i16_sdwa s27, v112, v84 src0_sel:BYTE_0 src1_sel:DWORD
	s_mov_b32 s12, 0
	s_and_saveexec_b32 s28, s27
	s_xor_b32 s27, exec_lo, s28
	s_cbranch_execz .LBB4_5475
; %bb.5158:                             ;   in Loop: Header=BB4_4885 Depth=2
	v_cmp_eq_u16_sdwa s29, v112, v85 src0_sel:BYTE_0 src1_sel:DWORD
	s_mov_b32 s12, -1
	s_and_saveexec_b32 s28, s29
; %bb.5159:                             ;   in Loop: Header=BB4_4885 Depth=2
	s_xor_b32 s12, exec_lo, -1
; %bb.5160:                             ;   in Loop: Header=BB4_4885 Depth=2
	s_or_b32 exec_lo, exec_lo, s28
	s_and_b32 s12, s12, exec_lo
	s_or_saveexec_b32 s27, s27
	v_mov_b32_e32 v57, 0x7f800001
	s_xor_b32 exec_lo, exec_lo, s27
	s_cbranch_execnz .LBB4_5476
.LBB4_5161:                             ;   in Loop: Header=BB4_4885 Depth=2
	s_or_b32 exec_lo, exec_lo, s27
	s_and_saveexec_b32 s27, s12
	s_cbranch_execz .LBB4_5163
.LBB4_5162:                             ;   in Loop: Header=BB4_4885 Depth=2
	v_and_b32_e32 v57, 7, v112
	v_lshrrev_b16 v59, 3, v112
	v_ffbh_u32_e32 v58, v57
	v_and_b32_e32 v59, 15, v59
	v_min_u32_e32 v58, 32, v58
	v_cmp_eq_u32_e32 vcc_lo, 0, v59
	v_subrev_nc_u32_e32 v60, 28, v58
	v_sub_nc_u32_e32 v58, 29, v58
	v_lshlrev_b32_e32 v60, v60, v112
	v_lshlrev_b32_e32 v112, 24, v112
	v_cndmask_b32_e32 v58, v59, v58, vcc_lo
	v_and_b32_e32 v60, 7, v60
	v_and_b32_e32 v112, 0x80000000, v112
	v_lshl_add_u32 v58, v58, 23, 0x3b800000
	v_cndmask_b32_e32 v57, v57, v60, vcc_lo
	v_lshlrev_b32_e32 v57, 20, v57
	v_or3_b32 v57, v112, v58, v57
.LBB4_5163:                             ;   in Loop: Header=BB4_4885 Depth=2
	s_or_b32 exec_lo, exec_lo, s27
	s_waitcnt vmcnt(13) lgkmcnt(13)
	v_cmp_gt_i16_sdwa s27, v56, v84 src0_sel:BYTE_0 src1_sel:DWORD
	s_mov_b32 s12, 0
	s_and_saveexec_b32 s28, s27
	s_xor_b32 s27, exec_lo, s28
	s_cbranch_execz .LBB4_5477
; %bb.5164:                             ;   in Loop: Header=BB4_4885 Depth=2
	v_cmp_eq_u16_sdwa s29, v56, v85 src0_sel:BYTE_0 src1_sel:DWORD
	s_mov_b32 s12, -1
	s_and_saveexec_b32 s28, s29
; %bb.5165:                             ;   in Loop: Header=BB4_4885 Depth=2
	s_xor_b32 s12, exec_lo, -1
; %bb.5166:                             ;   in Loop: Header=BB4_4885 Depth=2
	s_or_b32 exec_lo, exec_lo, s28
	s_and_b32 s12, s12, exec_lo
	s_or_saveexec_b32 s27, s27
	v_mov_b32_e32 v112, 0x7f800001
	s_xor_b32 exec_lo, exec_lo, s27
	s_cbranch_execnz .LBB4_5478
.LBB4_5167:                             ;   in Loop: Header=BB4_4885 Depth=2
	s_or_b32 exec_lo, exec_lo, s27
	s_and_saveexec_b32 s27, s12
	s_cbranch_execz .LBB4_5169
.LBB4_5168:                             ;   in Loop: Header=BB4_4885 Depth=2
	v_and_b32_e32 v112, 7, v56
	v_lshrrev_b16 v59, 3, v56
	v_ffbh_u32_e32 v58, v112
	v_and_b32_e32 v59, 15, v59
	v_min_u32_e32 v58, 32, v58
	v_cmp_eq_u32_e32 vcc_lo, 0, v59
	v_subrev_nc_u32_e32 v60, 28, v58
	v_sub_nc_u32_e32 v58, 29, v58
	v_lshlrev_b32_e32 v60, v60, v56
	v_lshlrev_b32_e32 v56, 24, v56
	v_cndmask_b32_e32 v58, v59, v58, vcc_lo
	v_and_b32_e32 v60, 7, v60
	v_and_b32_e32 v56, 0x80000000, v56
	v_lshl_add_u32 v58, v58, 23, 0x3b800000
	v_cndmask_b32_e32 v112, v112, v60, vcc_lo
	v_lshlrev_b32_e32 v112, 20, v112
	v_or3_b32 v112, v56, v58, v112
.LBB4_5169:                             ;   in Loop: Header=BB4_4885 Depth=2
	s_or_b32 exec_lo, exec_lo, s27
	v_add_f32_e32 v56, v57, v112
	v_and_b32_e32 v112, 0x7f800000, v56
	v_cmp_ne_u32_e32 vcc_lo, 0x7f800000, v112
	v_mov_b32_e32 v112, 0x80
	s_and_saveexec_b32 s27, vcc_lo
	s_cbranch_execz .LBB4_5177
; %bb.5170:                             ;   in Loop: Header=BB4_4885 Depth=2
	v_mov_b32_e32 v112, 0
	s_mov_b32 s28, exec_lo
	v_cmpx_ne_u32_e32 0, v56
	s_cbranch_execz .LBB4_5176
; %bb.5171:                             ;   in Loop: Header=BB4_4885 Depth=2
	v_bfe_u32 v112, v56, 23, 8
	v_and_b32_e32 v57, 0x7fffff, v56
	v_sub_nc_u32_e32 v58, 0x78, v112
	v_cmp_gt_u32_e32 vcc_lo, 0x79, v112
	v_or_b32_e32 v59, 0x800000, v57
	v_cndmask_b32_e32 v58, 0, v58, vcc_lo
	v_cmp_eq_u32_e32 vcc_lo, 0, v112
	v_add_nc_u32_e32 v112, 0xffffff89, v112
	v_cndmask_b32_e64 v58, v58, 0x77, vcc_lo
	v_cndmask_b32_e32 v57, v59, v57, vcc_lo
	v_cndmask_b32_e64 v112, v112, 0xffffff8a, vcc_lo
	v_lshl_add_u32 v59, 0x100000, v58, -1
	v_lshrrev_b32_e32 v60, v58, v57
	v_lshlrev_b32_e64 v62, v58, 0x80000
	v_add_nc_u32_e32 v58, v58, v112
	v_and_b32_e32 v57, v59, v57
	v_bfe_u32 v61, v60, 20, 1
	v_cmp_eq_u32_e64 s12, v57, v62
	v_add_nc_u32_e32 v59, -1, v61
	v_cndmask_b32_e64 v57, 0, v59, s12
	v_lshrrev_b32_e32 v59, 23, v60
	s_mov_b32 s12, exec_lo
	v_add_nc_u32_e32 v57, v57, v60
	v_xor_b32_e32 v59, 1, v59
	v_and_b32_e32 v112, 0xfffff, v57
	v_add_nc_u32_e32 v57, v112, v60
                                        ; implicit-def: $vgpr112
	v_cmpx_ne_u32_e64 v58, v59
	s_xor_b32 s12, exec_lo, s12
; %bb.5172:                             ;   in Loop: Header=BB4_4885 Depth=2
	v_cmp_lt_u32_e32 vcc_lo, 0xffffff, v57
	v_sub_nc_u32_e32 v112, v58, v59
	v_cndmask_b32_e64 v58, 0, 1, vcc_lo
	v_add_co_ci_u32_e64 v112, null, 0, v112, vcc_lo
	v_lshrrev_b32_e32 v57, v58, v57
; %bb.5173:                             ;   in Loop: Header=BB4_4885 Depth=2
	s_andn2_saveexec_b32 s12, s12
; %bb.5174:                             ;   in Loop: Header=BB4_4885 Depth=2
	v_bfe_u32 v112, v57, 23, 1
; %bb.5175:                             ;   in Loop: Header=BB4_4885 Depth=2
	s_or_b32 exec_lo, exec_lo, s12
	v_lshrrev_b32_e32 v57, 20, v57
	v_cmp_gt_i32_e32 vcc_lo, 16, v112
	v_min_i32_e32 v58, 15, v112
	v_and_b32_sdwa v56, v56, v85 dst_sel:DWORD dst_unused:UNUSED_PAD src0_sel:BYTE_3 src1_sel:DWORD
	v_cndmask_b32_e32 v57, 7, v57, vcc_lo
	v_lshlrev_b32_e32 v58, 3, v58
	v_and_b32_e32 v59, 7, v57
	v_or_b32_e32 v112, v112, v57
	v_or3_b32 v56, v58, v56, v59
	v_cmp_ne_u32_e32 vcc_lo, 0, v112
	v_cndmask_b32_e32 v112, 0, v56, vcc_lo
.LBB4_5176:                             ;   in Loop: Header=BB4_4885 Depth=2
	s_or_b32 exec_lo, exec_lo, s28
.LBB4_5177:                             ;   in Loop: Header=BB4_4885 Depth=2
	s_or_b32 exec_lo, exec_lo, s27
	v_cmp_gt_i16_sdwa s27, v117, v84 src0_sel:BYTE_0 src1_sel:DWORD
	s_mov_b32 s12, 0
	s_and_saveexec_b32 s28, s27
	s_xor_b32 s27, exec_lo, s28
	s_cbranch_execz .LBB4_5479
; %bb.5178:                             ;   in Loop: Header=BB4_4885 Depth=2
	v_cmp_eq_u16_sdwa s29, v117, v85 src0_sel:BYTE_0 src1_sel:DWORD
	s_mov_b32 s12, -1
	s_and_saveexec_b32 s28, s29
; %bb.5179:                             ;   in Loop: Header=BB4_4885 Depth=2
	s_xor_b32 s12, exec_lo, -1
; %bb.5180:                             ;   in Loop: Header=BB4_4885 Depth=2
	s_or_b32 exec_lo, exec_lo, s28
	s_and_b32 s12, s12, exec_lo
	s_or_saveexec_b32 s27, s27
	v_mov_b32_e32 v56, 0x7f800001
	s_xor_b32 exec_lo, exec_lo, s27
	s_cbranch_execnz .LBB4_5480
.LBB4_5181:                             ;   in Loop: Header=BB4_4885 Depth=2
	s_or_b32 exec_lo, exec_lo, s27
	s_and_saveexec_b32 s27, s12
	s_cbranch_execz .LBB4_5183
.LBB4_5182:                             ;   in Loop: Header=BB4_4885 Depth=2
	v_and_b32_e32 v56, 7, v117
	v_lshrrev_b16 v58, 3, v117
	v_ffbh_u32_e32 v57, v56
	v_and_b32_e32 v58, 15, v58
	v_min_u32_e32 v57, 32, v57
	v_cmp_eq_u32_e32 vcc_lo, 0, v58
	v_subrev_nc_u32_e32 v59, 28, v57
	v_sub_nc_u32_e32 v57, 29, v57
	v_lshlrev_b32_e32 v59, v59, v117
	v_lshlrev_b32_e32 v117, 24, v117
	v_cndmask_b32_e32 v57, v58, v57, vcc_lo
	v_and_b32_e32 v59, 7, v59
	v_and_b32_e32 v117, 0x80000000, v117
	v_lshl_add_u32 v57, v57, 23, 0x3b800000
	v_cndmask_b32_e32 v56, v56, v59, vcc_lo
	v_lshlrev_b32_e32 v56, 20, v56
	v_or3_b32 v56, v117, v57, v56
.LBB4_5183:                             ;   in Loop: Header=BB4_4885 Depth=2
	s_or_b32 exec_lo, exec_lo, s27
	s_waitcnt vmcnt(12) lgkmcnt(12)
	v_cmp_gt_i16_sdwa s27, v47, v84 src0_sel:BYTE_0 src1_sel:DWORD
	s_mov_b32 s12, 0
	s_and_saveexec_b32 s28, s27
	s_xor_b32 s27, exec_lo, s28
	s_cbranch_execz .LBB4_5481
; %bb.5184:                             ;   in Loop: Header=BB4_4885 Depth=2
	v_cmp_eq_u16_sdwa s29, v47, v85 src0_sel:BYTE_0 src1_sel:DWORD
	s_mov_b32 s12, -1
	s_and_saveexec_b32 s28, s29
; %bb.5185:                             ;   in Loop: Header=BB4_4885 Depth=2
	s_xor_b32 s12, exec_lo, -1
; %bb.5186:                             ;   in Loop: Header=BB4_4885 Depth=2
	s_or_b32 exec_lo, exec_lo, s28
	s_and_b32 s12, s12, exec_lo
	s_or_saveexec_b32 s27, s27
	v_mov_b32_e32 v117, 0x7f800001
	s_xor_b32 exec_lo, exec_lo, s27
	s_cbranch_execnz .LBB4_5482
.LBB4_5187:                             ;   in Loop: Header=BB4_4885 Depth=2
	s_or_b32 exec_lo, exec_lo, s27
	s_and_saveexec_b32 s27, s12
	s_cbranch_execz .LBB4_5189
.LBB4_5188:                             ;   in Loop: Header=BB4_4885 Depth=2
	v_and_b32_e32 v117, 7, v47
	v_lshrrev_b16 v58, 3, v47
	v_ffbh_u32_e32 v57, v117
	v_and_b32_e32 v58, 15, v58
	v_min_u32_e32 v57, 32, v57
	v_cmp_eq_u32_e32 vcc_lo, 0, v58
	v_subrev_nc_u32_e32 v59, 28, v57
	v_sub_nc_u32_e32 v57, 29, v57
	v_lshlrev_b32_e32 v59, v59, v47
	v_lshlrev_b32_e32 v47, 24, v47
	v_cndmask_b32_e32 v57, v58, v57, vcc_lo
	v_and_b32_e32 v59, 7, v59
	v_and_b32_e32 v47, 0x80000000, v47
	v_lshl_add_u32 v57, v57, 23, 0x3b800000
	v_cndmask_b32_e32 v117, v117, v59, vcc_lo
	v_lshlrev_b32_e32 v117, 20, v117
	v_or3_b32 v117, v47, v57, v117
.LBB4_5189:                             ;   in Loop: Header=BB4_4885 Depth=2
	s_or_b32 exec_lo, exec_lo, s27
	v_add_f32_e32 v47, v56, v117
	v_and_b32_e32 v117, 0x7f800000, v47
	v_cmp_ne_u32_e32 vcc_lo, 0x7f800000, v117
	v_mov_b32_e32 v117, 0x80
	s_and_saveexec_b32 s27, vcc_lo
	s_cbranch_execz .LBB4_5197
; %bb.5190:                             ;   in Loop: Header=BB4_4885 Depth=2
	v_mov_b32_e32 v117, 0
	s_mov_b32 s28, exec_lo
	v_cmpx_ne_u32_e32 0, v47
	s_cbranch_execz .LBB4_5196
; %bb.5191:                             ;   in Loop: Header=BB4_4885 Depth=2
	v_bfe_u32 v117, v47, 23, 8
	v_and_b32_e32 v56, 0x7fffff, v47
	v_sub_nc_u32_e32 v57, 0x78, v117
	v_cmp_gt_u32_e32 vcc_lo, 0x79, v117
	v_or_b32_e32 v58, 0x800000, v56
	v_cndmask_b32_e32 v57, 0, v57, vcc_lo
	v_cmp_eq_u32_e32 vcc_lo, 0, v117
	v_add_nc_u32_e32 v117, 0xffffff89, v117
	v_cndmask_b32_e64 v57, v57, 0x77, vcc_lo
	v_cndmask_b32_e32 v56, v58, v56, vcc_lo
	v_cndmask_b32_e64 v117, v117, 0xffffff8a, vcc_lo
	v_lshl_add_u32 v58, 0x100000, v57, -1
	v_lshrrev_b32_e32 v59, v57, v56
	v_lshlrev_b32_e64 v61, v57, 0x80000
	v_add_nc_u32_e32 v57, v57, v117
	v_and_b32_e32 v56, v58, v56
	v_bfe_u32 v60, v59, 20, 1
	v_cmp_eq_u32_e64 s12, v56, v61
	v_add_nc_u32_e32 v58, -1, v60
	v_cndmask_b32_e64 v56, 0, v58, s12
	v_lshrrev_b32_e32 v58, 23, v59
	s_mov_b32 s12, exec_lo
	v_add_nc_u32_e32 v56, v56, v59
	v_xor_b32_e32 v58, 1, v58
	v_and_b32_e32 v117, 0xfffff, v56
	v_add_nc_u32_e32 v56, v117, v59
                                        ; implicit-def: $vgpr117
	v_cmpx_ne_u32_e64 v57, v58
	s_xor_b32 s12, exec_lo, s12
; %bb.5192:                             ;   in Loop: Header=BB4_4885 Depth=2
	v_cmp_lt_u32_e32 vcc_lo, 0xffffff, v56
	v_sub_nc_u32_e32 v117, v57, v58
	v_cndmask_b32_e64 v57, 0, 1, vcc_lo
	v_add_co_ci_u32_e64 v117, null, 0, v117, vcc_lo
	v_lshrrev_b32_e32 v56, v57, v56
; %bb.5193:                             ;   in Loop: Header=BB4_4885 Depth=2
	s_andn2_saveexec_b32 s12, s12
; %bb.5194:                             ;   in Loop: Header=BB4_4885 Depth=2
	v_bfe_u32 v117, v56, 23, 1
; %bb.5195:                             ;   in Loop: Header=BB4_4885 Depth=2
	s_or_b32 exec_lo, exec_lo, s12
	v_lshrrev_b32_e32 v56, 20, v56
	v_cmp_gt_i32_e32 vcc_lo, 16, v117
	v_min_i32_e32 v57, 15, v117
	v_and_b32_sdwa v47, v47, v85 dst_sel:DWORD dst_unused:UNUSED_PAD src0_sel:BYTE_3 src1_sel:DWORD
	v_cndmask_b32_e32 v56, 7, v56, vcc_lo
	v_lshlrev_b32_e32 v57, 3, v57
	v_and_b32_e32 v58, 7, v56
	v_or_b32_e32 v117, v117, v56
	v_or3_b32 v47, v57, v47, v58
	v_cmp_ne_u32_e32 vcc_lo, 0, v117
	v_cndmask_b32_e32 v117, 0, v47, vcc_lo
.LBB4_5196:                             ;   in Loop: Header=BB4_4885 Depth=2
	s_or_b32 exec_lo, exec_lo, s28
.LBB4_5197:                             ;   in Loop: Header=BB4_4885 Depth=2
	s_or_b32 exec_lo, exec_lo, s27
	v_cmp_gt_i16_sdwa s27, v118, v84 src0_sel:BYTE_0 src1_sel:DWORD
	s_mov_b32 s12, 0
	s_and_saveexec_b32 s28, s27
	s_xor_b32 s27, exec_lo, s28
	s_cbranch_execz .LBB4_5483
; %bb.5198:                             ;   in Loop: Header=BB4_4885 Depth=2
	v_cmp_eq_u16_sdwa s29, v118, v85 src0_sel:BYTE_0 src1_sel:DWORD
	s_mov_b32 s12, -1
	s_and_saveexec_b32 s28, s29
; %bb.5199:                             ;   in Loop: Header=BB4_4885 Depth=2
	s_xor_b32 s12, exec_lo, -1
; %bb.5200:                             ;   in Loop: Header=BB4_4885 Depth=2
	s_or_b32 exec_lo, exec_lo, s28
	s_and_b32 s12, s12, exec_lo
	s_or_saveexec_b32 s27, s27
	v_mov_b32_e32 v47, 0x7f800001
	s_xor_b32 exec_lo, exec_lo, s27
	s_cbranch_execnz .LBB4_5484
.LBB4_5201:                             ;   in Loop: Header=BB4_4885 Depth=2
	s_or_b32 exec_lo, exec_lo, s27
	s_and_saveexec_b32 s27, s12
	s_cbranch_execz .LBB4_5203
.LBB4_5202:                             ;   in Loop: Header=BB4_4885 Depth=2
	v_and_b32_e32 v47, 7, v118
	v_lshrrev_b16 v57, 3, v118
	v_ffbh_u32_e32 v56, v47
	v_and_b32_e32 v57, 15, v57
	v_min_u32_e32 v56, 32, v56
	v_cmp_eq_u32_e32 vcc_lo, 0, v57
	v_subrev_nc_u32_e32 v58, 28, v56
	v_sub_nc_u32_e32 v56, 29, v56
	v_lshlrev_b32_e32 v58, v58, v118
	v_lshlrev_b32_e32 v118, 24, v118
	v_cndmask_b32_e32 v56, v57, v56, vcc_lo
	v_and_b32_e32 v58, 7, v58
	v_and_b32_e32 v118, 0x80000000, v118
	v_lshl_add_u32 v56, v56, 23, 0x3b800000
	v_cndmask_b32_e32 v47, v47, v58, vcc_lo
	v_lshlrev_b32_e32 v47, 20, v47
	v_or3_b32 v47, v118, v56, v47
.LBB4_5203:                             ;   in Loop: Header=BB4_4885 Depth=2
	s_or_b32 exec_lo, exec_lo, s27
	s_waitcnt vmcnt(11) lgkmcnt(11)
	v_cmp_gt_i16_sdwa s27, v46, v84 src0_sel:BYTE_0 src1_sel:DWORD
	s_mov_b32 s12, 0
	s_and_saveexec_b32 s28, s27
	s_xor_b32 s27, exec_lo, s28
	s_cbranch_execz .LBB4_5485
; %bb.5204:                             ;   in Loop: Header=BB4_4885 Depth=2
	v_cmp_eq_u16_sdwa s29, v46, v85 src0_sel:BYTE_0 src1_sel:DWORD
	s_mov_b32 s12, -1
	s_and_saveexec_b32 s28, s29
; %bb.5205:                             ;   in Loop: Header=BB4_4885 Depth=2
	s_xor_b32 s12, exec_lo, -1
; %bb.5206:                             ;   in Loop: Header=BB4_4885 Depth=2
	s_or_b32 exec_lo, exec_lo, s28
	s_and_b32 s12, s12, exec_lo
	s_or_saveexec_b32 s27, s27
	v_mov_b32_e32 v118, 0x7f800001
	s_xor_b32 exec_lo, exec_lo, s27
	s_cbranch_execnz .LBB4_5486
.LBB4_5207:                             ;   in Loop: Header=BB4_4885 Depth=2
	s_or_b32 exec_lo, exec_lo, s27
	s_and_saveexec_b32 s27, s12
	s_cbranch_execz .LBB4_5209
.LBB4_5208:                             ;   in Loop: Header=BB4_4885 Depth=2
	v_and_b32_e32 v118, 7, v46
	v_lshrrev_b16 v57, 3, v46
	v_ffbh_u32_e32 v56, v118
	v_and_b32_e32 v57, 15, v57
	v_min_u32_e32 v56, 32, v56
	v_cmp_eq_u32_e32 vcc_lo, 0, v57
	v_subrev_nc_u32_e32 v58, 28, v56
	v_sub_nc_u32_e32 v56, 29, v56
	v_lshlrev_b32_e32 v58, v58, v46
	v_lshlrev_b32_e32 v46, 24, v46
	v_cndmask_b32_e32 v56, v57, v56, vcc_lo
	v_and_b32_e32 v58, 7, v58
	v_and_b32_e32 v46, 0x80000000, v46
	v_lshl_add_u32 v56, v56, 23, 0x3b800000
	v_cndmask_b32_e32 v118, v118, v58, vcc_lo
	v_lshlrev_b32_e32 v118, 20, v118
	v_or3_b32 v118, v46, v56, v118
.LBB4_5209:                             ;   in Loop: Header=BB4_4885 Depth=2
	s_or_b32 exec_lo, exec_lo, s27
	v_add_f32_e32 v46, v47, v118
	v_and_b32_e32 v118, 0x7f800000, v46
	v_cmp_ne_u32_e32 vcc_lo, 0x7f800000, v118
	v_mov_b32_e32 v118, 0x80
	s_and_saveexec_b32 s27, vcc_lo
	s_cbranch_execz .LBB4_5217
; %bb.5210:                             ;   in Loop: Header=BB4_4885 Depth=2
	v_mov_b32_e32 v118, 0
	s_mov_b32 s28, exec_lo
	v_cmpx_ne_u32_e32 0, v46
	s_cbranch_execz .LBB4_5216
; %bb.5211:                             ;   in Loop: Header=BB4_4885 Depth=2
	v_bfe_u32 v118, v46, 23, 8
	v_and_b32_e32 v47, 0x7fffff, v46
	v_sub_nc_u32_e32 v56, 0x78, v118
	v_cmp_gt_u32_e32 vcc_lo, 0x79, v118
	v_or_b32_e32 v57, 0x800000, v47
	v_cndmask_b32_e32 v56, 0, v56, vcc_lo
	v_cmp_eq_u32_e32 vcc_lo, 0, v118
	v_add_nc_u32_e32 v118, 0xffffff89, v118
	v_cndmask_b32_e64 v56, v56, 0x77, vcc_lo
	v_cndmask_b32_e32 v47, v57, v47, vcc_lo
	v_cndmask_b32_e64 v118, v118, 0xffffff8a, vcc_lo
	v_lshl_add_u32 v57, 0x100000, v56, -1
	v_lshrrev_b32_e32 v58, v56, v47
	v_lshlrev_b32_e64 v60, v56, 0x80000
	v_add_nc_u32_e32 v56, v56, v118
	v_and_b32_e32 v47, v57, v47
	v_bfe_u32 v59, v58, 20, 1
	v_cmp_eq_u32_e64 s12, v47, v60
	v_add_nc_u32_e32 v57, -1, v59
	v_cndmask_b32_e64 v47, 0, v57, s12
	v_lshrrev_b32_e32 v57, 23, v58
	s_mov_b32 s12, exec_lo
	v_add_nc_u32_e32 v47, v47, v58
	v_xor_b32_e32 v57, 1, v57
	v_and_b32_e32 v118, 0xfffff, v47
	v_add_nc_u32_e32 v47, v118, v58
                                        ; implicit-def: $vgpr118
	v_cmpx_ne_u32_e64 v56, v57
	s_xor_b32 s12, exec_lo, s12
; %bb.5212:                             ;   in Loop: Header=BB4_4885 Depth=2
	v_cmp_lt_u32_e32 vcc_lo, 0xffffff, v47
	v_sub_nc_u32_e32 v118, v56, v57
	v_cndmask_b32_e64 v56, 0, 1, vcc_lo
	v_add_co_ci_u32_e64 v118, null, 0, v118, vcc_lo
	v_lshrrev_b32_e32 v47, v56, v47
; %bb.5213:                             ;   in Loop: Header=BB4_4885 Depth=2
	s_andn2_saveexec_b32 s12, s12
; %bb.5214:                             ;   in Loop: Header=BB4_4885 Depth=2
	v_bfe_u32 v118, v47, 23, 1
; %bb.5215:                             ;   in Loop: Header=BB4_4885 Depth=2
	s_or_b32 exec_lo, exec_lo, s12
	v_lshrrev_b32_e32 v47, 20, v47
	v_cmp_gt_i32_e32 vcc_lo, 16, v118
	v_min_i32_e32 v56, 15, v118
	v_and_b32_sdwa v46, v46, v85 dst_sel:DWORD dst_unused:UNUSED_PAD src0_sel:BYTE_3 src1_sel:DWORD
	v_cndmask_b32_e32 v47, 7, v47, vcc_lo
	v_lshlrev_b32_e32 v56, 3, v56
	v_and_b32_e32 v57, 7, v47
	v_or_b32_e32 v118, v118, v47
	v_or3_b32 v46, v56, v46, v57
	v_cmp_ne_u32_e32 vcc_lo, 0, v118
	v_cndmask_b32_e32 v118, 0, v46, vcc_lo
.LBB4_5216:                             ;   in Loop: Header=BB4_4885 Depth=2
	s_or_b32 exec_lo, exec_lo, s28
.LBB4_5217:                             ;   in Loop: Header=BB4_4885 Depth=2
	s_or_b32 exec_lo, exec_lo, s27
	v_cmp_gt_i16_sdwa s27, v116, v84 src0_sel:BYTE_0 src1_sel:DWORD
	s_mov_b32 s12, 0
	s_and_saveexec_b32 s28, s27
	s_xor_b32 s27, exec_lo, s28
	s_cbranch_execz .LBB4_5487
; %bb.5218:                             ;   in Loop: Header=BB4_4885 Depth=2
	v_cmp_eq_u16_sdwa s29, v116, v85 src0_sel:BYTE_0 src1_sel:DWORD
	s_mov_b32 s12, -1
	s_and_saveexec_b32 s28, s29
; %bb.5219:                             ;   in Loop: Header=BB4_4885 Depth=2
	s_xor_b32 s12, exec_lo, -1
; %bb.5220:                             ;   in Loop: Header=BB4_4885 Depth=2
	s_or_b32 exec_lo, exec_lo, s28
	s_and_b32 s12, s12, exec_lo
	s_or_saveexec_b32 s27, s27
	v_mov_b32_e32 v46, 0x7f800001
	s_xor_b32 exec_lo, exec_lo, s27
	s_cbranch_execnz .LBB4_5488
.LBB4_5221:                             ;   in Loop: Header=BB4_4885 Depth=2
	s_or_b32 exec_lo, exec_lo, s27
	s_and_saveexec_b32 s27, s12
	s_cbranch_execz .LBB4_5223
.LBB4_5222:                             ;   in Loop: Header=BB4_4885 Depth=2
	v_and_b32_e32 v46, 7, v116
	v_lshrrev_b16 v56, 3, v116
	v_ffbh_u32_e32 v47, v46
	v_and_b32_e32 v56, 15, v56
	v_min_u32_e32 v47, 32, v47
	v_cmp_eq_u32_e32 vcc_lo, 0, v56
	v_subrev_nc_u32_e32 v57, 28, v47
	v_sub_nc_u32_e32 v47, 29, v47
	v_lshlrev_b32_e32 v57, v57, v116
	v_lshlrev_b32_e32 v116, 24, v116
	v_cndmask_b32_e32 v47, v56, v47, vcc_lo
	v_and_b32_e32 v57, 7, v57
	v_and_b32_e32 v116, 0x80000000, v116
	v_lshl_add_u32 v47, v47, 23, 0x3b800000
	v_cndmask_b32_e32 v46, v46, v57, vcc_lo
	v_lshlrev_b32_e32 v46, 20, v46
	v_or3_b32 v46, v116, v47, v46
.LBB4_5223:                             ;   in Loop: Header=BB4_4885 Depth=2
	s_or_b32 exec_lo, exec_lo, s27
	s_waitcnt vmcnt(10) lgkmcnt(10)
	v_cmp_gt_i16_sdwa s27, v45, v84 src0_sel:BYTE_0 src1_sel:DWORD
	s_mov_b32 s12, 0
	s_and_saveexec_b32 s28, s27
	s_xor_b32 s27, exec_lo, s28
	s_cbranch_execz .LBB4_5489
; %bb.5224:                             ;   in Loop: Header=BB4_4885 Depth=2
	v_cmp_eq_u16_sdwa s29, v45, v85 src0_sel:BYTE_0 src1_sel:DWORD
	s_mov_b32 s12, -1
	s_and_saveexec_b32 s28, s29
; %bb.5225:                             ;   in Loop: Header=BB4_4885 Depth=2
	s_xor_b32 s12, exec_lo, -1
; %bb.5226:                             ;   in Loop: Header=BB4_4885 Depth=2
	s_or_b32 exec_lo, exec_lo, s28
	s_and_b32 s12, s12, exec_lo
	s_or_saveexec_b32 s27, s27
	v_mov_b32_e32 v116, 0x7f800001
	s_xor_b32 exec_lo, exec_lo, s27
	s_cbranch_execnz .LBB4_5490
.LBB4_5227:                             ;   in Loop: Header=BB4_4885 Depth=2
	s_or_b32 exec_lo, exec_lo, s27
	s_and_saveexec_b32 s27, s12
	s_cbranch_execz .LBB4_5229
.LBB4_5228:                             ;   in Loop: Header=BB4_4885 Depth=2
	v_and_b32_e32 v116, 7, v45
	v_lshrrev_b16 v56, 3, v45
	v_ffbh_u32_e32 v47, v116
	v_and_b32_e32 v56, 15, v56
	v_min_u32_e32 v47, 32, v47
	v_cmp_eq_u32_e32 vcc_lo, 0, v56
	v_subrev_nc_u32_e32 v57, 28, v47
	v_sub_nc_u32_e32 v47, 29, v47
	v_lshlrev_b32_e32 v57, v57, v45
	v_lshlrev_b32_e32 v45, 24, v45
	v_cndmask_b32_e32 v47, v56, v47, vcc_lo
	v_and_b32_e32 v57, 7, v57
	v_and_b32_e32 v45, 0x80000000, v45
	v_lshl_add_u32 v47, v47, 23, 0x3b800000
	v_cndmask_b32_e32 v116, v116, v57, vcc_lo
	v_lshlrev_b32_e32 v116, 20, v116
	v_or3_b32 v116, v45, v47, v116
.LBB4_5229:                             ;   in Loop: Header=BB4_4885 Depth=2
	s_or_b32 exec_lo, exec_lo, s27
	v_add_f32_e32 v45, v46, v116
	v_and_b32_e32 v116, 0x7f800000, v45
	v_cmp_ne_u32_e32 vcc_lo, 0x7f800000, v116
	v_mov_b32_e32 v116, 0x80
	s_and_saveexec_b32 s27, vcc_lo
	s_cbranch_execz .LBB4_5237
; %bb.5230:                             ;   in Loop: Header=BB4_4885 Depth=2
	v_mov_b32_e32 v116, 0
	s_mov_b32 s28, exec_lo
	v_cmpx_ne_u32_e32 0, v45
	s_cbranch_execz .LBB4_5236
; %bb.5231:                             ;   in Loop: Header=BB4_4885 Depth=2
	v_bfe_u32 v116, v45, 23, 8
	v_and_b32_e32 v46, 0x7fffff, v45
	v_sub_nc_u32_e32 v47, 0x78, v116
	v_cmp_gt_u32_e32 vcc_lo, 0x79, v116
	v_or_b32_e32 v56, 0x800000, v46
	v_cndmask_b32_e32 v47, 0, v47, vcc_lo
	v_cmp_eq_u32_e32 vcc_lo, 0, v116
	v_add_nc_u32_e32 v116, 0xffffff89, v116
	v_cndmask_b32_e64 v47, v47, 0x77, vcc_lo
	v_cndmask_b32_e32 v46, v56, v46, vcc_lo
	v_cndmask_b32_e64 v116, v116, 0xffffff8a, vcc_lo
	v_lshl_add_u32 v56, 0x100000, v47, -1
	v_lshrrev_b32_e32 v57, v47, v46
	v_lshlrev_b32_e64 v59, v47, 0x80000
	v_add_nc_u32_e32 v47, v47, v116
	v_and_b32_e32 v46, v56, v46
	v_bfe_u32 v58, v57, 20, 1
	v_cmp_eq_u32_e64 s12, v46, v59
	v_add_nc_u32_e32 v56, -1, v58
	v_cndmask_b32_e64 v46, 0, v56, s12
	v_lshrrev_b32_e32 v56, 23, v57
	s_mov_b32 s12, exec_lo
	v_add_nc_u32_e32 v46, v46, v57
	v_xor_b32_e32 v56, 1, v56
	v_and_b32_e32 v116, 0xfffff, v46
	v_add_nc_u32_e32 v46, v116, v57
                                        ; implicit-def: $vgpr116
	v_cmpx_ne_u32_e64 v47, v56
	s_xor_b32 s12, exec_lo, s12
; %bb.5232:                             ;   in Loop: Header=BB4_4885 Depth=2
	v_cmp_lt_u32_e32 vcc_lo, 0xffffff, v46
	v_sub_nc_u32_e32 v116, v47, v56
	v_cndmask_b32_e64 v47, 0, 1, vcc_lo
	v_add_co_ci_u32_e64 v116, null, 0, v116, vcc_lo
	v_lshrrev_b32_e32 v46, v47, v46
; %bb.5233:                             ;   in Loop: Header=BB4_4885 Depth=2
	s_andn2_saveexec_b32 s12, s12
; %bb.5234:                             ;   in Loop: Header=BB4_4885 Depth=2
	v_bfe_u32 v116, v46, 23, 1
; %bb.5235:                             ;   in Loop: Header=BB4_4885 Depth=2
	s_or_b32 exec_lo, exec_lo, s12
	v_lshrrev_b32_e32 v46, 20, v46
	v_cmp_gt_i32_e32 vcc_lo, 16, v116
	v_min_i32_e32 v47, 15, v116
	v_and_b32_sdwa v45, v45, v85 dst_sel:DWORD dst_unused:UNUSED_PAD src0_sel:BYTE_3 src1_sel:DWORD
	v_cndmask_b32_e32 v46, 7, v46, vcc_lo
	v_lshlrev_b32_e32 v47, 3, v47
	v_and_b32_e32 v56, 7, v46
	v_or_b32_e32 v116, v116, v46
	v_or3_b32 v45, v47, v45, v56
	v_cmp_ne_u32_e32 vcc_lo, 0, v116
	v_cndmask_b32_e32 v116, 0, v45, vcc_lo
.LBB4_5236:                             ;   in Loop: Header=BB4_4885 Depth=2
	s_or_b32 exec_lo, exec_lo, s28
.LBB4_5237:                             ;   in Loop: Header=BB4_4885 Depth=2
	s_or_b32 exec_lo, exec_lo, s27
	v_cmp_gt_i16_sdwa s27, v114, v84 src0_sel:BYTE_0 src1_sel:DWORD
	s_mov_b32 s12, 0
	s_and_saveexec_b32 s28, s27
	s_xor_b32 s27, exec_lo, s28
	s_cbranch_execz .LBB4_5491
; %bb.5238:                             ;   in Loop: Header=BB4_4885 Depth=2
	v_cmp_eq_u16_sdwa s29, v114, v85 src0_sel:BYTE_0 src1_sel:DWORD
	s_mov_b32 s12, -1
	s_and_saveexec_b32 s28, s29
; %bb.5239:                             ;   in Loop: Header=BB4_4885 Depth=2
	s_xor_b32 s12, exec_lo, -1
; %bb.5240:                             ;   in Loop: Header=BB4_4885 Depth=2
	s_or_b32 exec_lo, exec_lo, s28
	s_and_b32 s12, s12, exec_lo
	s_or_saveexec_b32 s27, s27
	v_mov_b32_e32 v45, 0x7f800001
	s_xor_b32 exec_lo, exec_lo, s27
	s_cbranch_execnz .LBB4_5492
.LBB4_5241:                             ;   in Loop: Header=BB4_4885 Depth=2
	s_or_b32 exec_lo, exec_lo, s27
	s_and_saveexec_b32 s27, s12
	s_cbranch_execz .LBB4_5243
.LBB4_5242:                             ;   in Loop: Header=BB4_4885 Depth=2
	v_and_b32_e32 v45, 7, v114
	v_lshrrev_b16 v47, 3, v114
	v_ffbh_u32_e32 v46, v45
	v_and_b32_e32 v47, 15, v47
	v_min_u32_e32 v46, 32, v46
	v_cmp_eq_u32_e32 vcc_lo, 0, v47
	v_subrev_nc_u32_e32 v56, 28, v46
	v_sub_nc_u32_e32 v46, 29, v46
	v_lshlrev_b32_e32 v56, v56, v114
	v_lshlrev_b32_e32 v114, 24, v114
	v_cndmask_b32_e32 v46, v47, v46, vcc_lo
	v_and_b32_e32 v56, 7, v56
	v_and_b32_e32 v114, 0x80000000, v114
	v_lshl_add_u32 v46, v46, 23, 0x3b800000
	v_cndmask_b32_e32 v45, v45, v56, vcc_lo
	v_lshlrev_b32_e32 v45, 20, v45
	v_or3_b32 v45, v114, v46, v45
.LBB4_5243:                             ;   in Loop: Header=BB4_4885 Depth=2
	s_or_b32 exec_lo, exec_lo, s27
	s_waitcnt vmcnt(9) lgkmcnt(9)
	v_cmp_gt_i16_sdwa s27, v44, v84 src0_sel:BYTE_0 src1_sel:DWORD
	s_mov_b32 s12, 0
	s_and_saveexec_b32 s28, s27
	s_xor_b32 s27, exec_lo, s28
	s_cbranch_execz .LBB4_5493
; %bb.5244:                             ;   in Loop: Header=BB4_4885 Depth=2
	v_cmp_eq_u16_sdwa s29, v44, v85 src0_sel:BYTE_0 src1_sel:DWORD
	s_mov_b32 s12, -1
	s_and_saveexec_b32 s28, s29
; %bb.5245:                             ;   in Loop: Header=BB4_4885 Depth=2
	s_xor_b32 s12, exec_lo, -1
; %bb.5246:                             ;   in Loop: Header=BB4_4885 Depth=2
	s_or_b32 exec_lo, exec_lo, s28
	s_and_b32 s12, s12, exec_lo
	s_or_saveexec_b32 s27, s27
	v_mov_b32_e32 v114, 0x7f800001
	s_xor_b32 exec_lo, exec_lo, s27
	s_cbranch_execnz .LBB4_5494
.LBB4_5247:                             ;   in Loop: Header=BB4_4885 Depth=2
	s_or_b32 exec_lo, exec_lo, s27
	s_and_saveexec_b32 s27, s12
	s_cbranch_execz .LBB4_5249
.LBB4_5248:                             ;   in Loop: Header=BB4_4885 Depth=2
	v_and_b32_e32 v114, 7, v44
	v_lshrrev_b16 v47, 3, v44
	v_ffbh_u32_e32 v46, v114
	v_and_b32_e32 v47, 15, v47
	v_min_u32_e32 v46, 32, v46
	v_cmp_eq_u32_e32 vcc_lo, 0, v47
	v_subrev_nc_u32_e32 v56, 28, v46
	v_sub_nc_u32_e32 v46, 29, v46
	v_lshlrev_b32_e32 v56, v56, v44
	v_lshlrev_b32_e32 v44, 24, v44
	v_cndmask_b32_e32 v46, v47, v46, vcc_lo
	v_and_b32_e32 v56, 7, v56
	v_and_b32_e32 v44, 0x80000000, v44
	v_lshl_add_u32 v46, v46, 23, 0x3b800000
	v_cndmask_b32_e32 v114, v114, v56, vcc_lo
	v_lshlrev_b32_e32 v114, 20, v114
	v_or3_b32 v114, v44, v46, v114
.LBB4_5249:                             ;   in Loop: Header=BB4_4885 Depth=2
	s_or_b32 exec_lo, exec_lo, s27
	v_add_f32_e32 v44, v45, v114
	v_and_b32_e32 v114, 0x7f800000, v44
	v_cmp_ne_u32_e32 vcc_lo, 0x7f800000, v114
	v_mov_b32_e32 v114, 0x80
	s_and_saveexec_b32 s27, vcc_lo
	s_cbranch_execz .LBB4_5257
; %bb.5250:                             ;   in Loop: Header=BB4_4885 Depth=2
	v_mov_b32_e32 v114, 0
	s_mov_b32 s28, exec_lo
	v_cmpx_ne_u32_e32 0, v44
	s_cbranch_execz .LBB4_5256
; %bb.5251:                             ;   in Loop: Header=BB4_4885 Depth=2
	v_bfe_u32 v114, v44, 23, 8
	v_and_b32_e32 v45, 0x7fffff, v44
	v_sub_nc_u32_e32 v46, 0x78, v114
	v_cmp_gt_u32_e32 vcc_lo, 0x79, v114
	v_or_b32_e32 v47, 0x800000, v45
	v_cndmask_b32_e32 v46, 0, v46, vcc_lo
	v_cmp_eq_u32_e32 vcc_lo, 0, v114
	v_add_nc_u32_e32 v114, 0xffffff89, v114
	v_cndmask_b32_e64 v46, v46, 0x77, vcc_lo
	v_cndmask_b32_e32 v45, v47, v45, vcc_lo
	v_cndmask_b32_e64 v114, v114, 0xffffff8a, vcc_lo
	v_lshl_add_u32 v47, 0x100000, v46, -1
	v_lshrrev_b32_e32 v56, v46, v45
	v_lshlrev_b32_e64 v58, v46, 0x80000
	v_add_nc_u32_e32 v46, v46, v114
	v_and_b32_e32 v45, v47, v45
	v_bfe_u32 v57, v56, 20, 1
	v_cmp_eq_u32_e64 s12, v45, v58
	v_add_nc_u32_e32 v47, -1, v57
	v_cndmask_b32_e64 v45, 0, v47, s12
	v_lshrrev_b32_e32 v47, 23, v56
	s_mov_b32 s12, exec_lo
	v_add_nc_u32_e32 v45, v45, v56
	v_xor_b32_e32 v47, 1, v47
	v_and_b32_e32 v114, 0xfffff, v45
	v_add_nc_u32_e32 v45, v114, v56
                                        ; implicit-def: $vgpr114
	v_cmpx_ne_u32_e64 v46, v47
	s_xor_b32 s12, exec_lo, s12
; %bb.5252:                             ;   in Loop: Header=BB4_4885 Depth=2
	v_cmp_lt_u32_e32 vcc_lo, 0xffffff, v45
	v_sub_nc_u32_e32 v114, v46, v47
	v_cndmask_b32_e64 v46, 0, 1, vcc_lo
	v_add_co_ci_u32_e64 v114, null, 0, v114, vcc_lo
	v_lshrrev_b32_e32 v45, v46, v45
; %bb.5253:                             ;   in Loop: Header=BB4_4885 Depth=2
	s_andn2_saveexec_b32 s12, s12
; %bb.5254:                             ;   in Loop: Header=BB4_4885 Depth=2
	v_bfe_u32 v114, v45, 23, 1
; %bb.5255:                             ;   in Loop: Header=BB4_4885 Depth=2
	s_or_b32 exec_lo, exec_lo, s12
	v_lshrrev_b32_e32 v45, 20, v45
	v_cmp_gt_i32_e32 vcc_lo, 16, v114
	v_min_i32_e32 v46, 15, v114
	v_and_b32_sdwa v44, v44, v85 dst_sel:DWORD dst_unused:UNUSED_PAD src0_sel:BYTE_3 src1_sel:DWORD
	v_cndmask_b32_e32 v45, 7, v45, vcc_lo
	v_lshlrev_b32_e32 v46, 3, v46
	v_and_b32_e32 v47, 7, v45
	v_or_b32_e32 v114, v114, v45
	v_or3_b32 v44, v46, v44, v47
	v_cmp_ne_u32_e32 vcc_lo, 0, v114
	v_cndmask_b32_e32 v114, 0, v44, vcc_lo
.LBB4_5256:                             ;   in Loop: Header=BB4_4885 Depth=2
	s_or_b32 exec_lo, exec_lo, s28
.LBB4_5257:                             ;   in Loop: Header=BB4_4885 Depth=2
	s_or_b32 exec_lo, exec_lo, s27
	v_cmp_gt_i16_sdwa s27, v113, v84 src0_sel:BYTE_0 src1_sel:DWORD
	s_mov_b32 s12, 0
	s_and_saveexec_b32 s28, s27
	s_xor_b32 s27, exec_lo, s28
	s_cbranch_execz .LBB4_5495
; %bb.5258:                             ;   in Loop: Header=BB4_4885 Depth=2
	v_cmp_eq_u16_sdwa s29, v113, v85 src0_sel:BYTE_0 src1_sel:DWORD
	s_mov_b32 s12, -1
	s_and_saveexec_b32 s28, s29
; %bb.5259:                             ;   in Loop: Header=BB4_4885 Depth=2
	s_xor_b32 s12, exec_lo, -1
; %bb.5260:                             ;   in Loop: Header=BB4_4885 Depth=2
	s_or_b32 exec_lo, exec_lo, s28
	s_and_b32 s12, s12, exec_lo
	s_or_saveexec_b32 s27, s27
	v_mov_b32_e32 v44, 0x7f800001
	s_xor_b32 exec_lo, exec_lo, s27
	s_cbranch_execnz .LBB4_5496
.LBB4_5261:                             ;   in Loop: Header=BB4_4885 Depth=2
	s_or_b32 exec_lo, exec_lo, s27
	s_and_saveexec_b32 s27, s12
	s_cbranch_execz .LBB4_5263
.LBB4_5262:                             ;   in Loop: Header=BB4_4885 Depth=2
	v_and_b32_e32 v44, 7, v113
	v_lshrrev_b16 v46, 3, v113
	v_ffbh_u32_e32 v45, v44
	v_and_b32_e32 v46, 15, v46
	v_min_u32_e32 v45, 32, v45
	v_cmp_eq_u32_e32 vcc_lo, 0, v46
	v_subrev_nc_u32_e32 v47, 28, v45
	v_sub_nc_u32_e32 v45, 29, v45
	v_lshlrev_b32_e32 v47, v47, v113
	v_lshlrev_b32_e32 v113, 24, v113
	v_cndmask_b32_e32 v45, v46, v45, vcc_lo
	v_and_b32_e32 v47, 7, v47
	v_and_b32_e32 v113, 0x80000000, v113
	v_lshl_add_u32 v45, v45, 23, 0x3b800000
	v_cndmask_b32_e32 v44, v44, v47, vcc_lo
	v_lshlrev_b32_e32 v44, 20, v44
	v_or3_b32 v44, v113, v45, v44
.LBB4_5263:                             ;   in Loop: Header=BB4_4885 Depth=2
	s_or_b32 exec_lo, exec_lo, s27
	s_waitcnt vmcnt(8) lgkmcnt(8)
	v_cmp_gt_i16_sdwa s27, v43, v84 src0_sel:BYTE_0 src1_sel:DWORD
	s_mov_b32 s12, 0
	s_and_saveexec_b32 s28, s27
	s_xor_b32 s27, exec_lo, s28
	s_cbranch_execz .LBB4_5497
; %bb.5264:                             ;   in Loop: Header=BB4_4885 Depth=2
	v_cmp_eq_u16_sdwa s29, v43, v85 src0_sel:BYTE_0 src1_sel:DWORD
	s_mov_b32 s12, -1
	s_and_saveexec_b32 s28, s29
; %bb.5265:                             ;   in Loop: Header=BB4_4885 Depth=2
	s_xor_b32 s12, exec_lo, -1
; %bb.5266:                             ;   in Loop: Header=BB4_4885 Depth=2
	s_or_b32 exec_lo, exec_lo, s28
	s_and_b32 s12, s12, exec_lo
	s_or_saveexec_b32 s27, s27
	v_mov_b32_e32 v113, 0x7f800001
	s_xor_b32 exec_lo, exec_lo, s27
	s_cbranch_execnz .LBB4_5498
.LBB4_5267:                             ;   in Loop: Header=BB4_4885 Depth=2
	s_or_b32 exec_lo, exec_lo, s27
	s_and_saveexec_b32 s27, s12
	s_cbranch_execz .LBB4_5269
.LBB4_5268:                             ;   in Loop: Header=BB4_4885 Depth=2
	v_and_b32_e32 v113, 7, v43
	v_lshrrev_b16 v46, 3, v43
	v_ffbh_u32_e32 v45, v113
	v_and_b32_e32 v46, 15, v46
	v_min_u32_e32 v45, 32, v45
	v_cmp_eq_u32_e32 vcc_lo, 0, v46
	v_subrev_nc_u32_e32 v47, 28, v45
	v_sub_nc_u32_e32 v45, 29, v45
	v_lshlrev_b32_e32 v47, v47, v43
	v_lshlrev_b32_e32 v43, 24, v43
	v_cndmask_b32_e32 v45, v46, v45, vcc_lo
	v_and_b32_e32 v47, 7, v47
	v_and_b32_e32 v43, 0x80000000, v43
	v_lshl_add_u32 v45, v45, 23, 0x3b800000
	v_cndmask_b32_e32 v113, v113, v47, vcc_lo
	v_lshlrev_b32_e32 v113, 20, v113
	v_or3_b32 v113, v43, v45, v113
.LBB4_5269:                             ;   in Loop: Header=BB4_4885 Depth=2
	s_or_b32 exec_lo, exec_lo, s27
	v_add_f32_e32 v43, v44, v113
	v_and_b32_e32 v113, 0x7f800000, v43
	v_cmp_ne_u32_e32 vcc_lo, 0x7f800000, v113
	v_mov_b32_e32 v113, 0x80
	s_and_saveexec_b32 s27, vcc_lo
	s_cbranch_execz .LBB4_5277
; %bb.5270:                             ;   in Loop: Header=BB4_4885 Depth=2
	v_mov_b32_e32 v113, 0
	s_mov_b32 s28, exec_lo
	v_cmpx_ne_u32_e32 0, v43
	s_cbranch_execz .LBB4_5276
; %bb.5271:                             ;   in Loop: Header=BB4_4885 Depth=2
	v_bfe_u32 v113, v43, 23, 8
	v_and_b32_e32 v44, 0x7fffff, v43
	v_sub_nc_u32_e32 v45, 0x78, v113
	v_cmp_gt_u32_e32 vcc_lo, 0x79, v113
	v_or_b32_e32 v46, 0x800000, v44
	v_cndmask_b32_e32 v45, 0, v45, vcc_lo
	v_cmp_eq_u32_e32 vcc_lo, 0, v113
	v_add_nc_u32_e32 v113, 0xffffff89, v113
	v_cndmask_b32_e64 v45, v45, 0x77, vcc_lo
	v_cndmask_b32_e32 v44, v46, v44, vcc_lo
	v_cndmask_b32_e64 v113, v113, 0xffffff8a, vcc_lo
	v_lshl_add_u32 v46, 0x100000, v45, -1
	v_lshrrev_b32_e32 v47, v45, v44
	v_lshlrev_b32_e64 v57, v45, 0x80000
	v_add_nc_u32_e32 v45, v45, v113
	v_and_b32_e32 v44, v46, v44
	v_bfe_u32 v56, v47, 20, 1
	v_cmp_eq_u32_e64 s12, v44, v57
	v_add_nc_u32_e32 v46, -1, v56
	v_cndmask_b32_e64 v44, 0, v46, s12
	v_lshrrev_b32_e32 v46, 23, v47
	s_mov_b32 s12, exec_lo
	v_add_nc_u32_e32 v44, v44, v47
	v_xor_b32_e32 v46, 1, v46
	v_and_b32_e32 v113, 0xfffff, v44
	v_add_nc_u32_e32 v44, v113, v47
                                        ; implicit-def: $vgpr113
	v_cmpx_ne_u32_e64 v45, v46
	s_xor_b32 s12, exec_lo, s12
; %bb.5272:                             ;   in Loop: Header=BB4_4885 Depth=2
	v_cmp_lt_u32_e32 vcc_lo, 0xffffff, v44
	v_sub_nc_u32_e32 v113, v45, v46
	v_cndmask_b32_e64 v45, 0, 1, vcc_lo
	v_add_co_ci_u32_e64 v113, null, 0, v113, vcc_lo
	v_lshrrev_b32_e32 v44, v45, v44
; %bb.5273:                             ;   in Loop: Header=BB4_4885 Depth=2
	s_andn2_saveexec_b32 s12, s12
; %bb.5274:                             ;   in Loop: Header=BB4_4885 Depth=2
	v_bfe_u32 v113, v44, 23, 1
; %bb.5275:                             ;   in Loop: Header=BB4_4885 Depth=2
	s_or_b32 exec_lo, exec_lo, s12
	v_lshrrev_b32_e32 v44, 20, v44
	v_cmp_gt_i32_e32 vcc_lo, 16, v113
	v_min_i32_e32 v45, 15, v113
	v_and_b32_sdwa v43, v43, v85 dst_sel:DWORD dst_unused:UNUSED_PAD src0_sel:BYTE_3 src1_sel:DWORD
	v_cndmask_b32_e32 v44, 7, v44, vcc_lo
	v_lshlrev_b32_e32 v45, 3, v45
	v_and_b32_e32 v46, 7, v44
	v_or_b32_e32 v113, v113, v44
	v_or3_b32 v43, v45, v43, v46
	v_cmp_ne_u32_e32 vcc_lo, 0, v113
	v_cndmask_b32_e32 v113, 0, v43, vcc_lo
.LBB4_5276:                             ;   in Loop: Header=BB4_4885 Depth=2
	s_or_b32 exec_lo, exec_lo, s28
.LBB4_5277:                             ;   in Loop: Header=BB4_4885 Depth=2
	s_or_b32 exec_lo, exec_lo, s27
	v_cmp_gt_i16_sdwa s27, v103, v84 src0_sel:BYTE_0 src1_sel:DWORD
	s_mov_b32 s12, 0
	s_and_saveexec_b32 s28, s27
	s_xor_b32 s27, exec_lo, s28
	s_cbranch_execz .LBB4_5499
; %bb.5278:                             ;   in Loop: Header=BB4_4885 Depth=2
	v_cmp_eq_u16_sdwa s29, v103, v85 src0_sel:BYTE_0 src1_sel:DWORD
	s_mov_b32 s12, -1
	s_and_saveexec_b32 s28, s29
; %bb.5279:                             ;   in Loop: Header=BB4_4885 Depth=2
	s_xor_b32 s12, exec_lo, -1
; %bb.5280:                             ;   in Loop: Header=BB4_4885 Depth=2
	s_or_b32 exec_lo, exec_lo, s28
	s_and_b32 s12, s12, exec_lo
	s_or_saveexec_b32 s27, s27
	v_mov_b32_e32 v43, 0x7f800001
	s_xor_b32 exec_lo, exec_lo, s27
	s_cbranch_execnz .LBB4_5500
.LBB4_5281:                             ;   in Loop: Header=BB4_4885 Depth=2
	s_or_b32 exec_lo, exec_lo, s27
	s_and_saveexec_b32 s27, s12
	s_cbranch_execz .LBB4_5283
.LBB4_5282:                             ;   in Loop: Header=BB4_4885 Depth=2
	v_and_b32_e32 v43, 7, v103
	v_lshrrev_b16 v45, 3, v103
	v_ffbh_u32_e32 v44, v43
	v_and_b32_e32 v45, 15, v45
	v_min_u32_e32 v44, 32, v44
	v_cmp_eq_u32_e32 vcc_lo, 0, v45
	v_subrev_nc_u32_e32 v46, 28, v44
	v_sub_nc_u32_e32 v44, 29, v44
	v_lshlrev_b32_e32 v46, v46, v103
	v_lshlrev_b32_e32 v103, 24, v103
	v_cndmask_b32_e32 v44, v45, v44, vcc_lo
	v_and_b32_e32 v46, 7, v46
	v_and_b32_e32 v103, 0x80000000, v103
	v_lshl_add_u32 v44, v44, 23, 0x3b800000
	v_cndmask_b32_e32 v43, v43, v46, vcc_lo
	v_lshlrev_b32_e32 v43, 20, v43
	v_or3_b32 v43, v103, v44, v43
.LBB4_5283:                             ;   in Loop: Header=BB4_4885 Depth=2
	s_or_b32 exec_lo, exec_lo, s27
	s_waitcnt vmcnt(7) lgkmcnt(7)
	v_cmp_gt_i16_sdwa s27, v42, v84 src0_sel:BYTE_0 src1_sel:DWORD
	s_mov_b32 s12, 0
	s_and_saveexec_b32 s28, s27
	s_xor_b32 s27, exec_lo, s28
	s_cbranch_execz .LBB4_5501
; %bb.5284:                             ;   in Loop: Header=BB4_4885 Depth=2
	v_cmp_eq_u16_sdwa s29, v42, v85 src0_sel:BYTE_0 src1_sel:DWORD
	s_mov_b32 s12, -1
	s_and_saveexec_b32 s28, s29
; %bb.5285:                             ;   in Loop: Header=BB4_4885 Depth=2
	s_xor_b32 s12, exec_lo, -1
; %bb.5286:                             ;   in Loop: Header=BB4_4885 Depth=2
	s_or_b32 exec_lo, exec_lo, s28
	s_and_b32 s12, s12, exec_lo
	s_or_saveexec_b32 s27, s27
	v_mov_b32_e32 v103, 0x7f800001
	s_xor_b32 exec_lo, exec_lo, s27
	s_cbranch_execnz .LBB4_5502
.LBB4_5287:                             ;   in Loop: Header=BB4_4885 Depth=2
	s_or_b32 exec_lo, exec_lo, s27
	s_and_saveexec_b32 s27, s12
	s_cbranch_execz .LBB4_5289
.LBB4_5288:                             ;   in Loop: Header=BB4_4885 Depth=2
	v_and_b32_e32 v103, 7, v42
	v_lshrrev_b16 v45, 3, v42
	v_ffbh_u32_e32 v44, v103
	v_and_b32_e32 v45, 15, v45
	v_min_u32_e32 v44, 32, v44
	v_cmp_eq_u32_e32 vcc_lo, 0, v45
	v_subrev_nc_u32_e32 v46, 28, v44
	v_sub_nc_u32_e32 v44, 29, v44
	v_lshlrev_b32_e32 v46, v46, v42
	v_lshlrev_b32_e32 v42, 24, v42
	v_cndmask_b32_e32 v44, v45, v44, vcc_lo
	v_and_b32_e32 v46, 7, v46
	v_and_b32_e32 v42, 0x80000000, v42
	v_lshl_add_u32 v44, v44, 23, 0x3b800000
	v_cndmask_b32_e32 v103, v103, v46, vcc_lo
	v_lshlrev_b32_e32 v103, 20, v103
	v_or3_b32 v103, v42, v44, v103
.LBB4_5289:                             ;   in Loop: Header=BB4_4885 Depth=2
	s_or_b32 exec_lo, exec_lo, s27
	v_add_f32_e32 v42, v43, v103
	v_and_b32_e32 v103, 0x7f800000, v42
	v_cmp_ne_u32_e32 vcc_lo, 0x7f800000, v103
	v_mov_b32_e32 v103, 0x80
	s_and_saveexec_b32 s27, vcc_lo
	s_cbranch_execz .LBB4_5297
; %bb.5290:                             ;   in Loop: Header=BB4_4885 Depth=2
	v_mov_b32_e32 v103, 0
	s_mov_b32 s28, exec_lo
	v_cmpx_ne_u32_e32 0, v42
	s_cbranch_execz .LBB4_5296
; %bb.5291:                             ;   in Loop: Header=BB4_4885 Depth=2
	v_bfe_u32 v103, v42, 23, 8
	v_and_b32_e32 v43, 0x7fffff, v42
	v_sub_nc_u32_e32 v44, 0x78, v103
	v_cmp_gt_u32_e32 vcc_lo, 0x79, v103
	v_or_b32_e32 v45, 0x800000, v43
	v_cndmask_b32_e32 v44, 0, v44, vcc_lo
	v_cmp_eq_u32_e32 vcc_lo, 0, v103
	v_add_nc_u32_e32 v103, 0xffffff89, v103
	v_cndmask_b32_e64 v44, v44, 0x77, vcc_lo
	v_cndmask_b32_e32 v43, v45, v43, vcc_lo
	v_cndmask_b32_e64 v103, v103, 0xffffff8a, vcc_lo
	v_lshl_add_u32 v45, 0x100000, v44, -1
	v_lshrrev_b32_e32 v46, v44, v43
	v_lshlrev_b32_e64 v56, v44, 0x80000
	v_add_nc_u32_e32 v44, v44, v103
	v_and_b32_e32 v43, v45, v43
	v_bfe_u32 v47, v46, 20, 1
	v_cmp_eq_u32_e64 s12, v43, v56
	v_add_nc_u32_e32 v45, -1, v47
	v_cndmask_b32_e64 v43, 0, v45, s12
	v_lshrrev_b32_e32 v45, 23, v46
	s_mov_b32 s12, exec_lo
	v_add_nc_u32_e32 v43, v43, v46
	v_xor_b32_e32 v45, 1, v45
	v_and_b32_e32 v103, 0xfffff, v43
	v_add_nc_u32_e32 v43, v103, v46
                                        ; implicit-def: $vgpr103
	v_cmpx_ne_u32_e64 v44, v45
	s_xor_b32 s12, exec_lo, s12
; %bb.5292:                             ;   in Loop: Header=BB4_4885 Depth=2
	v_cmp_lt_u32_e32 vcc_lo, 0xffffff, v43
	v_sub_nc_u32_e32 v103, v44, v45
	v_cndmask_b32_e64 v44, 0, 1, vcc_lo
	v_add_co_ci_u32_e64 v103, null, 0, v103, vcc_lo
	v_lshrrev_b32_e32 v43, v44, v43
; %bb.5293:                             ;   in Loop: Header=BB4_4885 Depth=2
	s_andn2_saveexec_b32 s12, s12
; %bb.5294:                             ;   in Loop: Header=BB4_4885 Depth=2
	v_bfe_u32 v103, v43, 23, 1
; %bb.5295:                             ;   in Loop: Header=BB4_4885 Depth=2
	s_or_b32 exec_lo, exec_lo, s12
	v_lshrrev_b32_e32 v43, 20, v43
	v_cmp_gt_i32_e32 vcc_lo, 16, v103
	v_min_i32_e32 v44, 15, v103
	v_and_b32_sdwa v42, v42, v85 dst_sel:DWORD dst_unused:UNUSED_PAD src0_sel:BYTE_3 src1_sel:DWORD
	v_cndmask_b32_e32 v43, 7, v43, vcc_lo
	v_lshlrev_b32_e32 v44, 3, v44
	v_and_b32_e32 v45, 7, v43
	v_or_b32_e32 v103, v103, v43
	v_or3_b32 v42, v44, v42, v45
	v_cmp_ne_u32_e32 vcc_lo, 0, v103
	v_cndmask_b32_e32 v103, 0, v42, vcc_lo
.LBB4_5296:                             ;   in Loop: Header=BB4_4885 Depth=2
	s_or_b32 exec_lo, exec_lo, s28
.LBB4_5297:                             ;   in Loop: Header=BB4_4885 Depth=2
	s_or_b32 exec_lo, exec_lo, s27
	v_cmp_gt_i16_sdwa s27, v101, v84 src0_sel:BYTE_0 src1_sel:DWORD
	s_mov_b32 s12, 0
	s_and_saveexec_b32 s28, s27
	s_xor_b32 s27, exec_lo, s28
	s_cbranch_execz .LBB4_5503
; %bb.5298:                             ;   in Loop: Header=BB4_4885 Depth=2
	v_cmp_eq_u16_sdwa s29, v101, v85 src0_sel:BYTE_0 src1_sel:DWORD
	s_mov_b32 s12, -1
	s_and_saveexec_b32 s28, s29
; %bb.5299:                             ;   in Loop: Header=BB4_4885 Depth=2
	s_xor_b32 s12, exec_lo, -1
; %bb.5300:                             ;   in Loop: Header=BB4_4885 Depth=2
	s_or_b32 exec_lo, exec_lo, s28
	s_and_b32 s12, s12, exec_lo
	s_or_saveexec_b32 s27, s27
	v_mov_b32_e32 v42, 0x7f800001
	s_xor_b32 exec_lo, exec_lo, s27
	s_cbranch_execnz .LBB4_5504
.LBB4_5301:                             ;   in Loop: Header=BB4_4885 Depth=2
	s_or_b32 exec_lo, exec_lo, s27
	s_and_saveexec_b32 s27, s12
	s_cbranch_execz .LBB4_5303
.LBB4_5302:                             ;   in Loop: Header=BB4_4885 Depth=2
	v_and_b32_e32 v42, 7, v101
	v_lshrrev_b16 v44, 3, v101
	v_ffbh_u32_e32 v43, v42
	v_and_b32_e32 v44, 15, v44
	v_min_u32_e32 v43, 32, v43
	v_cmp_eq_u32_e32 vcc_lo, 0, v44
	v_subrev_nc_u32_e32 v45, 28, v43
	v_sub_nc_u32_e32 v43, 29, v43
	v_lshlrev_b32_e32 v45, v45, v101
	v_lshlrev_b32_e32 v101, 24, v101
	v_cndmask_b32_e32 v43, v44, v43, vcc_lo
	v_and_b32_e32 v45, 7, v45
	v_and_b32_e32 v101, 0x80000000, v101
	v_lshl_add_u32 v43, v43, 23, 0x3b800000
	v_cndmask_b32_e32 v42, v42, v45, vcc_lo
	v_lshlrev_b32_e32 v42, 20, v42
	v_or3_b32 v42, v101, v43, v42
.LBB4_5303:                             ;   in Loop: Header=BB4_4885 Depth=2
	s_or_b32 exec_lo, exec_lo, s27
	s_waitcnt vmcnt(6) lgkmcnt(6)
	v_cmp_gt_i16_sdwa s27, v41, v84 src0_sel:BYTE_0 src1_sel:DWORD
	s_mov_b32 s12, 0
	s_and_saveexec_b32 s28, s27
	s_xor_b32 s27, exec_lo, s28
	s_cbranch_execz .LBB4_5505
; %bb.5304:                             ;   in Loop: Header=BB4_4885 Depth=2
	v_cmp_eq_u16_sdwa s29, v41, v85 src0_sel:BYTE_0 src1_sel:DWORD
	s_mov_b32 s12, -1
	s_and_saveexec_b32 s28, s29
; %bb.5305:                             ;   in Loop: Header=BB4_4885 Depth=2
	s_xor_b32 s12, exec_lo, -1
; %bb.5306:                             ;   in Loop: Header=BB4_4885 Depth=2
	s_or_b32 exec_lo, exec_lo, s28
	s_and_b32 s12, s12, exec_lo
	s_or_saveexec_b32 s27, s27
	v_mov_b32_e32 v101, 0x7f800001
	s_xor_b32 exec_lo, exec_lo, s27
	s_cbranch_execnz .LBB4_5506
.LBB4_5307:                             ;   in Loop: Header=BB4_4885 Depth=2
	s_or_b32 exec_lo, exec_lo, s27
	s_and_saveexec_b32 s27, s12
	s_cbranch_execz .LBB4_5309
.LBB4_5308:                             ;   in Loop: Header=BB4_4885 Depth=2
	v_and_b32_e32 v101, 7, v41
	v_lshrrev_b16 v44, 3, v41
	v_ffbh_u32_e32 v43, v101
	v_and_b32_e32 v44, 15, v44
	v_min_u32_e32 v43, 32, v43
	v_cmp_eq_u32_e32 vcc_lo, 0, v44
	v_subrev_nc_u32_e32 v45, 28, v43
	v_sub_nc_u32_e32 v43, 29, v43
	v_lshlrev_b32_e32 v45, v45, v41
	v_lshlrev_b32_e32 v41, 24, v41
	v_cndmask_b32_e32 v43, v44, v43, vcc_lo
	v_and_b32_e32 v45, 7, v45
	v_and_b32_e32 v41, 0x80000000, v41
	v_lshl_add_u32 v43, v43, 23, 0x3b800000
	v_cndmask_b32_e32 v101, v101, v45, vcc_lo
	v_lshlrev_b32_e32 v101, 20, v101
	v_or3_b32 v101, v41, v43, v101
.LBB4_5309:                             ;   in Loop: Header=BB4_4885 Depth=2
	s_or_b32 exec_lo, exec_lo, s27
	v_add_f32_e32 v41, v42, v101
	v_and_b32_e32 v101, 0x7f800000, v41
	v_cmp_ne_u32_e32 vcc_lo, 0x7f800000, v101
	v_mov_b32_e32 v101, 0x80
	s_and_saveexec_b32 s27, vcc_lo
	s_cbranch_execz .LBB4_5317
; %bb.5310:                             ;   in Loop: Header=BB4_4885 Depth=2
	v_mov_b32_e32 v101, 0
	s_mov_b32 s28, exec_lo
	v_cmpx_ne_u32_e32 0, v41
	s_cbranch_execz .LBB4_5316
; %bb.5311:                             ;   in Loop: Header=BB4_4885 Depth=2
	v_bfe_u32 v101, v41, 23, 8
	v_and_b32_e32 v42, 0x7fffff, v41
	v_sub_nc_u32_e32 v43, 0x78, v101
	v_cmp_gt_u32_e32 vcc_lo, 0x79, v101
	v_or_b32_e32 v44, 0x800000, v42
	v_cndmask_b32_e32 v43, 0, v43, vcc_lo
	v_cmp_eq_u32_e32 vcc_lo, 0, v101
	v_add_nc_u32_e32 v101, 0xffffff89, v101
	v_cndmask_b32_e64 v43, v43, 0x77, vcc_lo
	v_cndmask_b32_e32 v42, v44, v42, vcc_lo
	v_cndmask_b32_e64 v101, v101, 0xffffff8a, vcc_lo
	v_lshl_add_u32 v44, 0x100000, v43, -1
	v_lshrrev_b32_e32 v45, v43, v42
	v_lshlrev_b32_e64 v47, v43, 0x80000
	v_add_nc_u32_e32 v43, v43, v101
	v_and_b32_e32 v42, v44, v42
	v_bfe_u32 v46, v45, 20, 1
	v_cmp_eq_u32_e64 s12, v42, v47
	v_add_nc_u32_e32 v44, -1, v46
	v_cndmask_b32_e64 v42, 0, v44, s12
	v_lshrrev_b32_e32 v44, 23, v45
	s_mov_b32 s12, exec_lo
	v_add_nc_u32_e32 v42, v42, v45
	v_xor_b32_e32 v44, 1, v44
	v_and_b32_e32 v101, 0xfffff, v42
	v_add_nc_u32_e32 v42, v101, v45
                                        ; implicit-def: $vgpr101
	v_cmpx_ne_u32_e64 v43, v44
	s_xor_b32 s12, exec_lo, s12
; %bb.5312:                             ;   in Loop: Header=BB4_4885 Depth=2
	v_cmp_lt_u32_e32 vcc_lo, 0xffffff, v42
	v_sub_nc_u32_e32 v101, v43, v44
	v_cndmask_b32_e64 v43, 0, 1, vcc_lo
	v_add_co_ci_u32_e64 v101, null, 0, v101, vcc_lo
	v_lshrrev_b32_e32 v42, v43, v42
; %bb.5313:                             ;   in Loop: Header=BB4_4885 Depth=2
	s_andn2_saveexec_b32 s12, s12
; %bb.5314:                             ;   in Loop: Header=BB4_4885 Depth=2
	v_bfe_u32 v101, v42, 23, 1
; %bb.5315:                             ;   in Loop: Header=BB4_4885 Depth=2
	s_or_b32 exec_lo, exec_lo, s12
	v_lshrrev_b32_e32 v42, 20, v42
	v_cmp_gt_i32_e32 vcc_lo, 16, v101
	v_min_i32_e32 v43, 15, v101
	v_and_b32_sdwa v41, v41, v85 dst_sel:DWORD dst_unused:UNUSED_PAD src0_sel:BYTE_3 src1_sel:DWORD
	v_cndmask_b32_e32 v42, 7, v42, vcc_lo
	v_lshlrev_b32_e32 v43, 3, v43
	v_and_b32_e32 v44, 7, v42
	v_or_b32_e32 v101, v101, v42
	v_or3_b32 v41, v43, v41, v44
	v_cmp_ne_u32_e32 vcc_lo, 0, v101
	v_cndmask_b32_e32 v101, 0, v41, vcc_lo
.LBB4_5316:                             ;   in Loop: Header=BB4_4885 Depth=2
	s_or_b32 exec_lo, exec_lo, s28
.LBB4_5317:                             ;   in Loop: Header=BB4_4885 Depth=2
	s_or_b32 exec_lo, exec_lo, s27
	v_cmp_gt_i16_sdwa s27, v100, v84 src0_sel:BYTE_0 src1_sel:DWORD
	s_mov_b32 s12, 0
	s_and_saveexec_b32 s28, s27
	s_xor_b32 s27, exec_lo, s28
	s_cbranch_execz .LBB4_5507
; %bb.5318:                             ;   in Loop: Header=BB4_4885 Depth=2
	v_cmp_eq_u16_sdwa s29, v100, v85 src0_sel:BYTE_0 src1_sel:DWORD
	s_mov_b32 s12, -1
	s_and_saveexec_b32 s28, s29
; %bb.5319:                             ;   in Loop: Header=BB4_4885 Depth=2
	s_xor_b32 s12, exec_lo, -1
; %bb.5320:                             ;   in Loop: Header=BB4_4885 Depth=2
	s_or_b32 exec_lo, exec_lo, s28
	s_and_b32 s12, s12, exec_lo
	s_or_saveexec_b32 s27, s27
	v_mov_b32_e32 v41, 0x7f800001
	s_xor_b32 exec_lo, exec_lo, s27
	s_cbranch_execnz .LBB4_5508
.LBB4_5321:                             ;   in Loop: Header=BB4_4885 Depth=2
	s_or_b32 exec_lo, exec_lo, s27
	s_and_saveexec_b32 s27, s12
	s_cbranch_execz .LBB4_5323
.LBB4_5322:                             ;   in Loop: Header=BB4_4885 Depth=2
	v_and_b32_e32 v41, 7, v100
	v_lshrrev_b16 v43, 3, v100
	v_ffbh_u32_e32 v42, v41
	v_and_b32_e32 v43, 15, v43
	v_min_u32_e32 v42, 32, v42
	v_cmp_eq_u32_e32 vcc_lo, 0, v43
	v_subrev_nc_u32_e32 v44, 28, v42
	v_sub_nc_u32_e32 v42, 29, v42
	v_lshlrev_b32_e32 v44, v44, v100
	v_lshlrev_b32_e32 v100, 24, v100
	v_cndmask_b32_e32 v42, v43, v42, vcc_lo
	v_and_b32_e32 v44, 7, v44
	v_and_b32_e32 v100, 0x80000000, v100
	v_lshl_add_u32 v42, v42, 23, 0x3b800000
	v_cndmask_b32_e32 v41, v41, v44, vcc_lo
	v_lshlrev_b32_e32 v41, 20, v41
	v_or3_b32 v41, v100, v42, v41
.LBB4_5323:                             ;   in Loop: Header=BB4_4885 Depth=2
	s_or_b32 exec_lo, exec_lo, s27
	s_waitcnt vmcnt(5) lgkmcnt(5)
	v_cmp_gt_i16_sdwa s27, v40, v84 src0_sel:BYTE_0 src1_sel:DWORD
	s_mov_b32 s12, 0
	s_and_saveexec_b32 s28, s27
	s_xor_b32 s27, exec_lo, s28
	s_cbranch_execz .LBB4_5509
; %bb.5324:                             ;   in Loop: Header=BB4_4885 Depth=2
	v_cmp_eq_u16_sdwa s29, v40, v85 src0_sel:BYTE_0 src1_sel:DWORD
	s_mov_b32 s12, -1
	s_and_saveexec_b32 s28, s29
; %bb.5325:                             ;   in Loop: Header=BB4_4885 Depth=2
	s_xor_b32 s12, exec_lo, -1
; %bb.5326:                             ;   in Loop: Header=BB4_4885 Depth=2
	s_or_b32 exec_lo, exec_lo, s28
	s_and_b32 s12, s12, exec_lo
	s_or_saveexec_b32 s27, s27
	v_mov_b32_e32 v100, 0x7f800001
	s_xor_b32 exec_lo, exec_lo, s27
	s_cbranch_execnz .LBB4_5510
.LBB4_5327:                             ;   in Loop: Header=BB4_4885 Depth=2
	s_or_b32 exec_lo, exec_lo, s27
	s_and_saveexec_b32 s27, s12
	s_cbranch_execz .LBB4_5329
.LBB4_5328:                             ;   in Loop: Header=BB4_4885 Depth=2
	v_and_b32_e32 v100, 7, v40
	v_lshrrev_b16 v43, 3, v40
	v_ffbh_u32_e32 v42, v100
	v_and_b32_e32 v43, 15, v43
	v_min_u32_e32 v42, 32, v42
	v_cmp_eq_u32_e32 vcc_lo, 0, v43
	v_subrev_nc_u32_e32 v44, 28, v42
	v_sub_nc_u32_e32 v42, 29, v42
	v_lshlrev_b32_e32 v44, v44, v40
	v_lshlrev_b32_e32 v40, 24, v40
	v_cndmask_b32_e32 v42, v43, v42, vcc_lo
	v_and_b32_e32 v44, 7, v44
	v_and_b32_e32 v40, 0x80000000, v40
	v_lshl_add_u32 v42, v42, 23, 0x3b800000
	v_cndmask_b32_e32 v100, v100, v44, vcc_lo
	v_lshlrev_b32_e32 v100, 20, v100
	v_or3_b32 v100, v40, v42, v100
.LBB4_5329:                             ;   in Loop: Header=BB4_4885 Depth=2
	s_or_b32 exec_lo, exec_lo, s27
	v_add_f32_e32 v40, v41, v100
	v_and_b32_e32 v100, 0x7f800000, v40
	v_cmp_ne_u32_e32 vcc_lo, 0x7f800000, v100
	v_mov_b32_e32 v100, 0x80
	s_and_saveexec_b32 s27, vcc_lo
	s_cbranch_execz .LBB4_5337
; %bb.5330:                             ;   in Loop: Header=BB4_4885 Depth=2
	v_mov_b32_e32 v100, 0
	s_mov_b32 s28, exec_lo
	v_cmpx_ne_u32_e32 0, v40
	s_cbranch_execz .LBB4_5336
; %bb.5331:                             ;   in Loop: Header=BB4_4885 Depth=2
	v_bfe_u32 v100, v40, 23, 8
	v_and_b32_e32 v41, 0x7fffff, v40
	v_sub_nc_u32_e32 v42, 0x78, v100
	v_cmp_gt_u32_e32 vcc_lo, 0x79, v100
	v_or_b32_e32 v43, 0x800000, v41
	v_cndmask_b32_e32 v42, 0, v42, vcc_lo
	v_cmp_eq_u32_e32 vcc_lo, 0, v100
	v_add_nc_u32_e32 v100, 0xffffff89, v100
	v_cndmask_b32_e64 v42, v42, 0x77, vcc_lo
	v_cndmask_b32_e32 v41, v43, v41, vcc_lo
	v_cndmask_b32_e64 v100, v100, 0xffffff8a, vcc_lo
	v_lshl_add_u32 v43, 0x100000, v42, -1
	v_lshrrev_b32_e32 v44, v42, v41
	v_lshlrev_b32_e64 v46, v42, 0x80000
	v_add_nc_u32_e32 v42, v42, v100
	v_and_b32_e32 v41, v43, v41
	v_bfe_u32 v45, v44, 20, 1
	v_cmp_eq_u32_e64 s12, v41, v46
	v_add_nc_u32_e32 v43, -1, v45
	v_cndmask_b32_e64 v41, 0, v43, s12
	v_lshrrev_b32_e32 v43, 23, v44
	s_mov_b32 s12, exec_lo
	v_add_nc_u32_e32 v41, v41, v44
	v_xor_b32_e32 v43, 1, v43
	v_and_b32_e32 v100, 0xfffff, v41
	v_add_nc_u32_e32 v41, v100, v44
                                        ; implicit-def: $vgpr100
	v_cmpx_ne_u32_e64 v42, v43
	s_xor_b32 s12, exec_lo, s12
; %bb.5332:                             ;   in Loop: Header=BB4_4885 Depth=2
	v_cmp_lt_u32_e32 vcc_lo, 0xffffff, v41
	v_sub_nc_u32_e32 v100, v42, v43
	v_cndmask_b32_e64 v42, 0, 1, vcc_lo
	v_add_co_ci_u32_e64 v100, null, 0, v100, vcc_lo
	v_lshrrev_b32_e32 v41, v42, v41
; %bb.5333:                             ;   in Loop: Header=BB4_4885 Depth=2
	s_andn2_saveexec_b32 s12, s12
; %bb.5334:                             ;   in Loop: Header=BB4_4885 Depth=2
	v_bfe_u32 v100, v41, 23, 1
; %bb.5335:                             ;   in Loop: Header=BB4_4885 Depth=2
	s_or_b32 exec_lo, exec_lo, s12
	v_lshrrev_b32_e32 v41, 20, v41
	v_cmp_gt_i32_e32 vcc_lo, 16, v100
	v_min_i32_e32 v42, 15, v100
	v_and_b32_sdwa v40, v40, v85 dst_sel:DWORD dst_unused:UNUSED_PAD src0_sel:BYTE_3 src1_sel:DWORD
	v_cndmask_b32_e32 v41, 7, v41, vcc_lo
	v_lshlrev_b32_e32 v42, 3, v42
	v_and_b32_e32 v43, 7, v41
	v_or_b32_e32 v100, v100, v41
	v_or3_b32 v40, v42, v40, v43
	v_cmp_ne_u32_e32 vcc_lo, 0, v100
	v_cndmask_b32_e32 v100, 0, v40, vcc_lo
.LBB4_5336:                             ;   in Loop: Header=BB4_4885 Depth=2
	s_or_b32 exec_lo, exec_lo, s28
.LBB4_5337:                             ;   in Loop: Header=BB4_4885 Depth=2
	s_or_b32 exec_lo, exec_lo, s27
	v_cmp_gt_i16_sdwa s27, v98, v84 src0_sel:BYTE_0 src1_sel:DWORD
	s_mov_b32 s12, 0
	s_and_saveexec_b32 s28, s27
	s_xor_b32 s27, exec_lo, s28
	s_cbranch_execz .LBB4_5511
; %bb.5338:                             ;   in Loop: Header=BB4_4885 Depth=2
	v_cmp_eq_u16_sdwa s29, v98, v85 src0_sel:BYTE_0 src1_sel:DWORD
	s_mov_b32 s12, -1
	s_and_saveexec_b32 s28, s29
; %bb.5339:                             ;   in Loop: Header=BB4_4885 Depth=2
	s_xor_b32 s12, exec_lo, -1
; %bb.5340:                             ;   in Loop: Header=BB4_4885 Depth=2
	s_or_b32 exec_lo, exec_lo, s28
	s_and_b32 s12, s12, exec_lo
	s_or_saveexec_b32 s27, s27
	v_mov_b32_e32 v40, 0x7f800001
	s_xor_b32 exec_lo, exec_lo, s27
	s_cbranch_execnz .LBB4_5512
.LBB4_5341:                             ;   in Loop: Header=BB4_4885 Depth=2
	s_or_b32 exec_lo, exec_lo, s27
	s_and_saveexec_b32 s27, s12
	s_cbranch_execz .LBB4_5343
.LBB4_5342:                             ;   in Loop: Header=BB4_4885 Depth=2
	v_and_b32_e32 v40, 7, v98
	v_lshrrev_b16 v42, 3, v98
	v_ffbh_u32_e32 v41, v40
	v_and_b32_e32 v42, 15, v42
	v_min_u32_e32 v41, 32, v41
	v_cmp_eq_u32_e32 vcc_lo, 0, v42
	v_subrev_nc_u32_e32 v43, 28, v41
	v_sub_nc_u32_e32 v41, 29, v41
	v_lshlrev_b32_e32 v43, v43, v98
	v_lshlrev_b32_e32 v98, 24, v98
	v_cndmask_b32_e32 v41, v42, v41, vcc_lo
	v_and_b32_e32 v43, 7, v43
	v_and_b32_e32 v98, 0x80000000, v98
	v_lshl_add_u32 v41, v41, 23, 0x3b800000
	v_cndmask_b32_e32 v40, v40, v43, vcc_lo
	v_lshlrev_b32_e32 v40, 20, v40
	v_or3_b32 v40, v98, v41, v40
.LBB4_5343:                             ;   in Loop: Header=BB4_4885 Depth=2
	s_or_b32 exec_lo, exec_lo, s27
	s_waitcnt vmcnt(4) lgkmcnt(4)
	v_cmp_gt_i16_sdwa s27, v119, v84 src0_sel:BYTE_0 src1_sel:DWORD
	s_mov_b32 s12, 0
	s_and_saveexec_b32 s28, s27
	s_xor_b32 s27, exec_lo, s28
	s_cbranch_execz .LBB4_5513
; %bb.5344:                             ;   in Loop: Header=BB4_4885 Depth=2
	v_cmp_eq_u16_sdwa s29, v119, v85 src0_sel:BYTE_0 src1_sel:DWORD
	s_mov_b32 s12, -1
	s_and_saveexec_b32 s28, s29
; %bb.5345:                             ;   in Loop: Header=BB4_4885 Depth=2
	s_xor_b32 s12, exec_lo, -1
; %bb.5346:                             ;   in Loop: Header=BB4_4885 Depth=2
	s_or_b32 exec_lo, exec_lo, s28
	s_and_b32 s12, s12, exec_lo
	s_or_saveexec_b32 s27, s27
	v_mov_b32_e32 v98, 0x7f800001
	s_xor_b32 exec_lo, exec_lo, s27
	s_cbranch_execnz .LBB4_5514
.LBB4_5347:                             ;   in Loop: Header=BB4_4885 Depth=2
	s_or_b32 exec_lo, exec_lo, s27
	s_and_saveexec_b32 s27, s12
	s_cbranch_execz .LBB4_5349
.LBB4_5348:                             ;   in Loop: Header=BB4_4885 Depth=2
	v_and_b32_e32 v98, 7, v119
	v_lshrrev_b16 v42, 3, v119
	v_ffbh_u32_e32 v41, v98
	v_and_b32_e32 v42, 15, v42
	v_min_u32_e32 v41, 32, v41
	v_cmp_eq_u32_e32 vcc_lo, 0, v42
	v_subrev_nc_u32_e32 v43, 28, v41
	v_sub_nc_u32_e32 v41, 29, v41
	v_lshlrev_b32_e32 v43, v43, v119
	v_lshlrev_b32_e32 v119, 24, v119
	v_cndmask_b32_e32 v41, v42, v41, vcc_lo
	v_and_b32_e32 v43, 7, v43
	v_and_b32_e32 v119, 0x80000000, v119
	v_lshl_add_u32 v41, v41, 23, 0x3b800000
	v_cndmask_b32_e32 v98, v98, v43, vcc_lo
	v_lshlrev_b32_e32 v98, 20, v98
	v_or3_b32 v98, v119, v41, v98
.LBB4_5349:                             ;   in Loop: Header=BB4_4885 Depth=2
	s_or_b32 exec_lo, exec_lo, s27
	v_add_f32_e32 v119, v40, v98
	v_and_b32_e32 v98, 0x7f800000, v119
	v_cmp_ne_u32_e32 vcc_lo, 0x7f800000, v98
	v_mov_b32_e32 v98, 0x80
	s_and_saveexec_b32 s27, vcc_lo
	s_cbranch_execz .LBB4_5357
; %bb.5350:                             ;   in Loop: Header=BB4_4885 Depth=2
	v_mov_b32_e32 v98, 0
	s_mov_b32 s28, exec_lo
	v_cmpx_ne_u32_e32 0, v119
	s_cbranch_execz .LBB4_5356
; %bb.5351:                             ;   in Loop: Header=BB4_4885 Depth=2
	v_bfe_u32 v98, v119, 23, 8
	v_and_b32_e32 v40, 0x7fffff, v119
	v_sub_nc_u32_e32 v41, 0x78, v98
	v_cmp_gt_u32_e32 vcc_lo, 0x79, v98
	v_or_b32_e32 v42, 0x800000, v40
	v_cndmask_b32_e32 v41, 0, v41, vcc_lo
	v_cmp_eq_u32_e32 vcc_lo, 0, v98
	v_add_nc_u32_e32 v98, 0xffffff89, v98
	v_cndmask_b32_e64 v41, v41, 0x77, vcc_lo
	v_cndmask_b32_e32 v40, v42, v40, vcc_lo
	v_cndmask_b32_e64 v98, v98, 0xffffff8a, vcc_lo
	v_lshl_add_u32 v42, 0x100000, v41, -1
	v_lshrrev_b32_e32 v43, v41, v40
	v_lshlrev_b32_e64 v45, v41, 0x80000
	v_add_nc_u32_e32 v41, v41, v98
	v_and_b32_e32 v40, v42, v40
	v_bfe_u32 v44, v43, 20, 1
	v_cmp_eq_u32_e64 s12, v40, v45
	v_add_nc_u32_e32 v42, -1, v44
	v_cndmask_b32_e64 v40, 0, v42, s12
	v_lshrrev_b32_e32 v42, 23, v43
	s_mov_b32 s12, exec_lo
	v_add_nc_u32_e32 v40, v40, v43
	v_xor_b32_e32 v42, 1, v42
	v_and_b32_e32 v98, 0xfffff, v40
	v_add_nc_u32_e32 v40, v98, v43
                                        ; implicit-def: $vgpr98
	v_cmpx_ne_u32_e64 v41, v42
	s_xor_b32 s12, exec_lo, s12
; %bb.5352:                             ;   in Loop: Header=BB4_4885 Depth=2
	v_cmp_lt_u32_e32 vcc_lo, 0xffffff, v40
	v_sub_nc_u32_e32 v98, v41, v42
	v_cndmask_b32_e64 v41, 0, 1, vcc_lo
	v_add_co_ci_u32_e64 v98, null, 0, v98, vcc_lo
	v_lshrrev_b32_e32 v40, v41, v40
; %bb.5353:                             ;   in Loop: Header=BB4_4885 Depth=2
	s_andn2_saveexec_b32 s12, s12
; %bb.5354:                             ;   in Loop: Header=BB4_4885 Depth=2
	v_bfe_u32 v98, v40, 23, 1
; %bb.5355:                             ;   in Loop: Header=BB4_4885 Depth=2
	s_or_b32 exec_lo, exec_lo, s12
	v_lshrrev_b32_e32 v40, 20, v40
	v_cmp_gt_i32_e32 vcc_lo, 16, v98
	v_min_i32_e32 v41, 15, v98
	v_and_b32_sdwa v119, v119, v85 dst_sel:DWORD dst_unused:UNUSED_PAD src0_sel:BYTE_3 src1_sel:DWORD
	v_cndmask_b32_e32 v40, 7, v40, vcc_lo
	v_lshlrev_b32_e32 v41, 3, v41
	v_and_b32_e32 v42, 7, v40
	v_or_b32_e32 v98, v98, v40
	v_or3_b32 v119, v41, v119, v42
	v_cmp_ne_u32_e32 vcc_lo, 0, v98
	v_cndmask_b32_e32 v98, 0, v119, vcc_lo
.LBB4_5356:                             ;   in Loop: Header=BB4_4885 Depth=2
	s_or_b32 exec_lo, exec_lo, s28
.LBB4_5357:                             ;   in Loop: Header=BB4_4885 Depth=2
	s_or_b32 exec_lo, exec_lo, s27
	v_cmp_gt_i16_sdwa s27, v65, v84 src0_sel:BYTE_0 src1_sel:DWORD
	s_mov_b32 s12, 0
	s_and_saveexec_b32 s28, s27
	s_xor_b32 s27, exec_lo, s28
	s_cbranch_execz .LBB4_5515
; %bb.5358:                             ;   in Loop: Header=BB4_4885 Depth=2
	v_cmp_eq_u16_sdwa s29, v65, v85 src0_sel:BYTE_0 src1_sel:DWORD
	s_mov_b32 s12, -1
	s_and_saveexec_b32 s28, s29
; %bb.5359:                             ;   in Loop: Header=BB4_4885 Depth=2
	s_xor_b32 s12, exec_lo, -1
; %bb.5360:                             ;   in Loop: Header=BB4_4885 Depth=2
	s_or_b32 exec_lo, exec_lo, s28
	s_and_b32 s12, s12, exec_lo
	s_or_saveexec_b32 s27, s27
	v_mov_b32_e32 v119, 0x7f800001
	s_xor_b32 exec_lo, exec_lo, s27
	s_cbranch_execnz .LBB4_5516
.LBB4_5361:                             ;   in Loop: Header=BB4_4885 Depth=2
	s_or_b32 exec_lo, exec_lo, s27
	s_and_saveexec_b32 s27, s12
	s_cbranch_execz .LBB4_5363
.LBB4_5362:                             ;   in Loop: Header=BB4_4885 Depth=2
	v_and_b32_e32 v119, 7, v65
	v_lshrrev_b16 v41, 3, v65
	v_ffbh_u32_e32 v40, v119
	v_and_b32_e32 v41, 15, v41
	v_min_u32_e32 v40, 32, v40
	v_cmp_eq_u32_e32 vcc_lo, 0, v41
	v_subrev_nc_u32_e32 v42, 28, v40
	v_sub_nc_u32_e32 v40, 29, v40
	v_lshlrev_b32_e32 v42, v42, v65
	v_lshlrev_b32_e32 v65, 24, v65
	v_cndmask_b32_e32 v40, v41, v40, vcc_lo
	v_and_b32_e32 v42, 7, v42
	v_and_b32_e32 v65, 0x80000000, v65
	v_lshl_add_u32 v40, v40, 23, 0x3b800000
	v_cndmask_b32_e32 v119, v119, v42, vcc_lo
	v_lshlrev_b32_e32 v119, 20, v119
	v_or3_b32 v119, v65, v40, v119
.LBB4_5363:                             ;   in Loop: Header=BB4_4885 Depth=2
	s_or_b32 exec_lo, exec_lo, s27
	s_waitcnt vmcnt(3) lgkmcnt(3)
	v_cmp_gt_i16_sdwa s27, v115, v84 src0_sel:BYTE_0 src1_sel:DWORD
	s_mov_b32 s12, 0
	s_and_saveexec_b32 s28, s27
	s_xor_b32 s27, exec_lo, s28
	s_cbranch_execz .LBB4_5517
; %bb.5364:                             ;   in Loop: Header=BB4_4885 Depth=2
	v_cmp_eq_u16_sdwa s29, v115, v85 src0_sel:BYTE_0 src1_sel:DWORD
	s_mov_b32 s12, -1
	s_and_saveexec_b32 s28, s29
; %bb.5365:                             ;   in Loop: Header=BB4_4885 Depth=2
	s_xor_b32 s12, exec_lo, -1
; %bb.5366:                             ;   in Loop: Header=BB4_4885 Depth=2
	s_or_b32 exec_lo, exec_lo, s28
	s_and_b32 s12, s12, exec_lo
	s_or_saveexec_b32 s27, s27
	v_mov_b32_e32 v65, 0x7f800001
	s_xor_b32 exec_lo, exec_lo, s27
	s_cbranch_execnz .LBB4_5518
.LBB4_5367:                             ;   in Loop: Header=BB4_4885 Depth=2
	s_or_b32 exec_lo, exec_lo, s27
	s_and_saveexec_b32 s27, s12
	s_cbranch_execz .LBB4_5369
.LBB4_5368:                             ;   in Loop: Header=BB4_4885 Depth=2
	v_and_b32_e32 v65, 7, v115
	v_lshrrev_b16 v41, 3, v115
	v_ffbh_u32_e32 v40, v65
	v_and_b32_e32 v41, 15, v41
	v_min_u32_e32 v40, 32, v40
	v_cmp_eq_u32_e32 vcc_lo, 0, v41
	v_subrev_nc_u32_e32 v42, 28, v40
	v_sub_nc_u32_e32 v40, 29, v40
	v_lshlrev_b32_e32 v42, v42, v115
	v_lshlrev_b32_e32 v115, 24, v115
	v_cndmask_b32_e32 v40, v41, v40, vcc_lo
	v_and_b32_e32 v42, 7, v42
	v_and_b32_e32 v115, 0x80000000, v115
	v_lshl_add_u32 v40, v40, 23, 0x3b800000
	v_cndmask_b32_e32 v65, v65, v42, vcc_lo
	v_lshlrev_b32_e32 v65, 20, v65
	v_or3_b32 v65, v115, v40, v65
.LBB4_5369:                             ;   in Loop: Header=BB4_4885 Depth=2
	s_or_b32 exec_lo, exec_lo, s27
	v_add_f32_e32 v115, v119, v65
	v_and_b32_e32 v65, 0x7f800000, v115
	v_cmp_ne_u32_e32 vcc_lo, 0x7f800000, v65
	v_mov_b32_e32 v65, 0x80
	s_and_saveexec_b32 s27, vcc_lo
	s_cbranch_execz .LBB4_5377
; %bb.5370:                             ;   in Loop: Header=BB4_4885 Depth=2
	v_mov_b32_e32 v65, 0
	s_mov_b32 s28, exec_lo
	v_cmpx_ne_u32_e32 0, v115
	s_cbranch_execz .LBB4_5376
; %bb.5371:                             ;   in Loop: Header=BB4_4885 Depth=2
	v_bfe_u32 v65, v115, 23, 8
	v_and_b32_e32 v119, 0x7fffff, v115
	v_sub_nc_u32_e32 v40, 0x78, v65
	v_cmp_gt_u32_e32 vcc_lo, 0x79, v65
	v_or_b32_e32 v41, 0x800000, v119
	v_cndmask_b32_e32 v40, 0, v40, vcc_lo
	v_cmp_eq_u32_e32 vcc_lo, 0, v65
	v_add_nc_u32_e32 v65, 0xffffff89, v65
	v_cndmask_b32_e64 v40, v40, 0x77, vcc_lo
	v_cndmask_b32_e32 v119, v41, v119, vcc_lo
	v_cndmask_b32_e64 v65, v65, 0xffffff8a, vcc_lo
	v_lshl_add_u32 v41, 0x100000, v40, -1
	v_lshrrev_b32_e32 v42, v40, v119
	v_lshlrev_b32_e64 v44, v40, 0x80000
	v_add_nc_u32_e32 v40, v40, v65
	v_and_b32_e32 v119, v41, v119
	v_bfe_u32 v43, v42, 20, 1
	v_cmp_eq_u32_e64 s12, v119, v44
	v_add_nc_u32_e32 v41, -1, v43
	v_cndmask_b32_e64 v119, 0, v41, s12
	v_lshrrev_b32_e32 v41, 23, v42
	s_mov_b32 s12, exec_lo
	v_add_nc_u32_e32 v119, v119, v42
	v_xor_b32_e32 v41, 1, v41
	v_and_b32_e32 v65, 0xfffff, v119
	v_add_nc_u32_e32 v119, v65, v42
                                        ; implicit-def: $vgpr65
	v_cmpx_ne_u32_e64 v40, v41
	s_xor_b32 s12, exec_lo, s12
; %bb.5372:                             ;   in Loop: Header=BB4_4885 Depth=2
	v_cmp_lt_u32_e32 vcc_lo, 0xffffff, v119
	v_sub_nc_u32_e32 v65, v40, v41
	v_cndmask_b32_e64 v40, 0, 1, vcc_lo
	v_add_co_ci_u32_e64 v65, null, 0, v65, vcc_lo
	v_lshrrev_b32_e32 v119, v40, v119
; %bb.5373:                             ;   in Loop: Header=BB4_4885 Depth=2
	s_andn2_saveexec_b32 s12, s12
; %bb.5374:                             ;   in Loop: Header=BB4_4885 Depth=2
	v_bfe_u32 v65, v119, 23, 1
; %bb.5375:                             ;   in Loop: Header=BB4_4885 Depth=2
	s_or_b32 exec_lo, exec_lo, s12
	v_lshrrev_b32_e32 v119, 20, v119
	v_cmp_gt_i32_e32 vcc_lo, 16, v65
	v_min_i32_e32 v40, 15, v65
	v_and_b32_sdwa v115, v115, v85 dst_sel:DWORD dst_unused:UNUSED_PAD src0_sel:BYTE_3 src1_sel:DWORD
	v_cndmask_b32_e32 v119, 7, v119, vcc_lo
	v_lshlrev_b32_e32 v40, 3, v40
	v_and_b32_e32 v41, 7, v119
	v_or_b32_e32 v65, v65, v119
	v_or3_b32 v115, v40, v115, v41
	v_cmp_ne_u32_e32 vcc_lo, 0, v65
	v_cndmask_b32_e32 v65, 0, v115, vcc_lo
.LBB4_5376:                             ;   in Loop: Header=BB4_4885 Depth=2
	s_or_b32 exec_lo, exec_lo, s28
.LBB4_5377:                             ;   in Loop: Header=BB4_4885 Depth=2
	s_or_b32 exec_lo, exec_lo, s27
	v_cmp_gt_i16_sdwa s27, v50, v84 src0_sel:BYTE_0 src1_sel:DWORD
	s_mov_b32 s12, 0
	s_and_saveexec_b32 s28, s27
	s_xor_b32 s27, exec_lo, s28
	s_cbranch_execz .LBB4_5519
; %bb.5378:                             ;   in Loop: Header=BB4_4885 Depth=2
	v_cmp_eq_u16_sdwa s29, v50, v85 src0_sel:BYTE_0 src1_sel:DWORD
	s_mov_b32 s12, -1
	s_and_saveexec_b32 s28, s29
; %bb.5379:                             ;   in Loop: Header=BB4_4885 Depth=2
	s_xor_b32 s12, exec_lo, -1
; %bb.5380:                             ;   in Loop: Header=BB4_4885 Depth=2
	s_or_b32 exec_lo, exec_lo, s28
	s_and_b32 s12, s12, exec_lo
	s_or_saveexec_b32 s27, s27
	v_mov_b32_e32 v115, 0x7f800001
	s_xor_b32 exec_lo, exec_lo, s27
	s_cbranch_execnz .LBB4_5520
.LBB4_5381:                             ;   in Loop: Header=BB4_4885 Depth=2
	s_or_b32 exec_lo, exec_lo, s27
	s_and_saveexec_b32 s27, s12
	s_cbranch_execz .LBB4_5383
.LBB4_5382:                             ;   in Loop: Header=BB4_4885 Depth=2
	v_and_b32_e32 v115, 7, v50
	v_lshrrev_b16 v40, 3, v50
	v_ffbh_u32_e32 v119, v115
	v_and_b32_e32 v40, 15, v40
	v_min_u32_e32 v119, 32, v119
	v_cmp_eq_u32_e32 vcc_lo, 0, v40
	v_subrev_nc_u32_e32 v41, 28, v119
	v_sub_nc_u32_e32 v119, 29, v119
	v_lshlrev_b32_e32 v41, v41, v50
	v_lshlrev_b32_e32 v50, 24, v50
	v_cndmask_b32_e32 v119, v40, v119, vcc_lo
	v_and_b32_e32 v41, 7, v41
	v_and_b32_e32 v50, 0x80000000, v50
	v_lshl_add_u32 v119, v119, 23, 0x3b800000
	v_cndmask_b32_e32 v115, v115, v41, vcc_lo
	v_lshlrev_b32_e32 v115, 20, v115
	v_or3_b32 v115, v50, v119, v115
.LBB4_5383:                             ;   in Loop: Header=BB4_4885 Depth=2
	s_or_b32 exec_lo, exec_lo, s27
	s_waitcnt vmcnt(2) lgkmcnt(2)
	v_cmp_gt_i16_sdwa s27, v102, v84 src0_sel:BYTE_0 src1_sel:DWORD
	s_mov_b32 s12, 0
	s_and_saveexec_b32 s28, s27
	s_xor_b32 s27, exec_lo, s28
	s_cbranch_execz .LBB4_5521
; %bb.5384:                             ;   in Loop: Header=BB4_4885 Depth=2
	v_cmp_eq_u16_sdwa s29, v102, v85 src0_sel:BYTE_0 src1_sel:DWORD
	s_mov_b32 s12, -1
	s_and_saveexec_b32 s28, s29
; %bb.5385:                             ;   in Loop: Header=BB4_4885 Depth=2
	s_xor_b32 s12, exec_lo, -1
; %bb.5386:                             ;   in Loop: Header=BB4_4885 Depth=2
	s_or_b32 exec_lo, exec_lo, s28
	s_and_b32 s12, s12, exec_lo
	s_or_saveexec_b32 s27, s27
	v_mov_b32_e32 v50, 0x7f800001
	s_xor_b32 exec_lo, exec_lo, s27
	s_cbranch_execnz .LBB4_5522
.LBB4_5387:                             ;   in Loop: Header=BB4_4885 Depth=2
	s_or_b32 exec_lo, exec_lo, s27
	s_and_saveexec_b32 s27, s12
	s_cbranch_execz .LBB4_5389
.LBB4_5388:                             ;   in Loop: Header=BB4_4885 Depth=2
	v_and_b32_e32 v50, 7, v102
	v_lshrrev_b16 v40, 3, v102
	v_ffbh_u32_e32 v119, v50
	v_and_b32_e32 v40, 15, v40
	v_min_u32_e32 v119, 32, v119
	v_cmp_eq_u32_e32 vcc_lo, 0, v40
	v_subrev_nc_u32_e32 v41, 28, v119
	v_sub_nc_u32_e32 v119, 29, v119
	v_lshlrev_b32_e32 v41, v41, v102
	v_lshlrev_b32_e32 v102, 24, v102
	v_cndmask_b32_e32 v119, v40, v119, vcc_lo
	v_and_b32_e32 v41, 7, v41
	v_and_b32_e32 v102, 0x80000000, v102
	v_lshl_add_u32 v119, v119, 23, 0x3b800000
	v_cndmask_b32_e32 v50, v50, v41, vcc_lo
	v_lshlrev_b32_e32 v50, 20, v50
	v_or3_b32 v50, v102, v119, v50
.LBB4_5389:                             ;   in Loop: Header=BB4_4885 Depth=2
	s_or_b32 exec_lo, exec_lo, s27
	v_add_f32_e32 v102, v115, v50
	v_and_b32_e32 v50, 0x7f800000, v102
	v_cmp_ne_u32_e32 vcc_lo, 0x7f800000, v50
	v_mov_b32_e32 v50, 0x80
	s_and_saveexec_b32 s27, vcc_lo
	s_cbranch_execz .LBB4_5397
; %bb.5390:                             ;   in Loop: Header=BB4_4885 Depth=2
	v_mov_b32_e32 v50, 0
	s_mov_b32 s28, exec_lo
	v_cmpx_ne_u32_e32 0, v102
	s_cbranch_execz .LBB4_5396
; %bb.5391:                             ;   in Loop: Header=BB4_4885 Depth=2
	v_bfe_u32 v50, v102, 23, 8
	v_and_b32_e32 v115, 0x7fffff, v102
	v_sub_nc_u32_e32 v119, 0x78, v50
	v_cmp_gt_u32_e32 vcc_lo, 0x79, v50
	v_or_b32_e32 v40, 0x800000, v115
	v_cndmask_b32_e32 v119, 0, v119, vcc_lo
	v_cmp_eq_u32_e32 vcc_lo, 0, v50
	v_add_nc_u32_e32 v50, 0xffffff89, v50
	v_cndmask_b32_e64 v119, v119, 0x77, vcc_lo
	v_cndmask_b32_e32 v115, v40, v115, vcc_lo
	v_cndmask_b32_e64 v50, v50, 0xffffff8a, vcc_lo
	v_lshl_add_u32 v40, 0x100000, v119, -1
	v_lshrrev_b32_e32 v41, v119, v115
	v_lshlrev_b32_e64 v43, v119, 0x80000
	v_add_nc_u32_e32 v119, v119, v50
	v_and_b32_e32 v115, v40, v115
	v_bfe_u32 v42, v41, 20, 1
	v_cmp_eq_u32_e64 s12, v115, v43
	v_add_nc_u32_e32 v40, -1, v42
	v_cndmask_b32_e64 v115, 0, v40, s12
	v_lshrrev_b32_e32 v40, 23, v41
	s_mov_b32 s12, exec_lo
	v_add_nc_u32_e32 v115, v115, v41
	v_xor_b32_e32 v40, 1, v40
	v_and_b32_e32 v50, 0xfffff, v115
	v_add_nc_u32_e32 v115, v50, v41
                                        ; implicit-def: $vgpr50
	v_cmpx_ne_u32_e64 v119, v40
	s_xor_b32 s12, exec_lo, s12
; %bb.5392:                             ;   in Loop: Header=BB4_4885 Depth=2
	v_cmp_lt_u32_e32 vcc_lo, 0xffffff, v115
	v_sub_nc_u32_e32 v50, v119, v40
	v_cndmask_b32_e64 v119, 0, 1, vcc_lo
	v_add_co_ci_u32_e64 v50, null, 0, v50, vcc_lo
	v_lshrrev_b32_e32 v115, v119, v115
; %bb.5393:                             ;   in Loop: Header=BB4_4885 Depth=2
	s_andn2_saveexec_b32 s12, s12
; %bb.5394:                             ;   in Loop: Header=BB4_4885 Depth=2
	v_bfe_u32 v50, v115, 23, 1
; %bb.5395:                             ;   in Loop: Header=BB4_4885 Depth=2
	s_or_b32 exec_lo, exec_lo, s12
	v_lshrrev_b32_e32 v115, 20, v115
	v_cmp_gt_i32_e32 vcc_lo, 16, v50
	v_min_i32_e32 v119, 15, v50
	v_and_b32_sdwa v102, v102, v85 dst_sel:DWORD dst_unused:UNUSED_PAD src0_sel:BYTE_3 src1_sel:DWORD
	v_cndmask_b32_e32 v115, 7, v115, vcc_lo
	v_lshlrev_b32_e32 v119, 3, v119
	v_and_b32_e32 v40, 7, v115
	v_or_b32_e32 v50, v50, v115
	v_or3_b32 v102, v119, v102, v40
	v_cmp_ne_u32_e32 vcc_lo, 0, v50
	v_cndmask_b32_e32 v50, 0, v102, vcc_lo
.LBB4_5396:                             ;   in Loop: Header=BB4_4885 Depth=2
	s_or_b32 exec_lo, exec_lo, s28
.LBB4_5397:                             ;   in Loop: Header=BB4_4885 Depth=2
	s_or_b32 exec_lo, exec_lo, s27
	v_cmp_gt_i16_sdwa s27, v49, v84 src0_sel:BYTE_0 src1_sel:DWORD
	s_mov_b32 s12, 0
	s_and_saveexec_b32 s28, s27
	s_xor_b32 s27, exec_lo, s28
	s_cbranch_execz .LBB4_5523
; %bb.5398:                             ;   in Loop: Header=BB4_4885 Depth=2
	v_cmp_eq_u16_sdwa s29, v49, v85 src0_sel:BYTE_0 src1_sel:DWORD
	s_mov_b32 s12, -1
	s_and_saveexec_b32 s28, s29
; %bb.5399:                             ;   in Loop: Header=BB4_4885 Depth=2
	s_xor_b32 s12, exec_lo, -1
; %bb.5400:                             ;   in Loop: Header=BB4_4885 Depth=2
	s_or_b32 exec_lo, exec_lo, s28
	s_and_b32 s12, s12, exec_lo
	s_or_saveexec_b32 s27, s27
	v_mov_b32_e32 v102, 0x7f800001
	s_xor_b32 exec_lo, exec_lo, s27
	s_cbranch_execnz .LBB4_5524
.LBB4_5401:                             ;   in Loop: Header=BB4_4885 Depth=2
	s_or_b32 exec_lo, exec_lo, s27
	s_and_saveexec_b32 s27, s12
	s_cbranch_execz .LBB4_5403
.LBB4_5402:                             ;   in Loop: Header=BB4_4885 Depth=2
	v_and_b32_e32 v102, 7, v49
	v_lshrrev_b16 v119, 3, v49
	v_ffbh_u32_e32 v115, v102
	v_and_b32_e32 v119, 15, v119
	v_min_u32_e32 v115, 32, v115
	v_cmp_eq_u32_e32 vcc_lo, 0, v119
	v_subrev_nc_u32_e32 v40, 28, v115
	v_sub_nc_u32_e32 v115, 29, v115
	v_lshlrev_b32_e32 v40, v40, v49
	v_lshlrev_b32_e32 v49, 24, v49
	v_cndmask_b32_e32 v115, v119, v115, vcc_lo
	v_and_b32_e32 v40, 7, v40
	v_and_b32_e32 v49, 0x80000000, v49
	v_lshl_add_u32 v115, v115, 23, 0x3b800000
	v_cndmask_b32_e32 v102, v102, v40, vcc_lo
	v_lshlrev_b32_e32 v102, 20, v102
	v_or3_b32 v102, v49, v115, v102
.LBB4_5403:                             ;   in Loop: Header=BB4_4885 Depth=2
	s_or_b32 exec_lo, exec_lo, s27
	s_waitcnt vmcnt(1) lgkmcnt(1)
	v_cmp_gt_i16_sdwa s27, v51, v84 src0_sel:BYTE_0 src1_sel:DWORD
	s_mov_b32 s12, 0
	s_and_saveexec_b32 s28, s27
	s_xor_b32 s27, exec_lo, s28
	s_cbranch_execz .LBB4_5525
; %bb.5404:                             ;   in Loop: Header=BB4_4885 Depth=2
	v_cmp_eq_u16_sdwa s29, v51, v85 src0_sel:BYTE_0 src1_sel:DWORD
	s_mov_b32 s12, -1
	s_and_saveexec_b32 s28, s29
; %bb.5405:                             ;   in Loop: Header=BB4_4885 Depth=2
	s_xor_b32 s12, exec_lo, -1
; %bb.5406:                             ;   in Loop: Header=BB4_4885 Depth=2
	s_or_b32 exec_lo, exec_lo, s28
	s_and_b32 s12, s12, exec_lo
	s_or_saveexec_b32 s27, s27
	v_mov_b32_e32 v49, 0x7f800001
	s_xor_b32 exec_lo, exec_lo, s27
	s_cbranch_execnz .LBB4_5526
.LBB4_5407:                             ;   in Loop: Header=BB4_4885 Depth=2
	s_or_b32 exec_lo, exec_lo, s27
	s_and_saveexec_b32 s27, s12
	s_cbranch_execz .LBB4_5409
.LBB4_5408:                             ;   in Loop: Header=BB4_4885 Depth=2
	v_and_b32_e32 v49, 7, v51
	v_lshrrev_b16 v119, 3, v51
	v_ffbh_u32_e32 v115, v49
	v_and_b32_e32 v119, 15, v119
	v_min_u32_e32 v115, 32, v115
	v_cmp_eq_u32_e32 vcc_lo, 0, v119
	v_subrev_nc_u32_e32 v40, 28, v115
	v_sub_nc_u32_e32 v115, 29, v115
	v_lshlrev_b32_e32 v40, v40, v51
	v_lshlrev_b32_e32 v51, 24, v51
	v_cndmask_b32_e32 v115, v119, v115, vcc_lo
	v_and_b32_e32 v40, 7, v40
	v_and_b32_e32 v51, 0x80000000, v51
	v_lshl_add_u32 v115, v115, 23, 0x3b800000
	v_cndmask_b32_e32 v49, v49, v40, vcc_lo
	v_lshlrev_b32_e32 v49, 20, v49
	v_or3_b32 v49, v51, v115, v49
.LBB4_5409:                             ;   in Loop: Header=BB4_4885 Depth=2
	s_or_b32 exec_lo, exec_lo, s27
	v_add_f32_e32 v51, v102, v49
	v_and_b32_e32 v49, 0x7f800000, v51
	v_cmp_ne_u32_e32 vcc_lo, 0x7f800000, v49
	v_mov_b32_e32 v49, 0x80
	s_and_saveexec_b32 s27, vcc_lo
	s_cbranch_execz .LBB4_5417
; %bb.5410:                             ;   in Loop: Header=BB4_4885 Depth=2
	v_mov_b32_e32 v49, 0
	s_mov_b32 s28, exec_lo
	v_cmpx_ne_u32_e32 0, v51
	s_cbranch_execz .LBB4_5416
; %bb.5411:                             ;   in Loop: Header=BB4_4885 Depth=2
	v_bfe_u32 v49, v51, 23, 8
	v_and_b32_e32 v102, 0x7fffff, v51
	v_sub_nc_u32_e32 v115, 0x78, v49
	v_cmp_gt_u32_e32 vcc_lo, 0x79, v49
	v_or_b32_e32 v119, 0x800000, v102
	v_cndmask_b32_e32 v115, 0, v115, vcc_lo
	v_cmp_eq_u32_e32 vcc_lo, 0, v49
	v_add_nc_u32_e32 v49, 0xffffff89, v49
	v_cndmask_b32_e64 v115, v115, 0x77, vcc_lo
	v_cndmask_b32_e32 v102, v119, v102, vcc_lo
	v_cndmask_b32_e64 v49, v49, 0xffffff8a, vcc_lo
	v_lshl_add_u32 v119, 0x100000, v115, -1
	v_lshrrev_b32_e32 v40, v115, v102
	v_lshlrev_b32_e64 v42, v115, 0x80000
	v_add_nc_u32_e32 v115, v115, v49
	v_and_b32_e32 v102, v119, v102
	v_bfe_u32 v41, v40, 20, 1
	v_cmp_eq_u32_e64 s12, v102, v42
	v_add_nc_u32_e32 v119, -1, v41
	v_cndmask_b32_e64 v102, 0, v119, s12
	v_lshrrev_b32_e32 v119, 23, v40
	s_mov_b32 s12, exec_lo
	v_add_nc_u32_e32 v102, v102, v40
	v_xor_b32_e32 v119, 1, v119
	v_and_b32_e32 v49, 0xfffff, v102
	v_add_nc_u32_e32 v102, v49, v40
                                        ; implicit-def: $vgpr49
	v_cmpx_ne_u32_e64 v115, v119
	s_xor_b32 s12, exec_lo, s12
; %bb.5412:                             ;   in Loop: Header=BB4_4885 Depth=2
	v_cmp_lt_u32_e32 vcc_lo, 0xffffff, v102
	v_sub_nc_u32_e32 v49, v115, v119
	v_cndmask_b32_e64 v115, 0, 1, vcc_lo
	v_add_co_ci_u32_e64 v49, null, 0, v49, vcc_lo
	v_lshrrev_b32_e32 v102, v115, v102
; %bb.5413:                             ;   in Loop: Header=BB4_4885 Depth=2
	s_andn2_saveexec_b32 s12, s12
; %bb.5414:                             ;   in Loop: Header=BB4_4885 Depth=2
	v_bfe_u32 v49, v102, 23, 1
; %bb.5415:                             ;   in Loop: Header=BB4_4885 Depth=2
	s_or_b32 exec_lo, exec_lo, s12
	v_lshrrev_b32_e32 v102, 20, v102
	v_cmp_gt_i32_e32 vcc_lo, 16, v49
	v_min_i32_e32 v115, 15, v49
	v_and_b32_sdwa v51, v51, v85 dst_sel:DWORD dst_unused:UNUSED_PAD src0_sel:BYTE_3 src1_sel:DWORD
	v_cndmask_b32_e32 v102, 7, v102, vcc_lo
	v_lshlrev_b32_e32 v115, 3, v115
	v_and_b32_e32 v119, 7, v102
	v_or_b32_e32 v49, v49, v102
	v_or3_b32 v51, v115, v51, v119
	v_cmp_ne_u32_e32 vcc_lo, 0, v49
	v_cndmask_b32_e32 v49, 0, v51, vcc_lo
.LBB4_5416:                             ;   in Loop: Header=BB4_4885 Depth=2
	s_or_b32 exec_lo, exec_lo, s28
.LBB4_5417:                             ;   in Loop: Header=BB4_4885 Depth=2
	s_or_b32 exec_lo, exec_lo, s27
	v_cmp_gt_i16_sdwa s27, v17, v84 src0_sel:BYTE_0 src1_sel:DWORD
	s_mov_b32 s12, 0
	s_and_saveexec_b32 s28, s27
	s_xor_b32 s27, exec_lo, s28
	s_cbranch_execz .LBB4_5527
; %bb.5418:                             ;   in Loop: Header=BB4_4885 Depth=2
	v_cmp_eq_u16_sdwa s29, v17, v85 src0_sel:BYTE_0 src1_sel:DWORD
	s_mov_b32 s12, -1
	s_and_saveexec_b32 s28, s29
; %bb.5419:                             ;   in Loop: Header=BB4_4885 Depth=2
	s_xor_b32 s12, exec_lo, -1
; %bb.5420:                             ;   in Loop: Header=BB4_4885 Depth=2
	s_or_b32 exec_lo, exec_lo, s28
	s_and_b32 s12, s12, exec_lo
	s_or_saveexec_b32 s27, s27
	v_mov_b32_e32 v51, 0x7f800001
	s_xor_b32 exec_lo, exec_lo, s27
	s_cbranch_execnz .LBB4_5528
.LBB4_5421:                             ;   in Loop: Header=BB4_4885 Depth=2
	s_or_b32 exec_lo, exec_lo, s27
	s_and_saveexec_b32 s27, s12
	s_cbranch_execz .LBB4_5423
.LBB4_5422:                             ;   in Loop: Header=BB4_4885 Depth=2
	v_and_b32_e32 v51, 7, v17
	v_lshrrev_b16 v115, 3, v17
	v_ffbh_u32_e32 v102, v51
	v_and_b32_e32 v115, 15, v115
	v_min_u32_e32 v102, 32, v102
	v_cmp_eq_u32_e32 vcc_lo, 0, v115
	v_subrev_nc_u32_e32 v119, 28, v102
	v_sub_nc_u32_e32 v102, 29, v102
	v_lshlrev_b32_e32 v119, v119, v17
	v_lshlrev_b32_e32 v17, 24, v17
	v_cndmask_b32_e32 v102, v115, v102, vcc_lo
	v_and_b32_e32 v119, 7, v119
	v_and_b32_e32 v17, 0x80000000, v17
	v_lshl_add_u32 v102, v102, 23, 0x3b800000
	v_cndmask_b32_e32 v51, v51, v119, vcc_lo
	v_lshlrev_b32_e32 v51, 20, v51
	v_or3_b32 v51, v17, v102, v51
.LBB4_5423:                             ;   in Loop: Header=BB4_4885 Depth=2
	s_or_b32 exec_lo, exec_lo, s27
	s_waitcnt vmcnt(0) lgkmcnt(0)
	v_cmp_gt_i16_sdwa s27, v16, v84 src0_sel:BYTE_0 src1_sel:DWORD
	s_mov_b32 s12, 0
	s_and_saveexec_b32 s28, s27
	s_xor_b32 s27, exec_lo, s28
	s_cbranch_execz .LBB4_5529
; %bb.5424:                             ;   in Loop: Header=BB4_4885 Depth=2
	v_cmp_eq_u16_sdwa s29, v16, v85 src0_sel:BYTE_0 src1_sel:DWORD
	s_mov_b32 s12, -1
	s_and_saveexec_b32 s28, s29
; %bb.5425:                             ;   in Loop: Header=BB4_4885 Depth=2
	s_xor_b32 s12, exec_lo, -1
; %bb.5426:                             ;   in Loop: Header=BB4_4885 Depth=2
	s_or_b32 exec_lo, exec_lo, s28
	s_and_b32 s12, s12, exec_lo
	s_or_saveexec_b32 s27, s27
	v_mov_b32_e32 v17, 0x7f800001
	s_xor_b32 exec_lo, exec_lo, s27
	s_cbranch_execnz .LBB4_5530
.LBB4_5427:                             ;   in Loop: Header=BB4_4885 Depth=2
	s_or_b32 exec_lo, exec_lo, s27
	s_and_saveexec_b32 s27, s12
	s_cbranch_execz .LBB4_5429
.LBB4_5428:                             ;   in Loop: Header=BB4_4885 Depth=2
	v_and_b32_e32 v17, 7, v16
	v_lshrrev_b16 v115, 3, v16
	v_ffbh_u32_e32 v102, v17
	v_and_b32_e32 v115, 15, v115
	v_min_u32_e32 v102, 32, v102
	v_cmp_eq_u32_e32 vcc_lo, 0, v115
	v_subrev_nc_u32_e32 v119, 28, v102
	v_sub_nc_u32_e32 v102, 29, v102
	v_lshlrev_b32_e32 v119, v119, v16
	v_lshlrev_b32_e32 v16, 24, v16
	v_cndmask_b32_e32 v102, v115, v102, vcc_lo
	v_and_b32_e32 v119, 7, v119
	v_and_b32_e32 v16, 0x80000000, v16
	v_lshl_add_u32 v102, v102, 23, 0x3b800000
	v_cndmask_b32_e32 v17, v17, v119, vcc_lo
	v_lshlrev_b32_e32 v17, 20, v17
	v_or3_b32 v17, v16, v102, v17
.LBB4_5429:                             ;   in Loop: Header=BB4_4885 Depth=2
	s_or_b32 exec_lo, exec_lo, s27
	v_add_f32_e32 v17, v51, v17
	v_and_b32_e32 v16, 0x7f800000, v17
	v_cmp_ne_u32_e32 vcc_lo, 0x7f800000, v16
	v_mov_b32_e32 v16, 0x80
	s_and_saveexec_b32 s27, vcc_lo
	s_cbranch_execz .LBB4_4884
; %bb.5430:                             ;   in Loop: Header=BB4_4885 Depth=2
	v_mov_b32_e32 v16, 0
	s_mov_b32 s28, exec_lo
	v_cmpx_ne_u32_e32 0, v17
	s_cbranch_execz .LBB4_4883
; %bb.5431:                             ;   in Loop: Header=BB4_4885 Depth=2
	v_bfe_u32 v16, v17, 23, 8
	v_and_b32_e32 v51, 0x7fffff, v17
	v_sub_nc_u32_e32 v102, 0x78, v16
	v_cmp_gt_u32_e32 vcc_lo, 0x79, v16
	v_or_b32_e32 v115, 0x800000, v51
	v_cndmask_b32_e32 v102, 0, v102, vcc_lo
	v_cmp_eq_u32_e32 vcc_lo, 0, v16
	v_add_nc_u32_e32 v16, 0xffffff89, v16
	v_cndmask_b32_e64 v102, v102, 0x77, vcc_lo
	v_cndmask_b32_e32 v51, v115, v51, vcc_lo
	v_cndmask_b32_e64 v16, v16, 0xffffff8a, vcc_lo
	v_lshl_add_u32 v115, 0x100000, v102, -1
	v_lshrrev_b32_e32 v119, v102, v51
	v_lshlrev_b32_e64 v41, v102, 0x80000
	v_add_nc_u32_e32 v102, v102, v16
	v_and_b32_e32 v51, v115, v51
	v_bfe_u32 v40, v119, 20, 1
	v_cmp_eq_u32_e64 s12, v51, v41
	v_add_nc_u32_e32 v115, -1, v40
	v_cndmask_b32_e64 v51, 0, v115, s12
	v_lshrrev_b32_e32 v115, 23, v119
	s_mov_b32 s12, exec_lo
	v_add_nc_u32_e32 v51, v51, v119
	v_xor_b32_e32 v115, 1, v115
	v_and_b32_e32 v16, 0xfffff, v51
	v_add_nc_u32_e32 v51, v16, v119
                                        ; implicit-def: $vgpr16
	v_cmpx_ne_u32_e64 v102, v115
	s_xor_b32 s12, exec_lo, s12
; %bb.5432:                             ;   in Loop: Header=BB4_4885 Depth=2
	v_cmp_lt_u32_e32 vcc_lo, 0xffffff, v51
	v_sub_nc_u32_e32 v16, v102, v115
	v_cndmask_b32_e64 v102, 0, 1, vcc_lo
	v_add_co_ci_u32_e64 v16, null, 0, v16, vcc_lo
	v_lshrrev_b32_e32 v51, v102, v51
; %bb.5433:                             ;   in Loop: Header=BB4_4885 Depth=2
	s_andn2_saveexec_b32 s12, s12
	s_cbranch_execz .LBB4_4882
; %bb.5434:                             ;   in Loop: Header=BB4_4885 Depth=2
	v_bfe_u32 v16, v51, 23, 1
	s_branch .LBB4_4882
.LBB4_5435:                             ;   in Loop: Header=BB4_4885 Depth=2
	s_or_saveexec_b32 s27, s27
	v_mov_b32_e32 v48, 0x7f800001
	s_xor_b32 exec_lo, exec_lo, s27
	s_cbranch_execz .LBB4_4897
.LBB4_5436:                             ;   in Loop: Header=BB4_4885 Depth=2
	v_cmp_ne_u16_e32 vcc_lo, 0, v16
	v_mov_b32_e32 v48, 0
	s_andn2_b32 s12, s12, exec_lo
	s_and_b32 s28, vcc_lo, exec_lo
	s_or_b32 s12, s12, s28
	s_or_b32 exec_lo, exec_lo, s27
	s_and_saveexec_b32 s27, s12
	s_cbranch_execnz .LBB4_4898
	s_branch .LBB4_4899
.LBB4_5437:                             ;   in Loop: Header=BB4_4885 Depth=2
	s_or_saveexec_b32 s27, s27
	v_mov_b32_e32 v49, 0x7f800001
	s_xor_b32 exec_lo, exec_lo, s27
	s_cbranch_execz .LBB4_4911
.LBB4_5438:                             ;   in Loop: Header=BB4_4885 Depth=2
	v_cmp_ne_u16_e32 vcc_lo, 0, v16
	v_mov_b32_e32 v49, 0
	s_andn2_b32 s12, s12, exec_lo
	s_and_b32 s28, vcc_lo, exec_lo
	s_or_b32 s12, s12, s28
	s_or_b32 exec_lo, exec_lo, s27
	s_and_saveexec_b32 s27, s12
	s_cbranch_execnz .LBB4_4912
	s_branch .LBB4_4913
.LBB4_5439:                             ;   in Loop: Header=BB4_4885 Depth=2
	s_or_saveexec_b32 s27, s27
	v_mov_b32_e32 v49, 0x7f800001
	s_xor_b32 exec_lo, exec_lo, s27
	s_cbranch_execz .LBB4_4925
.LBB4_5440:                             ;   in Loop: Header=BB4_4885 Depth=2
	v_cmp_ne_u16_e32 vcc_lo, 0, v16
	v_mov_b32_e32 v49, 0
	s_andn2_b32 s12, s12, exec_lo
	s_and_b32 s28, vcc_lo, exec_lo
	s_or_b32 s12, s12, s28
	s_or_b32 exec_lo, exec_lo, s27
	s_and_saveexec_b32 s27, s12
	s_cbranch_execnz .LBB4_4926
	s_branch .LBB4_4927
.LBB4_5441:                             ;   in Loop: Header=BB4_4885 Depth=2
	s_or_saveexec_b32 s27, s27
	v_mov_b32_e32 v49, 0x7f800001
	s_xor_b32 exec_lo, exec_lo, s27
	s_cbranch_execz .LBB4_4939
.LBB4_5442:                             ;   in Loop: Header=BB4_4885 Depth=2
	v_cmp_ne_u16_e32 vcc_lo, 0, v16
	v_mov_b32_e32 v49, 0
	s_andn2_b32 s12, s12, exec_lo
	s_and_b32 s28, vcc_lo, exec_lo
	s_or_b32 s12, s12, s28
	s_or_b32 exec_lo, exec_lo, s27
	s_and_saveexec_b32 s27, s12
	s_cbranch_execnz .LBB4_4940
	s_branch .LBB4_4941
.LBB4_5443:                             ;   in Loop: Header=BB4_4885 Depth=2
	s_or_saveexec_b32 s27, s27
	v_mov_b32_e32 v49, 0x7f800001
	s_xor_b32 exec_lo, exec_lo, s27
	s_cbranch_execz .LBB4_4953
.LBB4_5444:                             ;   in Loop: Header=BB4_4885 Depth=2
	v_cmp_ne_u16_e32 vcc_lo, 0, v16
	v_mov_b32_e32 v49, 0
	s_andn2_b32 s12, s12, exec_lo
	s_and_b32 s28, vcc_lo, exec_lo
	s_or_b32 s12, s12, s28
	s_or_b32 exec_lo, exec_lo, s27
	s_and_saveexec_b32 s27, s12
	s_cbranch_execnz .LBB4_4954
	s_branch .LBB4_4955
.LBB4_5445:                             ;   in Loop: Header=BB4_4885 Depth=2
	s_or_saveexec_b32 s27, s27
	v_mov_b32_e32 v49, 0x7f800001
	s_xor_b32 exec_lo, exec_lo, s27
	s_cbranch_execz .LBB4_4967
.LBB4_5446:                             ;   in Loop: Header=BB4_4885 Depth=2
	v_cmp_ne_u16_e32 vcc_lo, 0, v16
	v_mov_b32_e32 v49, 0
	s_andn2_b32 s12, s12, exec_lo
	s_and_b32 s28, vcc_lo, exec_lo
	s_or_b32 s12, s12, s28
	s_or_b32 exec_lo, exec_lo, s27
	s_and_saveexec_b32 s27, s12
	s_cbranch_execnz .LBB4_4968
	s_branch .LBB4_4969
.LBB4_5447:                             ;   in Loop: Header=BB4_4885 Depth=2
	s_or_saveexec_b32 s27, s27
	v_mov_b32_e32 v49, 0x7f800001
	s_xor_b32 exec_lo, exec_lo, s27
	s_cbranch_execz .LBB4_4981
.LBB4_5448:                             ;   in Loop: Header=BB4_4885 Depth=2
	v_cmp_ne_u16_e32 vcc_lo, 0, v16
	v_mov_b32_e32 v49, 0
	s_andn2_b32 s12, s12, exec_lo
	s_and_b32 s28, vcc_lo, exec_lo
	s_or_b32 s12, s12, s28
	s_or_b32 exec_lo, exec_lo, s27
	s_and_saveexec_b32 s27, s12
	s_cbranch_execnz .LBB4_4982
	s_branch .LBB4_4983
.LBB4_5449:                             ;   in Loop: Header=BB4_4885 Depth=2
	s_or_saveexec_b32 s27, s27
	v_mov_b32_e32 v49, 0x7f800001
	s_xor_b32 exec_lo, exec_lo, s27
	s_cbranch_execz .LBB4_4995
.LBB4_5450:                             ;   in Loop: Header=BB4_4885 Depth=2
	v_cmp_ne_u16_e32 vcc_lo, 0, v16
	v_mov_b32_e32 v49, 0
	s_andn2_b32 s12, s12, exec_lo
	s_and_b32 s28, vcc_lo, exec_lo
	s_or_b32 s12, s12, s28
	s_or_b32 exec_lo, exec_lo, s27
	s_and_saveexec_b32 s27, s12
	s_cbranch_execnz .LBB4_4996
	s_branch .LBB4_4997
.LBB4_5451:                             ;   in Loop: Header=BB4_4885 Depth=2
	s_or_saveexec_b32 s27, s27
	v_mov_b32_e32 v49, 0x7f800001
	s_xor_b32 exec_lo, exec_lo, s27
	s_cbranch_execz .LBB4_5009
.LBB4_5452:                             ;   in Loop: Header=BB4_4885 Depth=2
	v_cmp_ne_u16_e32 vcc_lo, 0, v16
	v_mov_b32_e32 v49, 0
	s_andn2_b32 s12, s12, exec_lo
	s_and_b32 s28, vcc_lo, exec_lo
	s_or_b32 s12, s12, s28
	s_or_b32 exec_lo, exec_lo, s27
	s_and_saveexec_b32 s27, s12
	s_cbranch_execnz .LBB4_5010
	s_branch .LBB4_5011
.LBB4_5453:                             ;   in Loop: Header=BB4_4885 Depth=2
	s_or_saveexec_b32 s27, s27
	v_mov_b32_e32 v49, 0x7f800001
	s_xor_b32 exec_lo, exec_lo, s27
	s_cbranch_execz .LBB4_5023
.LBB4_5454:                             ;   in Loop: Header=BB4_4885 Depth=2
	v_cmp_ne_u16_e32 vcc_lo, 0, v16
	v_mov_b32_e32 v49, 0
	s_andn2_b32 s12, s12, exec_lo
	s_and_b32 s28, vcc_lo, exec_lo
	s_or_b32 s12, s12, s28
	s_or_b32 exec_lo, exec_lo, s27
	s_and_saveexec_b32 s27, s12
	s_cbranch_execnz .LBB4_5024
	s_branch .LBB4_5025
.LBB4_5455:                             ;   in Loop: Header=BB4_4885 Depth=2
	s_or_saveexec_b32 s27, s27
	v_mov_b32_e32 v49, 0x7f800001
	s_xor_b32 exec_lo, exec_lo, s27
	s_cbranch_execz .LBB4_5037
.LBB4_5456:                             ;   in Loop: Header=BB4_4885 Depth=2
	v_cmp_ne_u16_e32 vcc_lo, 0, v16
	v_mov_b32_e32 v49, 0
	s_andn2_b32 s12, s12, exec_lo
	s_and_b32 s28, vcc_lo, exec_lo
	s_or_b32 s12, s12, s28
	s_or_b32 exec_lo, exec_lo, s27
	s_and_saveexec_b32 s27, s12
	s_cbranch_execnz .LBB4_5038
	s_branch .LBB4_5039
.LBB4_5457:                             ;   in Loop: Header=BB4_4885 Depth=2
	s_or_saveexec_b32 s27, s27
	v_mov_b32_e32 v49, 0x7f800001
	s_xor_b32 exec_lo, exec_lo, s27
	s_cbranch_execz .LBB4_5051
.LBB4_5458:                             ;   in Loop: Header=BB4_4885 Depth=2
	v_cmp_ne_u16_e32 vcc_lo, 0, v16
	v_mov_b32_e32 v49, 0
	s_andn2_b32 s12, s12, exec_lo
	s_and_b32 s28, vcc_lo, exec_lo
	s_or_b32 s12, s12, s28
	s_or_b32 exec_lo, exec_lo, s27
	s_and_saveexec_b32 s27, s12
	s_cbranch_execnz .LBB4_5052
	s_branch .LBB4_5053
.LBB4_5459:                             ;   in Loop: Header=BB4_4885 Depth=2
	s_or_saveexec_b32 s27, s27
	v_mov_b32_e32 v49, 0x7f800001
	s_xor_b32 exec_lo, exec_lo, s27
	s_cbranch_execz .LBB4_5065
.LBB4_5460:                             ;   in Loop: Header=BB4_4885 Depth=2
	v_cmp_ne_u16_e32 vcc_lo, 0, v16
	v_mov_b32_e32 v49, 0
	s_andn2_b32 s12, s12, exec_lo
	s_and_b32 s28, vcc_lo, exec_lo
	s_or_b32 s12, s12, s28
	s_or_b32 exec_lo, exec_lo, s27
	s_and_saveexec_b32 s27, s12
	s_cbranch_execnz .LBB4_5066
	s_branch .LBB4_5067
.LBB4_5461:                             ;   in Loop: Header=BB4_4885 Depth=2
	s_or_saveexec_b32 s27, s27
	v_mov_b32_e32 v49, 0x7f800001
	s_xor_b32 exec_lo, exec_lo, s27
	s_cbranch_execz .LBB4_5079
.LBB4_5462:                             ;   in Loop: Header=BB4_4885 Depth=2
	v_cmp_ne_u16_e32 vcc_lo, 0, v16
	v_mov_b32_e32 v49, 0
	s_andn2_b32 s12, s12, exec_lo
	s_and_b32 s28, vcc_lo, exec_lo
	s_or_b32 s12, s12, s28
	s_or_b32 exec_lo, exec_lo, s27
	s_and_saveexec_b32 s27, s12
	s_cbranch_execnz .LBB4_5080
	s_branch .LBB4_5081
.LBB4_5463:                             ;   in Loop: Header=BB4_4885 Depth=2
	s_or_saveexec_b32 s27, s27
	v_mov_b32_e32 v49, 0x7f800001
	s_xor_b32 exec_lo, exec_lo, s27
	s_cbranch_execz .LBB4_5093
.LBB4_5464:                             ;   in Loop: Header=BB4_4885 Depth=2
	v_cmp_ne_u16_e32 vcc_lo, 0, v16
	v_mov_b32_e32 v49, 0
	s_andn2_b32 s12, s12, exec_lo
	s_and_b32 s28, vcc_lo, exec_lo
	s_or_b32 s12, s12, s28
	s_or_b32 exec_lo, exec_lo, s27
	s_and_saveexec_b32 s27, s12
	s_cbranch_execnz .LBB4_5094
	s_branch .LBB4_5095
.LBB4_5465:                             ;   in Loop: Header=BB4_4885 Depth=2
	s_or_saveexec_b32 s27, s27
	v_mov_b32_e32 v51, 0x7f800001
	s_xor_b32 exec_lo, exec_lo, s27
	s_cbranch_execz .LBB4_5107
.LBB4_5466:                             ;   in Loop: Header=BB4_4885 Depth=2
	v_cmp_ne_u16_e32 vcc_lo, 0, v16
	v_mov_b32_e32 v51, 0
	s_andn2_b32 s12, s12, exec_lo
	s_and_b32 s28, vcc_lo, exec_lo
	s_or_b32 s12, s12, s28
	s_or_b32 exec_lo, exec_lo, s27
	s_and_saveexec_b32 s27, s12
	s_cbranch_execnz .LBB4_5108
	s_branch .LBB4_5109
.LBB4_5467:                             ;   in Loop: Header=BB4_4885 Depth=2
	s_or_saveexec_b32 s27, s27
	v_mov_b32_e32 v59, 0x7f800001
	s_xor_b32 exec_lo, exec_lo, s27
	s_cbranch_execz .LBB4_5121
.LBB4_5468:                             ;   in Loop: Header=BB4_4885 Depth=2
	v_cmp_ne_u16_sdwa s28, v48, v35 src0_sel:BYTE_0 src1_sel:DWORD
	v_mov_b32_e32 v59, 0
	s_andn2_b32 s12, s12, exec_lo
	s_and_b32 s28, s28, exec_lo
	s_or_b32 s12, s12, s28
	s_or_b32 exec_lo, exec_lo, s27
	s_and_saveexec_b32 s27, s12
	s_cbranch_execnz .LBB4_5122
	s_branch .LBB4_5123
.LBB4_5469:                             ;   in Loop: Header=BB4_4885 Depth=2
	s_or_saveexec_b32 s27, s27
	v_mov_b32_e32 v48, 0x7f800001
	s_xor_b32 exec_lo, exec_lo, s27
	s_cbranch_execz .LBB4_5127
.LBB4_5470:                             ;   in Loop: Header=BB4_4885 Depth=2
	v_cmp_ne_u16_sdwa s28, v58, v35 src0_sel:BYTE_0 src1_sel:DWORD
	v_mov_b32_e32 v48, 0
	s_andn2_b32 s12, s12, exec_lo
	s_and_b32 s28, s28, exec_lo
	s_or_b32 s12, s12, s28
	s_or_b32 exec_lo, exec_lo, s27
	s_and_saveexec_b32 s27, s12
	s_cbranch_execnz .LBB4_5128
	s_branch .LBB4_5129
.LBB4_5471:                             ;   in Loop: Header=BB4_4885 Depth=2
	s_or_saveexec_b32 s27, s27
	v_mov_b32_e32 v58, 0x7f800001
	s_xor_b32 exec_lo, exec_lo, s27
	s_cbranch_execz .LBB4_5141
.LBB4_5472:                             ;   in Loop: Header=BB4_4885 Depth=2
	v_cmp_ne_u16_sdwa s28, v99, v35 src0_sel:BYTE_0 src1_sel:DWORD
	v_mov_b32_e32 v58, 0
	s_andn2_b32 s12, s12, exec_lo
	s_and_b32 s28, s28, exec_lo
	s_or_b32 s12, s12, s28
	s_or_b32 exec_lo, exec_lo, s27
	s_and_saveexec_b32 s27, s12
	s_cbranch_execnz .LBB4_5142
	s_branch .LBB4_5143
.LBB4_5473:                             ;   in Loop: Header=BB4_4885 Depth=2
	s_or_saveexec_b32 s27, s27
	v_mov_b32_e32 v99, 0x7f800001
	s_xor_b32 exec_lo, exec_lo, s27
	s_cbranch_execz .LBB4_5147
.LBB4_5474:                             ;   in Loop: Header=BB4_4885 Depth=2
	v_cmp_ne_u16_sdwa s28, v57, v35 src0_sel:BYTE_0 src1_sel:DWORD
	v_mov_b32_e32 v99, 0
	s_andn2_b32 s12, s12, exec_lo
	s_and_b32 s28, s28, exec_lo
	s_or_b32 s12, s12, s28
	s_or_b32 exec_lo, exec_lo, s27
	s_and_saveexec_b32 s27, s12
	s_cbranch_execnz .LBB4_5148
	s_branch .LBB4_5149
.LBB4_5475:                             ;   in Loop: Header=BB4_4885 Depth=2
	s_or_saveexec_b32 s27, s27
	v_mov_b32_e32 v57, 0x7f800001
	s_xor_b32 exec_lo, exec_lo, s27
	s_cbranch_execz .LBB4_5161
.LBB4_5476:                             ;   in Loop: Header=BB4_4885 Depth=2
	v_cmp_ne_u16_sdwa s28, v112, v35 src0_sel:BYTE_0 src1_sel:DWORD
	v_mov_b32_e32 v57, 0
	s_andn2_b32 s12, s12, exec_lo
	s_and_b32 s28, s28, exec_lo
	s_or_b32 s12, s12, s28
	s_or_b32 exec_lo, exec_lo, s27
	s_and_saveexec_b32 s27, s12
	s_cbranch_execnz .LBB4_5162
	s_branch .LBB4_5163
.LBB4_5477:                             ;   in Loop: Header=BB4_4885 Depth=2
	s_or_saveexec_b32 s27, s27
	v_mov_b32_e32 v112, 0x7f800001
	s_xor_b32 exec_lo, exec_lo, s27
	s_cbranch_execz .LBB4_5167
.LBB4_5478:                             ;   in Loop: Header=BB4_4885 Depth=2
	v_cmp_ne_u16_sdwa s28, v56, v35 src0_sel:BYTE_0 src1_sel:DWORD
	v_mov_b32_e32 v112, 0
	s_andn2_b32 s12, s12, exec_lo
	s_and_b32 s28, s28, exec_lo
	s_or_b32 s12, s12, s28
	s_or_b32 exec_lo, exec_lo, s27
	s_and_saveexec_b32 s27, s12
	s_cbranch_execnz .LBB4_5168
	s_branch .LBB4_5169
.LBB4_5479:                             ;   in Loop: Header=BB4_4885 Depth=2
	s_or_saveexec_b32 s27, s27
	v_mov_b32_e32 v56, 0x7f800001
	s_xor_b32 exec_lo, exec_lo, s27
	s_cbranch_execz .LBB4_5181
.LBB4_5480:                             ;   in Loop: Header=BB4_4885 Depth=2
	v_cmp_ne_u16_sdwa s28, v117, v35 src0_sel:BYTE_0 src1_sel:DWORD
	v_mov_b32_e32 v56, 0
	s_andn2_b32 s12, s12, exec_lo
	s_and_b32 s28, s28, exec_lo
	s_or_b32 s12, s12, s28
	s_or_b32 exec_lo, exec_lo, s27
	s_and_saveexec_b32 s27, s12
	s_cbranch_execnz .LBB4_5182
	s_branch .LBB4_5183
.LBB4_5481:                             ;   in Loop: Header=BB4_4885 Depth=2
	s_or_saveexec_b32 s27, s27
	v_mov_b32_e32 v117, 0x7f800001
	s_xor_b32 exec_lo, exec_lo, s27
	s_cbranch_execz .LBB4_5187
.LBB4_5482:                             ;   in Loop: Header=BB4_4885 Depth=2
	v_cmp_ne_u16_sdwa s28, v47, v35 src0_sel:BYTE_0 src1_sel:DWORD
	v_mov_b32_e32 v117, 0
	s_andn2_b32 s12, s12, exec_lo
	s_and_b32 s28, s28, exec_lo
	s_or_b32 s12, s12, s28
	s_or_b32 exec_lo, exec_lo, s27
	s_and_saveexec_b32 s27, s12
	s_cbranch_execnz .LBB4_5188
	s_branch .LBB4_5189
.LBB4_5483:                             ;   in Loop: Header=BB4_4885 Depth=2
	s_or_saveexec_b32 s27, s27
	v_mov_b32_e32 v47, 0x7f800001
	s_xor_b32 exec_lo, exec_lo, s27
	s_cbranch_execz .LBB4_5201
.LBB4_5484:                             ;   in Loop: Header=BB4_4885 Depth=2
	v_cmp_ne_u16_sdwa s28, v118, v35 src0_sel:BYTE_0 src1_sel:DWORD
	v_mov_b32_e32 v47, 0
	s_andn2_b32 s12, s12, exec_lo
	s_and_b32 s28, s28, exec_lo
	s_or_b32 s12, s12, s28
	s_or_b32 exec_lo, exec_lo, s27
	s_and_saveexec_b32 s27, s12
	s_cbranch_execnz .LBB4_5202
	s_branch .LBB4_5203
.LBB4_5485:                             ;   in Loop: Header=BB4_4885 Depth=2
	s_or_saveexec_b32 s27, s27
	v_mov_b32_e32 v118, 0x7f800001
	s_xor_b32 exec_lo, exec_lo, s27
	s_cbranch_execz .LBB4_5207
.LBB4_5486:                             ;   in Loop: Header=BB4_4885 Depth=2
	v_cmp_ne_u16_sdwa s28, v46, v35 src0_sel:BYTE_0 src1_sel:DWORD
	v_mov_b32_e32 v118, 0
	s_andn2_b32 s12, s12, exec_lo
	s_and_b32 s28, s28, exec_lo
	s_or_b32 s12, s12, s28
	s_or_b32 exec_lo, exec_lo, s27
	s_and_saveexec_b32 s27, s12
	s_cbranch_execnz .LBB4_5208
	s_branch .LBB4_5209
.LBB4_5487:                             ;   in Loop: Header=BB4_4885 Depth=2
	s_or_saveexec_b32 s27, s27
	v_mov_b32_e32 v46, 0x7f800001
	s_xor_b32 exec_lo, exec_lo, s27
	s_cbranch_execz .LBB4_5221
.LBB4_5488:                             ;   in Loop: Header=BB4_4885 Depth=2
	v_cmp_ne_u16_sdwa s28, v116, v35 src0_sel:BYTE_0 src1_sel:DWORD
	v_mov_b32_e32 v46, 0
	s_andn2_b32 s12, s12, exec_lo
	s_and_b32 s28, s28, exec_lo
	s_or_b32 s12, s12, s28
	s_or_b32 exec_lo, exec_lo, s27
	s_and_saveexec_b32 s27, s12
	s_cbranch_execnz .LBB4_5222
	s_branch .LBB4_5223
.LBB4_5489:                             ;   in Loop: Header=BB4_4885 Depth=2
	s_or_saveexec_b32 s27, s27
	v_mov_b32_e32 v116, 0x7f800001
	s_xor_b32 exec_lo, exec_lo, s27
	s_cbranch_execz .LBB4_5227
.LBB4_5490:                             ;   in Loop: Header=BB4_4885 Depth=2
	v_cmp_ne_u16_sdwa s28, v45, v35 src0_sel:BYTE_0 src1_sel:DWORD
	v_mov_b32_e32 v116, 0
	s_andn2_b32 s12, s12, exec_lo
	s_and_b32 s28, s28, exec_lo
	s_or_b32 s12, s12, s28
	s_or_b32 exec_lo, exec_lo, s27
	s_and_saveexec_b32 s27, s12
	s_cbranch_execnz .LBB4_5228
	s_branch .LBB4_5229
.LBB4_5491:                             ;   in Loop: Header=BB4_4885 Depth=2
	s_or_saveexec_b32 s27, s27
	v_mov_b32_e32 v45, 0x7f800001
	s_xor_b32 exec_lo, exec_lo, s27
	s_cbranch_execz .LBB4_5241
.LBB4_5492:                             ;   in Loop: Header=BB4_4885 Depth=2
	v_cmp_ne_u16_sdwa s28, v114, v35 src0_sel:BYTE_0 src1_sel:DWORD
	v_mov_b32_e32 v45, 0
	s_andn2_b32 s12, s12, exec_lo
	s_and_b32 s28, s28, exec_lo
	s_or_b32 s12, s12, s28
	s_or_b32 exec_lo, exec_lo, s27
	s_and_saveexec_b32 s27, s12
	s_cbranch_execnz .LBB4_5242
	s_branch .LBB4_5243
.LBB4_5493:                             ;   in Loop: Header=BB4_4885 Depth=2
	s_or_saveexec_b32 s27, s27
	v_mov_b32_e32 v114, 0x7f800001
	s_xor_b32 exec_lo, exec_lo, s27
	s_cbranch_execz .LBB4_5247
.LBB4_5494:                             ;   in Loop: Header=BB4_4885 Depth=2
	v_cmp_ne_u16_sdwa s28, v44, v35 src0_sel:BYTE_0 src1_sel:DWORD
	v_mov_b32_e32 v114, 0
	s_andn2_b32 s12, s12, exec_lo
	s_and_b32 s28, s28, exec_lo
	s_or_b32 s12, s12, s28
	s_or_b32 exec_lo, exec_lo, s27
	s_and_saveexec_b32 s27, s12
	s_cbranch_execnz .LBB4_5248
	s_branch .LBB4_5249
.LBB4_5495:                             ;   in Loop: Header=BB4_4885 Depth=2
	s_or_saveexec_b32 s27, s27
	v_mov_b32_e32 v44, 0x7f800001
	s_xor_b32 exec_lo, exec_lo, s27
	s_cbranch_execz .LBB4_5261
.LBB4_5496:                             ;   in Loop: Header=BB4_4885 Depth=2
	v_cmp_ne_u16_sdwa s28, v113, v35 src0_sel:BYTE_0 src1_sel:DWORD
	v_mov_b32_e32 v44, 0
	s_andn2_b32 s12, s12, exec_lo
	s_and_b32 s28, s28, exec_lo
	s_or_b32 s12, s12, s28
	s_or_b32 exec_lo, exec_lo, s27
	s_and_saveexec_b32 s27, s12
	s_cbranch_execnz .LBB4_5262
	s_branch .LBB4_5263
.LBB4_5497:                             ;   in Loop: Header=BB4_4885 Depth=2
	s_or_saveexec_b32 s27, s27
	v_mov_b32_e32 v113, 0x7f800001
	s_xor_b32 exec_lo, exec_lo, s27
	s_cbranch_execz .LBB4_5267
.LBB4_5498:                             ;   in Loop: Header=BB4_4885 Depth=2
	v_cmp_ne_u16_sdwa s28, v43, v35 src0_sel:BYTE_0 src1_sel:DWORD
	v_mov_b32_e32 v113, 0
	s_andn2_b32 s12, s12, exec_lo
	s_and_b32 s28, s28, exec_lo
	s_or_b32 s12, s12, s28
	s_or_b32 exec_lo, exec_lo, s27
	s_and_saveexec_b32 s27, s12
	s_cbranch_execnz .LBB4_5268
	s_branch .LBB4_5269
.LBB4_5499:                             ;   in Loop: Header=BB4_4885 Depth=2
	s_or_saveexec_b32 s27, s27
	v_mov_b32_e32 v43, 0x7f800001
	s_xor_b32 exec_lo, exec_lo, s27
	s_cbranch_execz .LBB4_5281
.LBB4_5500:                             ;   in Loop: Header=BB4_4885 Depth=2
	v_cmp_ne_u16_sdwa s28, v103, v35 src0_sel:BYTE_0 src1_sel:DWORD
	v_mov_b32_e32 v43, 0
	s_andn2_b32 s12, s12, exec_lo
	s_and_b32 s28, s28, exec_lo
	s_or_b32 s12, s12, s28
	s_or_b32 exec_lo, exec_lo, s27
	s_and_saveexec_b32 s27, s12
	s_cbranch_execnz .LBB4_5282
	s_branch .LBB4_5283
.LBB4_5501:                             ;   in Loop: Header=BB4_4885 Depth=2
	s_or_saveexec_b32 s27, s27
	v_mov_b32_e32 v103, 0x7f800001
	s_xor_b32 exec_lo, exec_lo, s27
	s_cbranch_execz .LBB4_5287
.LBB4_5502:                             ;   in Loop: Header=BB4_4885 Depth=2
	v_cmp_ne_u16_sdwa s28, v42, v35 src0_sel:BYTE_0 src1_sel:DWORD
	v_mov_b32_e32 v103, 0
	s_andn2_b32 s12, s12, exec_lo
	s_and_b32 s28, s28, exec_lo
	s_or_b32 s12, s12, s28
	s_or_b32 exec_lo, exec_lo, s27
	s_and_saveexec_b32 s27, s12
	s_cbranch_execnz .LBB4_5288
	s_branch .LBB4_5289
.LBB4_5503:                             ;   in Loop: Header=BB4_4885 Depth=2
	s_or_saveexec_b32 s27, s27
	v_mov_b32_e32 v42, 0x7f800001
	s_xor_b32 exec_lo, exec_lo, s27
	s_cbranch_execz .LBB4_5301
.LBB4_5504:                             ;   in Loop: Header=BB4_4885 Depth=2
	v_cmp_ne_u16_sdwa s28, v101, v35 src0_sel:BYTE_0 src1_sel:DWORD
	v_mov_b32_e32 v42, 0
	s_andn2_b32 s12, s12, exec_lo
	s_and_b32 s28, s28, exec_lo
	s_or_b32 s12, s12, s28
	s_or_b32 exec_lo, exec_lo, s27
	s_and_saveexec_b32 s27, s12
	s_cbranch_execnz .LBB4_5302
	s_branch .LBB4_5303
.LBB4_5505:                             ;   in Loop: Header=BB4_4885 Depth=2
	s_or_saveexec_b32 s27, s27
	v_mov_b32_e32 v101, 0x7f800001
	s_xor_b32 exec_lo, exec_lo, s27
	s_cbranch_execz .LBB4_5307
.LBB4_5506:                             ;   in Loop: Header=BB4_4885 Depth=2
	v_cmp_ne_u16_sdwa s28, v41, v35 src0_sel:BYTE_0 src1_sel:DWORD
	v_mov_b32_e32 v101, 0
	s_andn2_b32 s12, s12, exec_lo
	s_and_b32 s28, s28, exec_lo
	s_or_b32 s12, s12, s28
	s_or_b32 exec_lo, exec_lo, s27
	s_and_saveexec_b32 s27, s12
	s_cbranch_execnz .LBB4_5308
	s_branch .LBB4_5309
.LBB4_5507:                             ;   in Loop: Header=BB4_4885 Depth=2
	s_or_saveexec_b32 s27, s27
	v_mov_b32_e32 v41, 0x7f800001
	s_xor_b32 exec_lo, exec_lo, s27
	s_cbranch_execz .LBB4_5321
.LBB4_5508:                             ;   in Loop: Header=BB4_4885 Depth=2
	v_cmp_ne_u16_sdwa s28, v100, v35 src0_sel:BYTE_0 src1_sel:DWORD
	v_mov_b32_e32 v41, 0
	s_andn2_b32 s12, s12, exec_lo
	s_and_b32 s28, s28, exec_lo
	s_or_b32 s12, s12, s28
	s_or_b32 exec_lo, exec_lo, s27
	s_and_saveexec_b32 s27, s12
	s_cbranch_execnz .LBB4_5322
	s_branch .LBB4_5323
.LBB4_5509:                             ;   in Loop: Header=BB4_4885 Depth=2
	s_or_saveexec_b32 s27, s27
	v_mov_b32_e32 v100, 0x7f800001
	s_xor_b32 exec_lo, exec_lo, s27
	s_cbranch_execz .LBB4_5327
.LBB4_5510:                             ;   in Loop: Header=BB4_4885 Depth=2
	v_cmp_ne_u16_sdwa s28, v40, v35 src0_sel:BYTE_0 src1_sel:DWORD
	v_mov_b32_e32 v100, 0
	s_andn2_b32 s12, s12, exec_lo
	s_and_b32 s28, s28, exec_lo
	s_or_b32 s12, s12, s28
	s_or_b32 exec_lo, exec_lo, s27
	s_and_saveexec_b32 s27, s12
	s_cbranch_execnz .LBB4_5328
	s_branch .LBB4_5329
.LBB4_5511:                             ;   in Loop: Header=BB4_4885 Depth=2
	s_or_saveexec_b32 s27, s27
	v_mov_b32_e32 v40, 0x7f800001
	s_xor_b32 exec_lo, exec_lo, s27
	s_cbranch_execz .LBB4_5341
.LBB4_5512:                             ;   in Loop: Header=BB4_4885 Depth=2
	v_cmp_ne_u16_sdwa s28, v98, v35 src0_sel:BYTE_0 src1_sel:DWORD
	v_mov_b32_e32 v40, 0
	s_andn2_b32 s12, s12, exec_lo
	s_and_b32 s28, s28, exec_lo
	s_or_b32 s12, s12, s28
	s_or_b32 exec_lo, exec_lo, s27
	s_and_saveexec_b32 s27, s12
	s_cbranch_execnz .LBB4_5342
	s_branch .LBB4_5343
.LBB4_5513:                             ;   in Loop: Header=BB4_4885 Depth=2
	s_or_saveexec_b32 s27, s27
	v_mov_b32_e32 v98, 0x7f800001
	s_xor_b32 exec_lo, exec_lo, s27
	s_cbranch_execz .LBB4_5347
.LBB4_5514:                             ;   in Loop: Header=BB4_4885 Depth=2
	v_cmp_ne_u16_sdwa s28, v119, v35 src0_sel:BYTE_0 src1_sel:DWORD
	v_mov_b32_e32 v98, 0
	s_andn2_b32 s12, s12, exec_lo
	s_and_b32 s28, s28, exec_lo
	s_or_b32 s12, s12, s28
	s_or_b32 exec_lo, exec_lo, s27
	s_and_saveexec_b32 s27, s12
	s_cbranch_execnz .LBB4_5348
	s_branch .LBB4_5349
.LBB4_5515:                             ;   in Loop: Header=BB4_4885 Depth=2
	s_or_saveexec_b32 s27, s27
	v_mov_b32_e32 v119, 0x7f800001
	s_xor_b32 exec_lo, exec_lo, s27
	s_cbranch_execz .LBB4_5361
.LBB4_5516:                             ;   in Loop: Header=BB4_4885 Depth=2
	v_cmp_ne_u16_sdwa s28, v65, v35 src0_sel:BYTE_0 src1_sel:DWORD
	v_mov_b32_e32 v119, 0
	s_andn2_b32 s12, s12, exec_lo
	s_and_b32 s28, s28, exec_lo
	s_or_b32 s12, s12, s28
	s_or_b32 exec_lo, exec_lo, s27
	s_and_saveexec_b32 s27, s12
	s_cbranch_execnz .LBB4_5362
	s_branch .LBB4_5363
.LBB4_5517:                             ;   in Loop: Header=BB4_4885 Depth=2
	s_or_saveexec_b32 s27, s27
	v_mov_b32_e32 v65, 0x7f800001
	s_xor_b32 exec_lo, exec_lo, s27
	s_cbranch_execz .LBB4_5367
.LBB4_5518:                             ;   in Loop: Header=BB4_4885 Depth=2
	v_cmp_ne_u16_sdwa s28, v115, v35 src0_sel:BYTE_0 src1_sel:DWORD
	v_mov_b32_e32 v65, 0
	s_andn2_b32 s12, s12, exec_lo
	s_and_b32 s28, s28, exec_lo
	s_or_b32 s12, s12, s28
	s_or_b32 exec_lo, exec_lo, s27
	s_and_saveexec_b32 s27, s12
	s_cbranch_execnz .LBB4_5368
	s_branch .LBB4_5369
.LBB4_5519:                             ;   in Loop: Header=BB4_4885 Depth=2
	s_or_saveexec_b32 s27, s27
	v_mov_b32_e32 v115, 0x7f800001
	s_xor_b32 exec_lo, exec_lo, s27
	s_cbranch_execz .LBB4_5381
.LBB4_5520:                             ;   in Loop: Header=BB4_4885 Depth=2
	v_cmp_ne_u16_sdwa s28, v50, v35 src0_sel:BYTE_0 src1_sel:DWORD
	v_mov_b32_e32 v115, 0
	s_andn2_b32 s12, s12, exec_lo
	s_and_b32 s28, s28, exec_lo
	s_or_b32 s12, s12, s28
	s_or_b32 exec_lo, exec_lo, s27
	s_and_saveexec_b32 s27, s12
	s_cbranch_execnz .LBB4_5382
	s_branch .LBB4_5383
.LBB4_5521:                             ;   in Loop: Header=BB4_4885 Depth=2
	s_or_saveexec_b32 s27, s27
	v_mov_b32_e32 v50, 0x7f800001
	s_xor_b32 exec_lo, exec_lo, s27
	s_cbranch_execz .LBB4_5387
.LBB4_5522:                             ;   in Loop: Header=BB4_4885 Depth=2
	v_cmp_ne_u16_sdwa s28, v102, v35 src0_sel:BYTE_0 src1_sel:DWORD
	v_mov_b32_e32 v50, 0
	s_andn2_b32 s12, s12, exec_lo
	s_and_b32 s28, s28, exec_lo
	s_or_b32 s12, s12, s28
	s_or_b32 exec_lo, exec_lo, s27
	s_and_saveexec_b32 s27, s12
	s_cbranch_execnz .LBB4_5388
	s_branch .LBB4_5389
.LBB4_5523:                             ;   in Loop: Header=BB4_4885 Depth=2
	s_or_saveexec_b32 s27, s27
	v_mov_b32_e32 v102, 0x7f800001
	s_xor_b32 exec_lo, exec_lo, s27
	s_cbranch_execz .LBB4_5401
.LBB4_5524:                             ;   in Loop: Header=BB4_4885 Depth=2
	v_cmp_ne_u16_sdwa s28, v49, v35 src0_sel:BYTE_0 src1_sel:DWORD
	v_mov_b32_e32 v102, 0
	s_andn2_b32 s12, s12, exec_lo
	s_and_b32 s28, s28, exec_lo
	s_or_b32 s12, s12, s28
	s_or_b32 exec_lo, exec_lo, s27
	s_and_saveexec_b32 s27, s12
	s_cbranch_execnz .LBB4_5402
	s_branch .LBB4_5403
.LBB4_5525:                             ;   in Loop: Header=BB4_4885 Depth=2
	s_or_saveexec_b32 s27, s27
	v_mov_b32_e32 v49, 0x7f800001
	s_xor_b32 exec_lo, exec_lo, s27
	s_cbranch_execz .LBB4_5407
.LBB4_5526:                             ;   in Loop: Header=BB4_4885 Depth=2
	v_cmp_ne_u16_sdwa s28, v51, v35 src0_sel:BYTE_0 src1_sel:DWORD
	v_mov_b32_e32 v49, 0
	s_andn2_b32 s12, s12, exec_lo
	s_and_b32 s28, s28, exec_lo
	s_or_b32 s12, s12, s28
	s_or_b32 exec_lo, exec_lo, s27
	s_and_saveexec_b32 s27, s12
	s_cbranch_execnz .LBB4_5408
	s_branch .LBB4_5409
.LBB4_5527:                             ;   in Loop: Header=BB4_4885 Depth=2
	s_or_saveexec_b32 s27, s27
	v_mov_b32_e32 v51, 0x7f800001
	s_xor_b32 exec_lo, exec_lo, s27
	s_cbranch_execz .LBB4_5421
.LBB4_5528:                             ;   in Loop: Header=BB4_4885 Depth=2
	v_cmp_ne_u16_sdwa s28, v17, v35 src0_sel:BYTE_0 src1_sel:DWORD
	v_mov_b32_e32 v51, 0
	s_andn2_b32 s12, s12, exec_lo
	s_and_b32 s28, s28, exec_lo
	s_or_b32 s12, s12, s28
	s_or_b32 exec_lo, exec_lo, s27
	s_and_saveexec_b32 s27, s12
	s_cbranch_execnz .LBB4_5422
	s_branch .LBB4_5423
.LBB4_5529:                             ;   in Loop: Header=BB4_4885 Depth=2
	s_or_saveexec_b32 s27, s27
	v_mov_b32_e32 v17, 0x7f800001
	s_xor_b32 exec_lo, exec_lo, s27
	s_cbranch_execz .LBB4_5427
.LBB4_5530:                             ;   in Loop: Header=BB4_4885 Depth=2
	v_cmp_ne_u16_sdwa s28, v16, v35 src0_sel:BYTE_0 src1_sel:DWORD
	v_mov_b32_e32 v17, 0
	s_andn2_b32 s12, s12, exec_lo
	s_and_b32 s28, s28, exec_lo
	s_or_b32 s12, s12, s28
	s_or_b32 exec_lo, exec_lo, s27
	s_and_saveexec_b32 s27, s12
	s_cbranch_execnz .LBB4_5428
	s_branch .LBB4_5429
.LBB4_5531:                             ;   in Loop: Header=BB4_2861 Depth=1
	s_or_b32 exec_lo, exec_lo, s26
.LBB4_5532:                             ;   in Loop: Header=BB4_2861 Depth=1
	s_or_b32 exec_lo, exec_lo, s25
	v_and_b32_e32 v10, 0xfffffe00, v53
	v_cmp_ne_u32_e32 vcc_lo, v53, v10
	s_and_b32 exec_lo, exec_lo, vcc_lo
	s_cbranch_execz .LBB4_5584
; %bb.5533:                             ;   in Loop: Header=BB4_2861 Depth=1
	v_lshlrev_b32_e32 v11, 5, v55
	v_lshlrev_b32_e32 v12, 5, v64
	v_sub_nc_u32_e32 v11, v54, v11
	v_sub_nc_u32_e32 v11, v11, v12
	v_and_b32_e32 v12, 0x1ff, v53
	v_sub_nc_u32_e32 v48, v12, v11
	v_cmp_lt_i32_e32 vcc_lo, 0, v48
	s_and_b32 exec_lo, exec_lo, vcc_lo
	s_cbranch_execz .LBB4_5584
; %bb.5534:                             ;   in Loop: Header=BB4_2861 Depth=1
	s_trap 2
	ds_read_b128 v[12:15], v0
	ds_read_b64 v[16:17], v0
	v_add3_u32 v49, v10, v52, v11
	s_mov_b32 s25, 0
	v_ashrrev_i32_e32 v50, 31, v49
	s_waitcnt lgkmcnt(1)
	v_add_co_u32 v10, vcc_lo, v12, v49
	v_add_co_ci_u32_e64 v11, null, v13, v50, vcc_lo
	v_add_co_u32 v12, vcc_lo, v14, v49
	v_add_co_ci_u32_e64 v13, null, v15, v50, vcc_lo
	s_waitcnt lgkmcnt(0)
	v_add_co_u32 v14, vcc_lo, v16, v49
	v_add_co_ci_u32_e64 v15, null, v17, v50, vcc_lo
	s_branch .LBB4_5538
.LBB4_5535:                             ;   in Loop: Header=BB4_5538 Depth=2
	s_or_b32 exec_lo, exec_lo, s12
	v_lshrrev_b32_e32 v49, 20, v49
	v_cmp_gt_i32_e32 vcc_lo, 16, v17
	v_min_i32_e32 v50, 15, v17
	v_and_b32_sdwa v16, v16, v85 dst_sel:DWORD dst_unused:UNUSED_PAD src0_sel:BYTE_3 src1_sel:DWORD
	v_cndmask_b32_e32 v49, 7, v49, vcc_lo
	v_lshlrev_b32_e32 v50, 3, v50
	v_and_b32_e32 v51, 7, v49
	v_or_b32_e32 v17, v17, v49
	v_or3_b32 v16, v50, v16, v51
	v_cmp_ne_u32_e32 vcc_lo, 0, v17
	v_cndmask_b32_e32 v17, 0, v16, vcc_lo
.LBB4_5536:                             ;   in Loop: Header=BB4_5538 Depth=2
	s_or_b32 exec_lo, exec_lo, s27
.LBB4_5537:                             ;   in Loop: Header=BB4_5538 Depth=2
	s_or_b32 exec_lo, exec_lo, s26
	v_sub_nc_u32_e32 v48, v48, v82
	v_add_co_u32 v10, vcc_lo, v10, v82
	v_add_co_ci_u32_e64 v11, null, 0, v11, vcc_lo
	v_add_co_u32 v12, vcc_lo, v12, v82
	flat_store_byte v[14:15], v17 glc slc
	v_add_co_ci_u32_e64 v13, null, 0, v13, vcc_lo
	v_cmp_gt_i32_e32 vcc_lo, 1, v48
	v_add_co_u32 v14, s12, v14, v82
	v_add_co_ci_u32_e64 v15, null, 0, v15, s12
	s_or_b32 s25, vcc_lo, s25
	s_andn2_b32 exec_lo, exec_lo, s25
	s_cbranch_execz .LBB4_5584
.LBB4_5538:                             ;   Parent Loop BB4_2861 Depth=1
                                        ; =>  This Inner Loop Header: Depth=2
	s_trap 2
	ds_read_b64 v[16:17], v0
	s_waitcnt lgkmcnt(0)
	v_readfirstlane_b32 s12, v16
	s_and_b32 s26, s12, 0xff
	s_cmpk_lt_i32 s26, 0x80
	s_cbranch_scc1 .LBB4_5542
; %bb.5539:                             ;   in Loop: Header=BB4_5538 Depth=2
	s_and_b32 s27, 0xffff, s26
	s_cmpk_eq_i32 s27, 0x80
	s_mov_b32 s27, -1
	s_cbranch_scc0 .LBB4_5541
; %bb.5540:                             ;   in Loop: Header=BB4_5538 Depth=2
	s_mov_b32 s27, 0
.LBB4_5541:                             ;   in Loop: Header=BB4_5538 Depth=2
	s_mov_b32 s28, 0x7f800001
	s_branch .LBB4_5544
.LBB4_5542:                             ;   in Loop: Header=BB4_5538 Depth=2
	s_mov_b32 s27, 0
	s_mov_b32 s28, 0x7f800001
	s_cbranch_execz .LBB4_5544
; %bb.5543:                             ;   in Loop: Header=BB4_5538 Depth=2
	s_and_b32 s26, 0xffff, s26
	s_mov_b32 s28, 0
	s_cmp_lg_u32 s26, 0
	s_cselect_b32 s27, -1, 0
.LBB4_5544:                             ;   in Loop: Header=BB4_5538 Depth=2
	v_mov_b32_e32 v17, s28
	s_andn2_b32 vcc_lo, exec_lo, s27
	s_cbranch_vccnz .LBB4_5546
; %bb.5545:                             ;   in Loop: Header=BB4_5538 Depth=2
	s_and_b32 s26, s12, 7
	s_bfe_u32 s28, s12, 0x40003
	s_flbit_i32_b32 s27, s26
	v_lshlrev_b32_e32 v16, 24, v16
	s_min_u32 s27, s27, 32
	s_sub_i32 s29, s27, 28
	s_sub_i32 s27, 29, s27
	s_lshl_b32 s12, s12, s29
	v_and_b32_e32 v16, 0x80000000, v16
	s_and_b32 s12, s12, 7
	s_cmp_eq_u32 s28, 0
	s_cselect_b32 s27, s27, s28
	s_cselect_b32 s12, s12, s26
	s_lshl_b32 s26, s27, 23
	s_lshl_b32 s12, s12, 20
	s_add_i32 s26, s26, 0x3b800000
	v_or_b32_e32 v16, s26, v16
	v_or_b32_e32 v17, s12, v16
.LBB4_5546:                             ;   in Loop: Header=BB4_5538 Depth=2
	flat_load_ubyte v16, v[10:11] slc
	s_mov_b32 s12, 0
	s_mov_b32 s26, exec_lo
	s_waitcnt vmcnt(0) lgkmcnt(0)
	v_cmpx_lt_i16_e32 0x7f, v16
	s_xor_b32 s26, exec_lo, s26
	s_cbranch_execz .LBB4_5578
; %bb.5547:                             ;   in Loop: Header=BB4_5538 Depth=2
	s_mov_b32 s12, -1
	s_mov_b32 s27, exec_lo
	v_cmpx_eq_u16_e32 0x80, v16
; %bb.5548:                             ;   in Loop: Header=BB4_5538 Depth=2
	s_xor_b32 s12, exec_lo, -1
; %bb.5549:                             ;   in Loop: Header=BB4_5538 Depth=2
	s_or_b32 exec_lo, exec_lo, s27
	s_and_b32 s12, s12, exec_lo
	s_or_saveexec_b32 s26, s26
	v_mov_b32_e32 v49, 0x7f800001
	s_xor_b32 exec_lo, exec_lo, s26
	s_cbranch_execnz .LBB4_5579
.LBB4_5550:                             ;   in Loop: Header=BB4_5538 Depth=2
	s_or_b32 exec_lo, exec_lo, s26
	s_and_saveexec_b32 s26, s12
	s_cbranch_execz .LBB4_5552
.LBB4_5551:                             ;   in Loop: Header=BB4_5538 Depth=2
	v_and_b32_e32 v49, 0xffff, v16
	v_lshlrev_b32_e32 v16, 24, v16
	v_and_b32_e32 v50, 7, v49
	v_bfe_u32 v53, v49, 3, 4
	v_and_b32_e32 v16, 0x80000000, v16
	v_ffbh_u32_e32 v51, v50
	v_cmp_eq_u32_e32 vcc_lo, 0, v53
	v_min_u32_e32 v51, 32, v51
	v_subrev_nc_u32_e32 v52, 28, v51
	v_sub_nc_u32_e32 v51, 29, v51
	v_lshlrev_b32_e32 v49, v52, v49
	v_cndmask_b32_e32 v51, v53, v51, vcc_lo
	v_and_b32_e32 v49, 7, v49
	v_cndmask_b32_e32 v49, v50, v49, vcc_lo
	v_lshl_add_u32 v50, v51, 23, 0x3b800000
	v_lshlrev_b32_e32 v49, 20, v49
	v_or3_b32 v49, v16, v50, v49
.LBB4_5552:                             ;   in Loop: Header=BB4_5538 Depth=2
	s_or_b32 exec_lo, exec_lo, s26
	v_mul_f32_e32 v16, v17, v49
	v_mov_b32_e32 v49, 0x80
	s_mov_b32 s26, exec_lo
	v_and_b32_e32 v17, 0x7f800000, v16
	v_cmpx_ne_u32_e32 0x7f800000, v17
	s_cbranch_execz .LBB4_5560
; %bb.5553:                             ;   in Loop: Header=BB4_5538 Depth=2
	v_mov_b32_e32 v49, 0
	s_mov_b32 s27, exec_lo
	v_cmpx_ne_u32_e32 0, v16
	s_cbranch_execz .LBB4_5559
; %bb.5554:                             ;   in Loop: Header=BB4_5538 Depth=2
	v_bfe_u32 v17, v16, 23, 8
	v_and_b32_e32 v49, 0x7fffff, v16
	v_sub_nc_u32_e32 v50, 0x78, v17
	v_cmp_gt_u32_e32 vcc_lo, 0x79, v17
	v_or_b32_e32 v51, 0x800000, v49
	v_cndmask_b32_e32 v50, 0, v50, vcc_lo
	v_cmp_eq_u32_e32 vcc_lo, 0, v17
	v_add_nc_u32_e32 v17, 0xffffff89, v17
	v_cndmask_b32_e64 v50, v50, 0x77, vcc_lo
	v_cndmask_b32_e32 v49, v51, v49, vcc_lo
	v_cndmask_b32_e64 v17, v17, 0xffffff8a, vcc_lo
	v_lshl_add_u32 v51, 0x100000, v50, -1
	v_lshrrev_b32_e32 v52, v50, v49
	v_lshlrev_b32_e64 v54, v50, 0x80000
	v_add_nc_u32_e32 v50, v50, v17
	v_and_b32_e32 v49, v51, v49
	v_bfe_u32 v53, v52, 20, 1
	v_cmp_eq_u32_e64 s12, v49, v54
	v_add_nc_u32_e32 v51, -1, v53
	v_cndmask_b32_e64 v49, 0, v51, s12
	v_lshrrev_b32_e32 v51, 23, v52
	s_mov_b32 s12, exec_lo
	v_add_nc_u32_e32 v49, v49, v52
	v_xor_b32_e32 v51, 1, v51
	v_and_b32_e32 v17, 0xfffff, v49
	v_add_nc_u32_e32 v49, v17, v52
                                        ; implicit-def: $vgpr17
	v_cmpx_ne_u32_e64 v50, v51
	s_xor_b32 s12, exec_lo, s12
; %bb.5555:                             ;   in Loop: Header=BB4_5538 Depth=2
	v_cmp_lt_u32_e32 vcc_lo, 0xffffff, v49
	v_sub_nc_u32_e32 v17, v50, v51
	v_cndmask_b32_e64 v50, 0, 1, vcc_lo
	v_add_co_ci_u32_e64 v17, null, 0, v17, vcc_lo
	v_lshrrev_b32_e32 v49, v50, v49
; %bb.5556:                             ;   in Loop: Header=BB4_5538 Depth=2
	s_andn2_saveexec_b32 s12, s12
; %bb.5557:                             ;   in Loop: Header=BB4_5538 Depth=2
	v_bfe_u32 v17, v49, 23, 1
; %bb.5558:                             ;   in Loop: Header=BB4_5538 Depth=2
	s_or_b32 exec_lo, exec_lo, s12
	v_lshrrev_b32_e32 v49, 20, v49
	v_cmp_gt_i32_e32 vcc_lo, 16, v17
	v_min_i32_e32 v50, 15, v17
	v_and_b32_sdwa v16, v16, v85 dst_sel:DWORD dst_unused:UNUSED_PAD src0_sel:BYTE_3 src1_sel:DWORD
	v_cndmask_b32_e32 v49, 7, v49, vcc_lo
	v_lshlrev_b32_e32 v50, 3, v50
	v_and_b32_e32 v51, 7, v49
	v_or_b32_e32 v17, v17, v49
	v_or3_b32 v16, v50, v16, v51
	v_cmp_ne_u32_e32 vcc_lo, 0, v17
	v_cndmask_b32_e32 v49, 0, v16, vcc_lo
.LBB4_5559:                             ;   in Loop: Header=BB4_5538 Depth=2
	s_or_b32 exec_lo, exec_lo, s27
.LBB4_5560:                             ;   in Loop: Header=BB4_5538 Depth=2
	s_or_b32 exec_lo, exec_lo, s26
	flat_load_ubyte v16, v[12:13] slc
	v_cmp_gt_i16_sdwa s26, v49, v84 src0_sel:BYTE_0 src1_sel:DWORD
	s_mov_b32 s12, 0
	s_and_saveexec_b32 s27, s26
	s_xor_b32 s26, exec_lo, s27
	s_cbranch_execz .LBB4_5580
; %bb.5561:                             ;   in Loop: Header=BB4_5538 Depth=2
	v_cmp_eq_u16_sdwa s28, v49, v85 src0_sel:BYTE_0 src1_sel:DWORD
	s_mov_b32 s12, -1
	s_and_saveexec_b32 s27, s28
; %bb.5562:                             ;   in Loop: Header=BB4_5538 Depth=2
	s_xor_b32 s12, exec_lo, -1
; %bb.5563:                             ;   in Loop: Header=BB4_5538 Depth=2
	s_or_b32 exec_lo, exec_lo, s27
	s_and_b32 s12, s12, exec_lo
	s_or_saveexec_b32 s26, s26
	v_mov_b32_e32 v17, 0x7f800001
	s_xor_b32 exec_lo, exec_lo, s26
	s_cbranch_execnz .LBB4_5581
.LBB4_5564:                             ;   in Loop: Header=BB4_5538 Depth=2
	s_or_b32 exec_lo, exec_lo, s26
	s_and_saveexec_b32 s26, s12
	s_cbranch_execz .LBB4_5566
.LBB4_5565:                             ;   in Loop: Header=BB4_5538 Depth=2
	v_and_b32_e32 v17, 7, v49
	v_lshrrev_b16 v51, 3, v49
	v_ffbh_u32_e32 v50, v17
	v_and_b32_e32 v51, 15, v51
	v_min_u32_e32 v50, 32, v50
	v_cmp_eq_u32_e32 vcc_lo, 0, v51
	v_subrev_nc_u32_e32 v52, 28, v50
	v_sub_nc_u32_e32 v50, 29, v50
	v_lshlrev_b32_e32 v52, v52, v49
	v_lshlrev_b32_e32 v49, 24, v49
	v_cndmask_b32_e32 v50, v51, v50, vcc_lo
	v_and_b32_e32 v52, 7, v52
	v_and_b32_e32 v49, 0x80000000, v49
	v_lshl_add_u32 v50, v50, 23, 0x3b800000
	v_cndmask_b32_e32 v17, v17, v52, vcc_lo
	v_lshlrev_b32_e32 v17, 20, v17
	v_or3_b32 v17, v49, v50, v17
.LBB4_5566:                             ;   in Loop: Header=BB4_5538 Depth=2
	s_or_b32 exec_lo, exec_lo, s26
	s_waitcnt vmcnt(0) lgkmcnt(0)
	v_cmp_gt_i16_sdwa s26, v16, v84 src0_sel:BYTE_0 src1_sel:DWORD
	s_mov_b32 s12, 0
	s_and_saveexec_b32 s27, s26
	s_xor_b32 s26, exec_lo, s27
	s_cbranch_execz .LBB4_5582
; %bb.5567:                             ;   in Loop: Header=BB4_5538 Depth=2
	v_cmp_eq_u16_sdwa s28, v16, v85 src0_sel:BYTE_0 src1_sel:DWORD
	s_mov_b32 s12, -1
	s_and_saveexec_b32 s27, s28
; %bb.5568:                             ;   in Loop: Header=BB4_5538 Depth=2
	s_xor_b32 s12, exec_lo, -1
; %bb.5569:                             ;   in Loop: Header=BB4_5538 Depth=2
	s_or_b32 exec_lo, exec_lo, s27
	s_and_b32 s12, s12, exec_lo
	s_or_saveexec_b32 s26, s26
	v_mov_b32_e32 v49, 0x7f800001
	s_xor_b32 exec_lo, exec_lo, s26
	s_cbranch_execnz .LBB4_5583
.LBB4_5570:                             ;   in Loop: Header=BB4_5538 Depth=2
	s_or_b32 exec_lo, exec_lo, s26
	s_and_saveexec_b32 s26, s12
	s_cbranch_execz .LBB4_5572
.LBB4_5571:                             ;   in Loop: Header=BB4_5538 Depth=2
	v_and_b32_e32 v49, 7, v16
	v_lshrrev_b16 v51, 3, v16
	v_ffbh_u32_e32 v50, v49
	v_and_b32_e32 v51, 15, v51
	v_min_u32_e32 v50, 32, v50
	v_cmp_eq_u32_e32 vcc_lo, 0, v51
	v_subrev_nc_u32_e32 v52, 28, v50
	v_sub_nc_u32_e32 v50, 29, v50
	v_lshlrev_b32_e32 v52, v52, v16
	v_lshlrev_b32_e32 v16, 24, v16
	v_cndmask_b32_e32 v50, v51, v50, vcc_lo
	v_and_b32_e32 v52, 7, v52
	v_and_b32_e32 v16, 0x80000000, v16
	v_lshl_add_u32 v50, v50, 23, 0x3b800000
	v_cndmask_b32_e32 v49, v49, v52, vcc_lo
	v_lshlrev_b32_e32 v49, 20, v49
	v_or3_b32 v49, v16, v50, v49
.LBB4_5572:                             ;   in Loop: Header=BB4_5538 Depth=2
	s_or_b32 exec_lo, exec_lo, s26
	v_add_f32_e32 v16, v17, v49
	v_and_b32_e32 v17, 0x7f800000, v16
	v_cmp_ne_u32_e32 vcc_lo, 0x7f800000, v17
	v_mov_b32_e32 v17, 0x80
	s_and_saveexec_b32 s26, vcc_lo
	s_cbranch_execz .LBB4_5537
; %bb.5573:                             ;   in Loop: Header=BB4_5538 Depth=2
	v_mov_b32_e32 v17, 0
	s_mov_b32 s27, exec_lo
	v_cmpx_ne_u32_e32 0, v16
	s_cbranch_execz .LBB4_5536
; %bb.5574:                             ;   in Loop: Header=BB4_5538 Depth=2
	v_bfe_u32 v17, v16, 23, 8
	v_and_b32_e32 v49, 0x7fffff, v16
	v_sub_nc_u32_e32 v50, 0x78, v17
	v_cmp_gt_u32_e32 vcc_lo, 0x79, v17
	v_or_b32_e32 v51, 0x800000, v49
	v_cndmask_b32_e32 v50, 0, v50, vcc_lo
	v_cmp_eq_u32_e32 vcc_lo, 0, v17
	v_add_nc_u32_e32 v17, 0xffffff89, v17
	v_cndmask_b32_e64 v50, v50, 0x77, vcc_lo
	v_cndmask_b32_e32 v49, v51, v49, vcc_lo
	v_cndmask_b32_e64 v17, v17, 0xffffff8a, vcc_lo
	v_lshl_add_u32 v51, 0x100000, v50, -1
	v_lshrrev_b32_e32 v52, v50, v49
	v_lshlrev_b32_e64 v54, v50, 0x80000
	v_add_nc_u32_e32 v50, v50, v17
	v_and_b32_e32 v49, v51, v49
	v_bfe_u32 v53, v52, 20, 1
	v_cmp_eq_u32_e64 s12, v49, v54
	v_add_nc_u32_e32 v51, -1, v53
	v_cndmask_b32_e64 v49, 0, v51, s12
	v_lshrrev_b32_e32 v51, 23, v52
	s_mov_b32 s12, exec_lo
	v_add_nc_u32_e32 v49, v49, v52
	v_xor_b32_e32 v51, 1, v51
	v_and_b32_e32 v17, 0xfffff, v49
	v_add_nc_u32_e32 v49, v17, v52
                                        ; implicit-def: $vgpr17
	v_cmpx_ne_u32_e64 v50, v51
	s_xor_b32 s12, exec_lo, s12
; %bb.5575:                             ;   in Loop: Header=BB4_5538 Depth=2
	v_cmp_lt_u32_e32 vcc_lo, 0xffffff, v49
	v_sub_nc_u32_e32 v17, v50, v51
	v_cndmask_b32_e64 v50, 0, 1, vcc_lo
	v_add_co_ci_u32_e64 v17, null, 0, v17, vcc_lo
	v_lshrrev_b32_e32 v49, v50, v49
; %bb.5576:                             ;   in Loop: Header=BB4_5538 Depth=2
	s_andn2_saveexec_b32 s12, s12
	s_cbranch_execz .LBB4_5535
; %bb.5577:                             ;   in Loop: Header=BB4_5538 Depth=2
	v_bfe_u32 v17, v49, 23, 1
	s_branch .LBB4_5535
.LBB4_5578:                             ;   in Loop: Header=BB4_5538 Depth=2
	s_or_saveexec_b32 s26, s26
	v_mov_b32_e32 v49, 0x7f800001
	s_xor_b32 exec_lo, exec_lo, s26
	s_cbranch_execz .LBB4_5550
.LBB4_5579:                             ;   in Loop: Header=BB4_5538 Depth=2
	v_cmp_ne_u16_e32 vcc_lo, 0, v16
	v_mov_b32_e32 v49, 0
	s_andn2_b32 s12, s12, exec_lo
	s_and_b32 s27, vcc_lo, exec_lo
	s_or_b32 s12, s12, s27
	s_or_b32 exec_lo, exec_lo, s26
	s_and_saveexec_b32 s26, s12
	s_cbranch_execnz .LBB4_5551
	s_branch .LBB4_5552
.LBB4_5580:                             ;   in Loop: Header=BB4_5538 Depth=2
	s_or_saveexec_b32 s26, s26
	v_mov_b32_e32 v17, 0x7f800001
	s_xor_b32 exec_lo, exec_lo, s26
	s_cbranch_execz .LBB4_5564
.LBB4_5581:                             ;   in Loop: Header=BB4_5538 Depth=2
	v_cmp_ne_u16_sdwa s27, v49, v35 src0_sel:BYTE_0 src1_sel:DWORD
	v_mov_b32_e32 v17, 0
	s_andn2_b32 s12, s12, exec_lo
	s_and_b32 s27, s27, exec_lo
	s_or_b32 s12, s12, s27
	s_or_b32 exec_lo, exec_lo, s26
	s_and_saveexec_b32 s26, s12
	s_cbranch_execnz .LBB4_5565
	s_branch .LBB4_5566
.LBB4_5582:                             ;   in Loop: Header=BB4_5538 Depth=2
	s_or_saveexec_b32 s26, s26
	v_mov_b32_e32 v49, 0x7f800001
	s_xor_b32 exec_lo, exec_lo, s26
	s_cbranch_execz .LBB4_5570
.LBB4_5583:                             ;   in Loop: Header=BB4_5538 Depth=2
	v_cmp_ne_u16_sdwa s27, v16, v35 src0_sel:BYTE_0 src1_sel:DWORD
	v_mov_b32_e32 v49, 0
	s_andn2_b32 s12, s12, exec_lo
	s_and_b32 s27, s27, exec_lo
	s_or_b32 s12, s12, s27
	s_or_b32 exec_lo, exec_lo, s26
	s_and_saveexec_b32 s26, s12
	s_cbranch_execnz .LBB4_5571
	s_branch .LBB4_5572
.LBB4_5584:                             ;   in Loop: Header=BB4_2861 Depth=1
	s_or_b32 exec_lo, exec_lo, s13
	v_cmp_ne_u32_e64 s12, 0, v34
	s_and_saveexec_b32 s13, s6
	s_cbranch_execz .LBB4_5603
.LBB4_5585:                             ;   in Loop: Header=BB4_2861 Depth=1
	s_and_saveexec_b32 s25, s19
	s_xor_b32 s25, exec_lo, s25
	s_cbranch_execz .LBB4_5600
; %bb.5586:                             ;   in Loop: Header=BB4_2861 Depth=1
	s_and_saveexec_b32 s26, s7
	s_cbranch_execz .LBB4_5599
; %bb.5587:                             ;   in Loop: Header=BB4_2861 Depth=1
	s_mov_b32 s28, exec_lo
	s_mov_b32 s27, exec_lo
	v_mbcnt_lo_u32_b32 v10, s28, 0
	s_waitcnt vmcnt(0) lgkmcnt(0)
	s_waitcnt_vscnt null, 0x0
	buffer_gl1_inv
	buffer_gl0_inv
	v_cmpx_eq_u32_e32 0, v10
	s_cbranch_execz .LBB4_5589
; %bb.5588:                             ;   in Loop: Header=BB4_2861 Depth=1
	s_bcnt1_i32_b32 s28, s28
	v_mov_b32_e32 v34, s28
	ds_add_u64 v0, v[34:35]
	s_trap 2
.LBB4_5589:                             ;   in Loop: Header=BB4_2861 Depth=1
	s_or_b32 exec_lo, exec_lo, s27
	s_trap 2
	ds_read_b64 v[10:11], v0
	s_waitcnt lgkmcnt(0)
	buffer_gl0_inv
	v_add_co_u32 v26, vcc_lo, v26, v70
	v_add_co_ci_u32_e64 v27, null, 0, v27, vcc_lo
	s_mov_b32 s27, exec_lo
	v_cmpx_lt_u64_e64 v[10:11], v[26:27]
	s_cbranch_execz .LBB4_5598
; %bb.5590:                             ;   in Loop: Header=BB4_2861 Depth=1
	s_mov_b32 s28, 0
	s_mov_b32 s41, 0
                                        ; implicit-def: $sgpr29
                                        ; implicit-def: $sgpr40
	s_inst_prefetch 0x1
	s_branch .LBB4_5592
	.p2align	6
.LBB4_5591:                             ;   in Loop: Header=BB4_5592 Depth=2
	s_or_b32 exec_lo, exec_lo, s43
	s_and_b32 s42, exec_lo, s44
	s_or_b32 s28, s42, s28
	s_andn2_b32 s29, s29, exec_lo
	s_and_b32 s42, s40, exec_lo
	s_or_b32 s29, s29, s42
	s_andn2_b32 exec_lo, exec_lo, s28
	s_cbranch_execz .LBB4_5596
.LBB4_5592:                             ;   Parent Loop BB4_2861 Depth=1
                                        ; =>  This Inner Loop Header: Depth=2
	s_add_i32 s41, s41, 1
	s_cmpk_lg_i32 s41, 0x2710
	s_cselect_b32 s42, -1, 0
	s_and_b32 vcc_lo, exec_lo, s42
	s_cbranch_vccz .LBB4_5594
; %bb.5593:                             ;   in Loop: Header=BB4_5592 Depth=2
	s_mov_b32 s44, -1
	s_or_b32 s40, s40, exec_lo
	s_and_saveexec_b32 s43, s42
	s_cbranch_execz .LBB4_5591
	s_branch .LBB4_5595
	.p2align	6
.LBB4_5594:                             ;   in Loop: Header=BB4_5592 Depth=2
	s_trap 2
	ds_read_b64 v[10:11], v0
	s_andn2_b32 s42, s42, exec_lo
	s_mov_b32 s41, 0
	s_waitcnt lgkmcnt(0)
	flat_load_dword v10, v[10:11] glc dlc
	s_waitcnt vmcnt(0) lgkmcnt(0)
	buffer_gl1_inv
	buffer_gl0_inv
	v_cmp_eq_u32_e32 vcc_lo, 0, v10
	s_and_b32 s43, vcc_lo, exec_lo
	s_or_b32 s42, s42, s43
	s_mov_b32 s44, -1
	s_or_b32 s40, s40, exec_lo
	s_and_saveexec_b32 s43, s42
	s_cbranch_execz .LBB4_5591
.LBB4_5595:                             ;   in Loop: Header=BB4_5592 Depth=2
	s_sleep 1
	s_trap 2
	ds_read_b64 v[10:11], v0
	s_waitcnt lgkmcnt(0)
	buffer_gl0_inv
	s_andn2_b32 s40, s40, exec_lo
	v_cmp_ge_u64_e32 vcc_lo, v[10:11], v[26:27]
	s_orn2_b32 s44, vcc_lo, exec_lo
	s_branch .LBB4_5591
.LBB4_5596:                             ;   in Loop: Header=BB4_2861 Depth=1
	s_inst_prefetch 0x2
	s_or_b32 exec_lo, exec_lo, s28
	s_and_saveexec_b32 s28, s29
	s_xor_b32 s28, exec_lo, s28
	s_cbranch_execz .LBB4_5598
; %bb.5597:                             ;   in Loop: Header=BB4_2861 Depth=1
	ds_write_b32 v0, v83
	s_trap 2
.LBB4_5598:                             ;   in Loop: Header=BB4_2861 Depth=1
	s_or_b32 exec_lo, exec_lo, s27
	;;#ASMSTART
	s_wakeup
	;;#ASMEND
.LBB4_5599:                             ;   in Loop: Header=BB4_2861 Depth=1
	s_or_b32 exec_lo, exec_lo, s26
.LBB4_5600:                             ;   in Loop: Header=BB4_2861 Depth=1
	s_andn2_saveexec_b32 s25, s25
	s_cbranch_execz .LBB4_5602
; %bb.5601:                             ;   in Loop: Header=BB4_2861 Depth=1
	s_waitcnt vmcnt(0) lgkmcnt(0)
	s_waitcnt_vscnt null, 0x0
	buffer_gl1_inv
	buffer_gl0_inv
	s_barrier
.LBB4_5602:                             ;   in Loop: Header=BB4_2861 Depth=1
	s_or_b32 exec_lo, exec_lo, s25
.LBB4_5603:                             ;   in Loop: Header=BB4_2861 Depth=1
	s_or_b32 exec_lo, exec_lo, s13
	v_and_b32_e32 v10, 16, v68
	v_cmp_ne_u32_e32 vcc_lo, 0, v10
	s_and_b32 s13, vcc_lo, s12
	s_and_saveexec_b32 s12, s13
	s_cbranch_execz .LBB4_5605
; %bb.5604:                             ;   in Loop: Header=BB4_2861 Depth=1
	s_waitcnt vmcnt(0) lgkmcnt(0)
	s_waitcnt_vscnt null, 0x0
	buffer_gl1_inv
	buffer_gl0_inv
.LBB4_5605:                             ;   in Loop: Header=BB4_2861 Depth=1
	s_or_b32 exec_lo, exec_lo, s12
	v_and_b32_e32 v10, 32, v68
	s_mov_b32 s12, exec_lo
	v_cmpx_ne_u32_e32 0, v10
	s_cbranch_execz .LBB4_5607
; %bb.5606:                             ;   in Loop: Header=BB4_2861 Depth=1
	v_add_co_u32 v8, vcc_lo, v8, 1
	v_add_co_ci_u32_e64 v9, null, 0, v9, vcc_lo
	s_waitcnt vmcnt(0) lgkmcnt(0)
	s_waitcnt_vscnt null, 0x0
	flat_store_dwordx2 v[22:23], v[8:9]
.LBB4_5607:                             ;   in Loop: Header=BB4_2861 Depth=1
	s_or_b32 exec_lo, exec_lo, s12
	v_mov_b32_e32 v14, v39
.LBB4_5608:                             ;   in Loop: Header=BB4_2861 Depth=1
	s_or_b32 exec_lo, exec_lo, s24
	s_and_saveexec_b32 s13, s23
	s_cbranch_execz .LBB4_2860
; %bb.5609:                             ;   in Loop: Header=BB4_2861 Depth=1
	v_and_b32_e32 v10, 4, v68
	s_mov_b32 s23, exec_lo
	v_cmpx_ne_u32_e32 0, v10
	s_cbranch_execz .LBB4_5631
; %bb.5610:                             ;   in Loop: Header=BB4_2861 Depth=1
	s_waitcnt lgkmcnt(0)
	v_add_co_u32 v10, vcc_lo, v8, 1
	v_add_co_ci_u32_e64 v11, null, 0, v9, vcc_lo
	s_mov_b32 s24, exec_lo
	s_waitcnt vmcnt(0)
	v_cmpx_lt_u64_e64 v[28:29], v[10:11]
	s_cbranch_execz .LBB4_5622
; %bb.5611:                             ;   in Loop: Header=BB4_2861 Depth=1
	v_and_b32_e32 v9, 64, v68
	s_mov_b32 s25, 0
	s_mov_b32 s29, 0
                                        ; implicit-def: $sgpr26
                                        ; implicit-def: $sgpr27
                                        ; implicit-def: $sgpr28
	v_cmp_eq_u32_e32 vcc_lo, 0, v9
	s_branch .LBB4_5615
.LBB4_5612:                             ;   in Loop: Header=BB4_5615 Depth=2
	s_waitcnt vmcnt(0) lgkmcnt(0)
	v_cmp_ge_u64_e64 s12, v[28:29], v[10:11]
	s_or_b32 s42, s42, exec_lo
	s_orn2_b32 s41, s12, exec_lo
.LBB4_5613:                             ;   in Loop: Header=BB4_5615 Depth=2
	s_or_b32 exec_lo, exec_lo, s44
	s_andn2_b32 s12, s28, exec_lo
	s_and_b32 s28, s42, exec_lo
	s_andn2_b32 s27, s27, exec_lo
	s_and_b32 s41, s41, exec_lo
	s_or_b32 s28, s12, s28
	s_or_b32 s27, s27, s41
.LBB4_5614:                             ;   in Loop: Header=BB4_5615 Depth=2
	s_or_b32 exec_lo, exec_lo, s40
	s_and_b32 s12, exec_lo, s27
	s_or_b32 s25, s12, s25
	s_andn2_b32 s12, s26, exec_lo
	s_and_b32 s26, s28, exec_lo
	s_or_b32 s26, s12, s26
	s_andn2_b32 exec_lo, exec_lo, s25
	s_cbranch_execz .LBB4_5619
.LBB4_5615:                             ;   Parent Loop BB4_2861 Depth=1
                                        ; =>  This Inner Loop Header: Depth=2
	s_sleep 1
	s_waitcnt vmcnt(0) lgkmcnt(0)
	flat_load_dwordx2 v[28:29], v[22:23] glc dlc
	s_or_b32 s28, s28, exec_lo
	s_or_b32 s27, s27, exec_lo
                                        ; implicit-def: $vgpr9
	s_and_saveexec_b32 s40, vcc_lo
	s_cbranch_execz .LBB4_5614
; %bb.5616:                             ;   in Loop: Header=BB4_5615 Depth=2
	s_cmpk_lt_i32 s29, 0x270f
	s_mov_b32 s41, -1
	s_cselect_b32 s43, -1, 0
	s_cmpk_gt_i32 s29, 0x270e
	s_cbranch_scc0 .LBB4_5618
; %bb.5617:                             ;   in Loop: Header=BB4_5615 Depth=2
	s_trap 2
	ds_read_b64 v[12:13], v0
	s_andn2_b32 s29, s43, exec_lo
	s_mov_b32 s42, 0
	s_waitcnt vmcnt(0) lgkmcnt(0)
	s_waitcnt_vscnt null, 0x0
	flat_load_dword v9, v[12:13] glc dlc
	s_waitcnt vmcnt(0) lgkmcnt(0)
	buffer_gl1_inv
	buffer_gl0_inv
	v_cmp_eq_u32_e64 s12, 0, v9
	s_and_b32 s12, s12, exec_lo
	s_or_b32 s43, s29, s12
	s_mov_b32 s29, 0
	s_and_saveexec_b32 s44, s43
	s_cbranch_execz .LBB4_5613
	s_branch .LBB4_5612
.LBB4_5618:                             ;   in Loop: Header=BB4_5615 Depth=2
	s_add_i32 s29, s29, 1
	s_mov_b32 s42, -1
                                        ; implicit-def: $vgpr9
	s_and_saveexec_b32 s44, s43
	s_cbranch_execz .LBB4_5613
	s_branch .LBB4_5612
.LBB4_5619:                             ;   in Loop: Header=BB4_2861 Depth=1
	s_or_b32 exec_lo, exec_lo, s25
	s_xor_b32 s12, s26, -1
	s_and_saveexec_b32 s25, s12
	s_xor_b32 s12, exec_lo, s25
	s_cbranch_execz .LBB4_5621
; %bb.5620:                             ;   in Loop: Header=BB4_2861 Depth=1
	v_or_b32_e32 v68, 64, v68
	s_waitcnt vmcnt(0) lgkmcnt(0)
	s_waitcnt_vscnt null, 0x0
	ds_write_b32 v0, v9
	s_trap 2
.LBB4_5621:                             ;   in Loop: Header=BB4_2861 Depth=1
	s_or_b32 exec_lo, exec_lo, s12
.LBB4_5622:                             ;   in Loop: Header=BB4_2861 Depth=1
	s_or_b32 exec_lo, exec_lo, s24
	v_and_b32_e32 v9, 0x100, v68
	v_and_b32_e32 v15, 7, v8
	s_mov_b32 s12, -1
	;;#ASMSTART
	s_wakeup
	;;#ASMEND
	v_cmp_ne_u32_e32 vcc_lo, 0, v9
                                        ; implicit-def: $vgpr8_vgpr9
	s_and_saveexec_b32 s24, vcc_lo
	s_cbranch_execz .LBB4_5626
; %bb.5623:                             ;   in Loop: Header=BB4_2861 Depth=1
	v_mad_u64_u32 v[12:13], null, v15, 24, v[6:7]
	flat_load_dword v8, v[12:13]
	s_waitcnt vmcnt(0) lgkmcnt(0)
	v_cmp_eq_u32_e64 s12, 1, v8
	v_cmp_ne_u32_e32 vcc_lo, 1, v8
                                        ; implicit-def: $vgpr8_vgpr9
	s_and_saveexec_b32 s25, s12
	s_cbranch_execz .LBB4_5625
; %bb.5624:                             ;   in Loop: Header=BB4_2861 Depth=1
	flat_load_dword v8, v[12:13] offset:4 glc dlc
	s_waitcnt vmcnt(0) lgkmcnt(0)
	v_ashrrev_i32_e32 v9, 31, v8
.LBB4_5625:                             ;   in Loop: Header=BB4_2861 Depth=1
	s_or_b32 exec_lo, exec_lo, s25
	s_orn2_b32 s12, vcc_lo, exec_lo
.LBB4_5626:                             ;   in Loop: Header=BB4_2861 Depth=1
	s_or_b32 exec_lo, exec_lo, s24
	s_and_saveexec_b32 s24, s12
; %bb.5627:                             ;   in Loop: Header=BB4_2861 Depth=1
	v_mad_i64_i32 v[8:9], null, v15, v69, 0
; %bb.5628:                             ;   in Loop: Header=BB4_2861 Depth=1
	s_or_b32 exec_lo, exec_lo, s24
	v_add_co_u32 v8, vcc_lo, v24, v8
	v_and_b32_e32 v12, 0x2000, v68
	v_add_co_ci_u32_e64 v9, null, v25, v9, vcc_lo
	s_mov_b32 s12, exec_lo
	ds_write_b64 v0, v[8:9] offset:728
	v_cmpx_ne_u32_e32 0, v12
	s_cbranch_execz .LBB4_5630
; %bb.5629:                             ;   in Loop: Header=BB4_2861 Depth=1
	ds_read_b64 v[8:9], v0 offset:872
	s_waitcnt lgkmcnt(0)
	v_add_co_u32 v8, vcc_lo, v8, 1
	v_add_co_ci_u32_e64 v9, null, 0, v9, vcc_lo
	ds_write_b64 v0, v[8:9] offset:872
.LBB4_5630:                             ;   in Loop: Header=BB4_2861 Depth=1
	s_or_b32 exec_lo, exec_lo, s12
	v_mov_b32_e32 v8, v10
	v_mov_b32_e32 v9, v11
.LBB4_5631:                             ;   in Loop: Header=BB4_2861 Depth=1
	s_or_b32 exec_lo, exec_lo, s23
	s_and_saveexec_b32 s12, s6
	s_cbranch_execz .LBB4_5650
; %bb.5632:                             ;   in Loop: Header=BB4_2861 Depth=1
	s_and_saveexec_b32 s23, s19
	s_xor_b32 s23, exec_lo, s23
	s_cbranch_execz .LBB4_5647
; %bb.5633:                             ;   in Loop: Header=BB4_2861 Depth=1
	s_and_saveexec_b32 s24, s7
	s_cbranch_execz .LBB4_5646
; %bb.5634:                             ;   in Loop: Header=BB4_2861 Depth=1
	s_mov_b32 s26, exec_lo
	s_mov_b32 s25, exec_lo
	v_mbcnt_lo_u32_b32 v10, s26, 0
	s_waitcnt vmcnt(0) lgkmcnt(0)
	s_waitcnt_vscnt null, 0x0
	buffer_gl1_inv
	buffer_gl0_inv
	v_cmpx_eq_u32_e32 0, v10
	s_cbranch_execz .LBB4_5636
; %bb.5635:                             ;   in Loop: Header=BB4_2861 Depth=1
	s_bcnt1_i32_b32 s26, s26
	v_mov_b32_e32 v34, s26
	ds_add_u64 v0, v[34:35]
	s_trap 2
.LBB4_5636:                             ;   in Loop: Header=BB4_2861 Depth=1
	s_or_b32 exec_lo, exec_lo, s25
	s_trap 2
	ds_read_b64 v[10:11], v0
	s_waitcnt lgkmcnt(0)
	buffer_gl0_inv
	v_add_co_u32 v26, vcc_lo, v26, v70
	v_add_co_ci_u32_e64 v27, null, 0, v27, vcc_lo
	s_mov_b32 s25, exec_lo
	v_cmpx_lt_u64_e64 v[10:11], v[26:27]
	s_cbranch_execz .LBB4_5645
; %bb.5637:                             ;   in Loop: Header=BB4_2861 Depth=1
	s_mov_b32 s26, 0
	s_mov_b32 s29, 0
                                        ; implicit-def: $sgpr27
                                        ; implicit-def: $sgpr28
	s_inst_prefetch 0x1
	s_branch .LBB4_5639
	.p2align	6
.LBB4_5638:                             ;   in Loop: Header=BB4_5639 Depth=2
	s_or_b32 exec_lo, exec_lo, s41
	s_and_b32 s40, exec_lo, s42
	s_or_b32 s26, s40, s26
	s_andn2_b32 s27, s27, exec_lo
	s_and_b32 s40, s28, exec_lo
	s_or_b32 s27, s27, s40
	s_andn2_b32 exec_lo, exec_lo, s26
	s_cbranch_execz .LBB4_5643
.LBB4_5639:                             ;   Parent Loop BB4_2861 Depth=1
                                        ; =>  This Inner Loop Header: Depth=2
	s_add_i32 s29, s29, 1
	s_cmpk_lg_i32 s29, 0x2710
	s_cselect_b32 s40, -1, 0
	s_and_b32 vcc_lo, exec_lo, s40
	s_cbranch_vccz .LBB4_5641
; %bb.5640:                             ;   in Loop: Header=BB4_5639 Depth=2
	s_mov_b32 s42, -1
	s_or_b32 s28, s28, exec_lo
	s_and_saveexec_b32 s41, s40
	s_cbranch_execz .LBB4_5638
	s_branch .LBB4_5642
	.p2align	6
.LBB4_5641:                             ;   in Loop: Header=BB4_5639 Depth=2
	s_trap 2
	ds_read_b64 v[10:11], v0
	s_andn2_b32 s40, s40, exec_lo
	s_mov_b32 s29, 0
	s_waitcnt lgkmcnt(0)
	flat_load_dword v10, v[10:11] glc dlc
	s_waitcnt vmcnt(0) lgkmcnt(0)
	buffer_gl1_inv
	buffer_gl0_inv
	v_cmp_eq_u32_e32 vcc_lo, 0, v10
	s_and_b32 s41, vcc_lo, exec_lo
	s_or_b32 s40, s40, s41
	s_mov_b32 s42, -1
	s_or_b32 s28, s28, exec_lo
	s_and_saveexec_b32 s41, s40
	s_cbranch_execz .LBB4_5638
.LBB4_5642:                             ;   in Loop: Header=BB4_5639 Depth=2
	s_sleep 1
	s_trap 2
	ds_read_b64 v[10:11], v0
	s_waitcnt lgkmcnt(0)
	buffer_gl0_inv
	s_andn2_b32 s28, s28, exec_lo
	v_cmp_ge_u64_e32 vcc_lo, v[10:11], v[26:27]
	s_orn2_b32 s42, vcc_lo, exec_lo
	s_branch .LBB4_5638
.LBB4_5643:                             ;   in Loop: Header=BB4_2861 Depth=1
	s_inst_prefetch 0x2
	s_or_b32 exec_lo, exec_lo, s26
	s_and_saveexec_b32 s26, s27
	s_xor_b32 s26, exec_lo, s26
	s_cbranch_execz .LBB4_5645
; %bb.5644:                             ;   in Loop: Header=BB4_2861 Depth=1
	ds_write_b32 v0, v83
	s_trap 2
.LBB4_5645:                             ;   in Loop: Header=BB4_2861 Depth=1
	s_or_b32 exec_lo, exec_lo, s25
	;;#ASMSTART
	s_wakeup
	;;#ASMEND
.LBB4_5646:                             ;   in Loop: Header=BB4_2861 Depth=1
	s_or_b32 exec_lo, exec_lo, s24
.LBB4_5647:                             ;   in Loop: Header=BB4_2861 Depth=1
	s_andn2_saveexec_b32 s23, s23
	s_cbranch_execz .LBB4_5649
; %bb.5648:                             ;   in Loop: Header=BB4_2861 Depth=1
	s_waitcnt vmcnt(0) lgkmcnt(0)
	s_waitcnt_vscnt null, 0x0
	buffer_gl1_inv
	buffer_gl0_inv
	s_barrier
.LBB4_5649:                             ;   in Loop: Header=BB4_2861 Depth=1
	s_or_b32 exec_lo, exec_lo, s23
.LBB4_5650:                             ;   in Loop: Header=BB4_2861 Depth=1
	s_or_b32 exec_lo, exec_lo, s12
	s_trap 2
	ds_read_b32 v10, v0
	v_sub_nc_u32_e32 v11, v38, v14
	v_min_i32_e32 v11, v39, v11
	v_cmp_lt_i32_e32 vcc_lo, 0, v11
	s_waitcnt lgkmcnt(0)
	v_readfirstlane_b32 s12, v10
	v_and_b32_e32 v10, 16, v68
	s_cmp_eq_u32 s12, 0
	v_cmp_ne_u32_e64 s12, 0, v10
	s_cselect_b32 s23, -1, 0
	s_and_b32 s23, vcc_lo, s23
	s_and_b32 s23, s12, s23
	s_and_saveexec_b32 s12, s23
	s_cbranch_execz .LBB4_5652
; %bb.5651:                             ;   in Loop: Header=BB4_2861 Depth=1
	s_waitcnt vmcnt(0)
	s_waitcnt_vscnt null, 0x0
	buffer_gl1_inv
	buffer_gl0_inv
.LBB4_5652:                             ;   in Loop: Header=BB4_2861 Depth=1
	s_or_b32 exec_lo, exec_lo, s12
	v_and_b32_e32 v10, 32, v68
	s_mov_b32 s12, exec_lo
	v_cmpx_ne_u32_e32 0, v10
	s_cbranch_execz .LBB4_2859
; %bb.5653:                             ;   in Loop: Header=BB4_2861 Depth=1
	v_add_co_u32 v8, vcc_lo, v8, 1
	v_add_co_ci_u32_e64 v9, null, 0, v9, vcc_lo
	s_waitcnt vmcnt(0)
	s_waitcnt_vscnt null, 0x0
	flat_store_dwordx2 v[22:23], v[8:9]
	s_branch .LBB4_2859
.LBB4_5654:
	s_or_b32 exec_lo, exec_lo, s20
.LBB4_5655:
	s_or_b32 exec_lo, exec_lo, s18
.LBB4_5656:
	s_or_b32 exec_lo, exec_lo, s14
                                        ; implicit-def: $vgpr18_vgpr19
                                        ; implicit-def: $vgpr4_vgpr5
                                        ; implicit-def: $vgpr34_vgpr35
                                        ; implicit-def: $vgpr69
                                        ; implicit-def: $vgpr28_vgpr29
                                        ; implicit-def: $vgpr24_vgpr25
                                        ; implicit-def: $vgpr22_vgpr23
                                        ; implicit-def: $vgpr0
                                        ; implicit-def: $vgpr38
                                        ; implicit-def: $vgpr32
.LBB4_5657:
	s_andn2_saveexec_b32 s17, s17
	s_cbranch_execz .LBB4_7413
; %bb.5658:
	v_mov_b32_e32 v26, 0
	v_mov_b32_e32 v27, 0
	s_mov_b32 s18, exec_lo
	v_cmpx_ne_u64_e32 0, v[4:5]
	s_cbranch_execz .LBB4_7412
; %bb.5659:
	v_and_b32_e32 v10, 31, v31
	v_and_b32_e32 v39, 31, v0
	v_lshrrev_b32_e32 v64, 5, v1
	v_lshrrev_b32_e32 v65, 5, v0
	s_ashr_i32 s6, s16, 31
	v_cmp_eq_u32_e64 s7, 0, v10
	v_lshlrev_b32_e32 v10, 4, v39
	s_lshr_b32 s6, s6, 24
	v_cmp_eq_u32_e32 vcc_lo, 32, v1
	v_mov_b32_e32 v16, 0
	s_waitcnt lgkmcnt(1)
	v_cmp_ne_u64_e64 s12, 0, v[34:35]
	v_mov_b32_e32 v26, 0
	v_cmp_ge_u32_e64 s5, v0, v1
	s_add_i32 s13, s16, s6
	v_cmp_ne_u32_e64 s6, 32, v1
	s_waitcnt vmcnt(0)
	v_cmp_ne_u32_sdwa s16, v1, v30 src0_sel:DWORD src1_sel:WORD_0
	v_mov_b32_e32 v15, 0
	v_cmp_eq_u32_e64 s10, 0, v39
	v_cmp_lt_u32_e64 s11, v39, v38
	v_lshlrev_b32_e32 v66, 11, v64
	v_lshlrev_b32_e32 v67, 9, v64
	v_and_b32_e32 v70, 0x1fe0, v1
	v_mov_b32_e32 v17, 0
	v_lshl_or_b32 v71, v65, 11, v10
	v_mov_b32_e32 v80, 1
	v_mov_b32_e32 v81, 0x7f
	;; [unrolled: 1-line block ×7, first 2 shown]
	s_ashr_i32 s20, s13, 8
	s_mov_b32 s19, 0
	s_xor_b32 s21, vcc_lo, -1
	s_trap 2
	s_branch .LBB4_5663
.LBB4_5660:                             ;   in Loop: Header=BB4_5663 Depth=1
	s_or_b32 exec_lo, exec_lo, s22
	v_add_co_u32 v8, vcc_lo, v8, 1
	v_add_co_ci_u32_e64 v9, null, 0, v9, vcc_lo
	s_waitcnt vmcnt(0) lgkmcnt(0)
	s_waitcnt_vscnt null, 0x0
	flat_store_dwordx2 v[22:23], v[8:9]
.LBB4_5661:                             ;   in Loop: Header=BB4_5663 Depth=1
	s_or_b32 exec_lo, exec_lo, s13
.LBB4_5662:                             ;   in Loop: Header=BB4_5663 Depth=1
	s_or_b32 exec_lo, exec_lo, s14
	v_add_co_u32 v16, vcc_lo, v16, v32
	v_add_co_ci_u32_e64 v17, null, 0, v17, vcc_lo
	v_cmp_ge_u64_e32 vcc_lo, v[16:17], v[4:5]
	s_or_b32 s19, vcc_lo, s19
	s_andn2_b32 exec_lo, exec_lo, s19
	s_cbranch_execz .LBB4_7411
.LBB4_5663:                             ; =>This Loop Header: Depth=1
                                        ;     Child Loop BB4_5672 Depth 2
                                        ;     Child Loop BB4_5696 Depth 2
	;; [unrolled: 1-line block ×10, first 2 shown]
	v_sub_co_u32 v10, vcc_lo, v4, v16
	v_sub_co_ci_u32_e64 v11, null, v5, v17, vcc_lo
	v_cmp_lt_u64_e32 vcc_lo, v[32:33], v[10:11]
	v_cndmask_b32_e32 v36, v10, v32, vcc_lo
	v_cndmask_b32_e64 v37, v11, 0, vcc_lo
	v_add_nc_u32_e32 v10, 15, v36
	v_cmp_eq_u64_e32 vcc_lo, 0, v[36:37]
	v_and_b32_e32 v10, 0x7ffffff0, v10
	s_or_b32 s22, s5, vcc_lo
	s_xor_b32 s13, s22, -1
	v_max_i32_e32 v14, s20, v10
	v_mov_b32_e32 v10, 0
	s_and_saveexec_b32 s23, s13
	s_cbranch_execz .LBB4_7364
; %bb.5664:                             ;   in Loop: Header=BB4_5663 Depth=1
	s_and_saveexec_b32 s13, s4
	s_cbranch_execz .LBB4_5666
; %bb.5665:                             ;   in Loop: Header=BB4_5663 Depth=1
	s_trap 2
	ds_read_b64 v[10:11], v0
	s_waitcnt lgkmcnt(0)
	v_add_co_u32 v12, vcc_lo, v10, v18
	v_add_co_ci_u32_e64 v11, null, v11, v19, vcc_lo
	v_mov_b32_e32 v10, v15
	v_add_co_u32 v12, vcc_lo, v12, v16
	v_add_co_ci_u32_e64 v13, null, v11, v17, vcc_lo
	v_mov_b32_e32 v11, v15
	ds_write_b64 v0, v[12:13]
	ds_write_b64 v0, v[10:11]
.LBB4_5666:                             ;   in Loop: Header=BB4_5663 Depth=1
	s_or_b32 exec_lo, exec_lo, s13
	v_and_b32_e32 v10, 8, v68
	v_min_u32_e32 v14, v14, v36
	s_mov_b32 s14, exec_lo
	v_cmpx_ne_u32_e32 0, v10
	s_cbranch_execz .LBB4_5688
; %bb.5667:                             ;   in Loop: Header=BB4_5663 Depth=1
	s_waitcnt vmcnt(0)
	v_add_co_u32 v12, vcc_lo, v28, 8
	v_add_co_ci_u32_e64 v13, null, 0, v29, vcc_lo
	s_waitcnt lgkmcnt(0)
	v_add_co_u32 v10, vcc_lo, v8, 1
	v_add_co_ci_u32_e64 v11, null, 0, v9, vcc_lo
	s_mov_b32 s24, exec_lo
	v_cmpx_lt_u64_e64 v[12:13], v[10:11]
	s_cbranch_execz .LBB4_5679
; %bb.5668:                             ;   in Loop: Header=BB4_5663 Depth=1
	v_and_b32_e32 v9, 64, v68
	s_mov_b32 s25, 0
	s_mov_b32 s29, 0
                                        ; implicit-def: $sgpr26
                                        ; implicit-def: $sgpr27
                                        ; implicit-def: $sgpr28
	v_cmp_eq_u32_e32 vcc_lo, 0, v9
	s_branch .LBB4_5672
.LBB4_5669:                             ;   in Loop: Header=BB4_5672 Depth=2
	s_waitcnt vmcnt(0) lgkmcnt(0)
	v_add_co_u32 v12, s13, v28, 8
	v_add_co_ci_u32_e64 v13, null, 0, v29, s13
	s_or_b32 s42, s42, exec_lo
	v_cmp_ge_u64_e64 s13, v[12:13], v[10:11]
	s_orn2_b32 s41, s13, exec_lo
.LBB4_5670:                             ;   in Loop: Header=BB4_5672 Depth=2
	s_or_b32 exec_lo, exec_lo, s44
	s_andn2_b32 s13, s28, exec_lo
	s_and_b32 s28, s42, exec_lo
	s_andn2_b32 s27, s27, exec_lo
	s_and_b32 s41, s41, exec_lo
	s_or_b32 s28, s13, s28
	s_or_b32 s27, s27, s41
.LBB4_5671:                             ;   in Loop: Header=BB4_5672 Depth=2
	s_or_b32 exec_lo, exec_lo, s40
	s_and_b32 s13, exec_lo, s27
	s_or_b32 s25, s13, s25
	s_andn2_b32 s13, s26, exec_lo
	s_and_b32 s26, s28, exec_lo
	s_or_b32 s26, s13, s26
	s_andn2_b32 exec_lo, exec_lo, s25
	s_cbranch_execz .LBB4_5676
.LBB4_5672:                             ;   Parent Loop BB4_5663 Depth=1
                                        ; =>  This Inner Loop Header: Depth=2
	s_sleep 1
	s_waitcnt vmcnt(0) lgkmcnt(0)
	flat_load_dwordx2 v[28:29], v[22:23] glc dlc
	s_or_b32 s28, s28, exec_lo
	s_or_b32 s27, s27, exec_lo
                                        ; implicit-def: $vgpr9
	s_and_saveexec_b32 s40, vcc_lo
	s_cbranch_execz .LBB4_5671
; %bb.5673:                             ;   in Loop: Header=BB4_5672 Depth=2
	s_cmpk_lt_i32 s29, 0x270f
	s_mov_b32 s41, -1
	s_cselect_b32 s43, -1, 0
	s_cmpk_gt_i32 s29, 0x270e
	s_cbranch_scc0 .LBB4_5675
; %bb.5674:                             ;   in Loop: Header=BB4_5672 Depth=2
	s_trap 2
	ds_read_b64 v[12:13], v0
	s_andn2_b32 s29, s43, exec_lo
	s_mov_b32 s42, 0
	s_waitcnt vmcnt(0) lgkmcnt(0)
	s_waitcnt_vscnt null, 0x0
	flat_load_dword v9, v[12:13] glc dlc
	s_waitcnt vmcnt(0) lgkmcnt(0)
	buffer_gl1_inv
	buffer_gl0_inv
	v_cmp_eq_u32_e64 s13, 0, v9
	s_and_b32 s13, s13, exec_lo
	s_or_b32 s43, s29, s13
	s_mov_b32 s29, 0
	s_and_saveexec_b32 s44, s43
	s_cbranch_execz .LBB4_5670
	s_branch .LBB4_5669
.LBB4_5675:                             ;   in Loop: Header=BB4_5672 Depth=2
	s_add_i32 s29, s29, 1
	s_mov_b32 s42, -1
                                        ; implicit-def: $vgpr9
	s_and_saveexec_b32 s44, s43
	s_cbranch_execz .LBB4_5670
	s_branch .LBB4_5669
.LBB4_5676:                             ;   in Loop: Header=BB4_5663 Depth=1
	s_or_b32 exec_lo, exec_lo, s25
	s_xor_b32 s13, s26, -1
	s_and_saveexec_b32 s25, s13
	s_xor_b32 s13, exec_lo, s25
	s_cbranch_execz .LBB4_5678
; %bb.5677:                             ;   in Loop: Header=BB4_5663 Depth=1
	v_or_b32_e32 v68, 64, v68
	s_waitcnt vmcnt(0) lgkmcnt(0)
	s_waitcnt_vscnt null, 0x0
	ds_write_b32 v0, v9
	s_trap 2
.LBB4_5678:                             ;   in Loop: Header=BB4_5663 Depth=1
	s_or_b32 exec_lo, exec_lo, s13
.LBB4_5679:                             ;   in Loop: Header=BB4_5663 Depth=1
	s_or_b32 exec_lo, exec_lo, s24
	v_and_b32_e32 v9, 0x100, v68
	v_and_b32_e32 v37, 7, v8
	s_mov_b32 s13, -1
	;;#ASMSTART
	s_wakeup
	;;#ASMEND
	v_cmp_ne_u32_e32 vcc_lo, 0, v9
                                        ; implicit-def: $vgpr8_vgpr9
	s_and_saveexec_b32 s24, vcc_lo
	s_cbranch_execz .LBB4_5683
; %bb.5680:                             ;   in Loop: Header=BB4_5663 Depth=1
	v_mad_u64_u32 v[12:13], null, v37, 24, v[6:7]
	flat_load_dword v8, v[12:13]
	flat_store_dwordx2 v[12:13], v[14:15] offset:8
	s_waitcnt vmcnt(0) lgkmcnt(1)
	v_cmp_eq_u32_e64 s13, 1, v8
	v_cmp_ne_u32_e32 vcc_lo, 1, v8
                                        ; implicit-def: $vgpr8_vgpr9
	s_and_saveexec_b32 s25, s13
	s_cbranch_execz .LBB4_5682
; %bb.5681:                             ;   in Loop: Header=BB4_5663 Depth=1
	flat_load_dword v8, v[12:13] offset:4 glc dlc
	s_waitcnt vmcnt(0) lgkmcnt(0)
	v_ashrrev_i32_e32 v9, 31, v8
.LBB4_5682:                             ;   in Loop: Header=BB4_5663 Depth=1
	s_or_b32 exec_lo, exec_lo, s25
	s_orn2_b32 s13, vcc_lo, exec_lo
.LBB4_5683:                             ;   in Loop: Header=BB4_5663 Depth=1
	s_or_b32 exec_lo, exec_lo, s24
	s_and_saveexec_b32 s24, s13
; %bb.5684:                             ;   in Loop: Header=BB4_5663 Depth=1
	v_mad_i64_i32 v[8:9], null, v37, v69, 0
; %bb.5685:                             ;   in Loop: Header=BB4_5663 Depth=1
	s_or_b32 exec_lo, exec_lo, s24
	v_add_co_u32 v8, vcc_lo, v24, v8
	v_and_b32_e32 v12, 0x2000, v68
	v_add_co_ci_u32_e64 v9, null, v25, v9, vcc_lo
	s_mov_b32 s13, exec_lo
	ds_write_b64 v0, v[8:9] offset:784
	v_cmpx_ne_u32_e32 0, v12
	s_cbranch_execz .LBB4_5687
; %bb.5686:                             ;   in Loop: Header=BB4_5663 Depth=1
	ds_read_b64 v[8:9], v0 offset:872
	s_waitcnt lgkmcnt(0)
	v_add_co_u32 v8, vcc_lo, v8, 1
	v_add_co_ci_u32_e64 v9, null, 0, v9, vcc_lo
	ds_write_b64 v0, v[8:9] offset:872
.LBB4_5687:                             ;   in Loop: Header=BB4_5663 Depth=1
	s_or_b32 exec_lo, exec_lo, s13
	v_mov_b32_e32 v8, v10
	v_mov_b32_e32 v9, v11
.LBB4_5688:                             ;   in Loop: Header=BB4_5663 Depth=1
	s_or_b32 exec_lo, exec_lo, s14
	s_and_saveexec_b32 s13, s6
	s_cbranch_execz .LBB4_5707
; %bb.5689:                             ;   in Loop: Header=BB4_5663 Depth=1
	s_and_saveexec_b32 s14, s16
	s_xor_b32 s14, exec_lo, s14
	s_cbranch_execz .LBB4_5704
; %bb.5690:                             ;   in Loop: Header=BB4_5663 Depth=1
	s_and_saveexec_b32 s24, s7
	s_cbranch_execz .LBB4_5703
; %bb.5691:                             ;   in Loop: Header=BB4_5663 Depth=1
	s_mov_b32 s26, exec_lo
	s_mov_b32 s25, exec_lo
	v_mbcnt_lo_u32_b32 v10, s26, 0
	s_waitcnt vmcnt(0) lgkmcnt(0)
	s_waitcnt_vscnt null, 0x0
	buffer_gl1_inv
	buffer_gl0_inv
	v_cmpx_eq_u32_e32 0, v10
	s_cbranch_execz .LBB4_5693
; %bb.5692:                             ;   in Loop: Header=BB4_5663 Depth=1
	s_bcnt1_i32_b32 s26, s26
	v_mov_b32_e32 v11, v15
	v_mov_b32_e32 v10, s26
	ds_add_u64 v0, v[10:11]
	s_trap 2
.LBB4_5693:                             ;   in Loop: Header=BB4_5663 Depth=1
	s_or_b32 exec_lo, exec_lo, s25
	s_trap 2
	ds_read_b64 v[10:11], v0
	s_waitcnt lgkmcnt(0)
	buffer_gl0_inv
	v_add_co_u32 v26, vcc_lo, v26, v64
	v_add_co_ci_u32_e64 v27, null, 0, v27, vcc_lo
	s_mov_b32 s25, exec_lo
	v_cmpx_lt_u64_e64 v[10:11], v[26:27]
	s_cbranch_execz .LBB4_5702
; %bb.5694:                             ;   in Loop: Header=BB4_5663 Depth=1
	s_mov_b32 s26, 0
	s_mov_b32 s29, 0
                                        ; implicit-def: $sgpr27
                                        ; implicit-def: $sgpr28
	s_inst_prefetch 0x1
	s_branch .LBB4_5696
	.p2align	6
.LBB4_5695:                             ;   in Loop: Header=BB4_5696 Depth=2
	s_or_b32 exec_lo, exec_lo, s41
	s_and_b32 s40, exec_lo, s42
	s_or_b32 s26, s40, s26
	s_andn2_b32 s27, s27, exec_lo
	s_and_b32 s40, s28, exec_lo
	s_or_b32 s27, s27, s40
	s_andn2_b32 exec_lo, exec_lo, s26
	s_cbranch_execz .LBB4_5700
.LBB4_5696:                             ;   Parent Loop BB4_5663 Depth=1
                                        ; =>  This Inner Loop Header: Depth=2
	s_add_i32 s29, s29, 1
	s_cmpk_lg_i32 s29, 0x2710
	s_cselect_b32 s40, -1, 0
	s_and_b32 vcc_lo, exec_lo, s40
	s_cbranch_vccz .LBB4_5698
; %bb.5697:                             ;   in Loop: Header=BB4_5696 Depth=2
	s_mov_b32 s42, -1
	s_or_b32 s28, s28, exec_lo
	s_and_saveexec_b32 s41, s40
	s_cbranch_execz .LBB4_5695
	s_branch .LBB4_5699
	.p2align	6
.LBB4_5698:                             ;   in Loop: Header=BB4_5696 Depth=2
	s_trap 2
	ds_read_b64 v[10:11], v0
	s_andn2_b32 s40, s40, exec_lo
	s_mov_b32 s29, 0
	s_waitcnt lgkmcnt(0)
	flat_load_dword v10, v[10:11] glc dlc
	s_waitcnt vmcnt(0) lgkmcnt(0)
	buffer_gl1_inv
	buffer_gl0_inv
	v_cmp_eq_u32_e32 vcc_lo, 0, v10
	s_and_b32 s41, vcc_lo, exec_lo
	s_or_b32 s40, s40, s41
	s_mov_b32 s42, -1
	s_or_b32 s28, s28, exec_lo
	s_and_saveexec_b32 s41, s40
	s_cbranch_execz .LBB4_5695
.LBB4_5699:                             ;   in Loop: Header=BB4_5696 Depth=2
	s_sleep 1
	s_trap 2
	ds_read_b64 v[10:11], v0
	s_waitcnt lgkmcnt(0)
	buffer_gl0_inv
	s_andn2_b32 s28, s28, exec_lo
	v_cmp_ge_u64_e32 vcc_lo, v[10:11], v[26:27]
	s_orn2_b32 s42, vcc_lo, exec_lo
	s_branch .LBB4_5695
.LBB4_5700:                             ;   in Loop: Header=BB4_5663 Depth=1
	s_inst_prefetch 0x2
	s_or_b32 exec_lo, exec_lo, s26
	s_and_saveexec_b32 s26, s27
	s_xor_b32 s26, exec_lo, s26
	s_cbranch_execz .LBB4_5702
; %bb.5701:                             ;   in Loop: Header=BB4_5663 Depth=1
	ds_write_b32 v0, v80
	s_trap 2
.LBB4_5702:                             ;   in Loop: Header=BB4_5663 Depth=1
	s_or_b32 exec_lo, exec_lo, s25
	;;#ASMSTART
	s_wakeup
	;;#ASMEND
.LBB4_5703:                             ;   in Loop: Header=BB4_5663 Depth=1
	s_or_b32 exec_lo, exec_lo, s24
.LBB4_5704:                             ;   in Loop: Header=BB4_5663 Depth=1
	s_andn2_saveexec_b32 s14, s14
	s_cbranch_execz .LBB4_5706
; %bb.5705:                             ;   in Loop: Header=BB4_5663 Depth=1
	s_waitcnt vmcnt(0) lgkmcnt(0)
	s_waitcnt_vscnt null, 0x0
	buffer_gl1_inv
	buffer_gl0_inv
	s_barrier
.LBB4_5706:                             ;   in Loop: Header=BB4_5663 Depth=1
	s_or_b32 exec_lo, exec_lo, s14
.LBB4_5707:                             ;   in Loop: Header=BB4_5663 Depth=1
	s_or_b32 exec_lo, exec_lo, s13
	s_trap 2
	ds_read_b32 v10, v0
	v_and_b32_e32 v11, 0x4000, v68
	v_cmp_ne_u32_e32 vcc_lo, 0, v11
	s_and_b32 s14, s21, vcc_lo
	s_and_saveexec_b32 s13, s14
	s_cbranch_execz .LBB4_5726
; %bb.5708:                             ;   in Loop: Header=BB4_5663 Depth=1
	s_and_saveexec_b32 s14, s16
	s_xor_b32 s14, exec_lo, s14
	s_cbranch_execz .LBB4_5723
; %bb.5709:                             ;   in Loop: Header=BB4_5663 Depth=1
	s_and_saveexec_b32 s24, s7
	s_cbranch_execz .LBB4_5722
; %bb.5710:                             ;   in Loop: Header=BB4_5663 Depth=1
	s_mov_b32 s26, exec_lo
	s_mov_b32 s25, exec_lo
	v_mbcnt_lo_u32_b32 v11, s26, 0
	s_waitcnt vmcnt(0) lgkmcnt(0)
	s_waitcnt_vscnt null, 0x0
	buffer_gl1_inv
	buffer_gl0_inv
	v_cmpx_eq_u32_e32 0, v11
	s_cbranch_execz .LBB4_5712
; %bb.5711:                             ;   in Loop: Header=BB4_5663 Depth=1
	s_bcnt1_i32_b32 s26, s26
	v_mov_b32_e32 v12, v15
	v_mov_b32_e32 v11, s26
	ds_add_u64 v0, v[11:12]
	s_trap 2
.LBB4_5712:                             ;   in Loop: Header=BB4_5663 Depth=1
	s_or_b32 exec_lo, exec_lo, s25
	s_trap 2
	ds_read_b64 v[11:12], v0
	s_waitcnt lgkmcnt(0)
	buffer_gl0_inv
	v_add_co_u32 v26, vcc_lo, v26, v64
	v_add_co_ci_u32_e64 v27, null, 0, v27, vcc_lo
	s_mov_b32 s25, exec_lo
	v_cmpx_lt_u64_e64 v[11:12], v[26:27]
	s_cbranch_execz .LBB4_5721
; %bb.5713:                             ;   in Loop: Header=BB4_5663 Depth=1
	s_mov_b32 s26, 0
	s_mov_b32 s29, 0
                                        ; implicit-def: $sgpr27
                                        ; implicit-def: $sgpr28
	s_inst_prefetch 0x1
	s_branch .LBB4_5715
	.p2align	6
.LBB4_5714:                             ;   in Loop: Header=BB4_5715 Depth=2
	s_or_b32 exec_lo, exec_lo, s41
	s_and_b32 s40, exec_lo, s42
	s_or_b32 s26, s40, s26
	s_andn2_b32 s27, s27, exec_lo
	s_and_b32 s40, s28, exec_lo
	s_or_b32 s27, s27, s40
	s_andn2_b32 exec_lo, exec_lo, s26
	s_cbranch_execz .LBB4_5719
.LBB4_5715:                             ;   Parent Loop BB4_5663 Depth=1
                                        ; =>  This Inner Loop Header: Depth=2
	s_add_i32 s29, s29, 1
	s_cmpk_lg_i32 s29, 0x2710
	s_cselect_b32 s40, -1, 0
	s_and_b32 vcc_lo, exec_lo, s40
	s_cbranch_vccz .LBB4_5717
; %bb.5716:                             ;   in Loop: Header=BB4_5715 Depth=2
	s_mov_b32 s42, -1
	s_or_b32 s28, s28, exec_lo
	s_and_saveexec_b32 s41, s40
	s_cbranch_execz .LBB4_5714
	s_branch .LBB4_5718
	.p2align	6
.LBB4_5717:                             ;   in Loop: Header=BB4_5715 Depth=2
	s_trap 2
	ds_read_b64 v[11:12], v0
	s_andn2_b32 s40, s40, exec_lo
	s_mov_b32 s29, 0
	s_waitcnt lgkmcnt(0)
	flat_load_dword v11, v[11:12] glc dlc
	s_waitcnt vmcnt(0) lgkmcnt(0)
	buffer_gl1_inv
	buffer_gl0_inv
	v_cmp_eq_u32_e32 vcc_lo, 0, v11
	s_and_b32 s41, vcc_lo, exec_lo
	s_or_b32 s40, s40, s41
	s_mov_b32 s42, -1
	s_or_b32 s28, s28, exec_lo
	s_and_saveexec_b32 s41, s40
	s_cbranch_execz .LBB4_5714
.LBB4_5718:                             ;   in Loop: Header=BB4_5715 Depth=2
	s_sleep 1
	s_trap 2
	ds_read_b64 v[11:12], v0
	s_waitcnt lgkmcnt(0)
	buffer_gl0_inv
	s_andn2_b32 s28, s28, exec_lo
	v_cmp_ge_u64_e32 vcc_lo, v[11:12], v[26:27]
	s_orn2_b32 s42, vcc_lo, exec_lo
	s_branch .LBB4_5714
.LBB4_5719:                             ;   in Loop: Header=BB4_5663 Depth=1
	s_inst_prefetch 0x2
	s_or_b32 exec_lo, exec_lo, s26
	s_and_saveexec_b32 s26, s27
	s_xor_b32 s26, exec_lo, s26
	s_cbranch_execz .LBB4_5721
; %bb.5720:                             ;   in Loop: Header=BB4_5663 Depth=1
	ds_write_b32 v0, v80
	s_trap 2
.LBB4_5721:                             ;   in Loop: Header=BB4_5663 Depth=1
	s_or_b32 exec_lo, exec_lo, s25
	;;#ASMSTART
	s_wakeup
	;;#ASMEND
.LBB4_5722:                             ;   in Loop: Header=BB4_5663 Depth=1
	s_or_b32 exec_lo, exec_lo, s24
.LBB4_5723:                             ;   in Loop: Header=BB4_5663 Depth=1
	s_andn2_saveexec_b32 s14, s14
	s_cbranch_execz .LBB4_5725
; %bb.5724:                             ;   in Loop: Header=BB4_5663 Depth=1
	s_waitcnt vmcnt(0) lgkmcnt(0)
	s_waitcnt_vscnt null, 0x0
	buffer_gl1_inv
	buffer_gl0_inv
	s_barrier
.LBB4_5725:                             ;   in Loop: Header=BB4_5663 Depth=1
	s_or_b32 exec_lo, exec_lo, s14
.LBB4_5726:                             ;   in Loop: Header=BB4_5663 Depth=1
	s_or_b32 exec_lo, exec_lo, s13
	s_trap 2
	ds_read_b64 v[37:38], v0
	s_waitcnt lgkmcnt(0)
	v_cmp_eq_u64_e32 vcc_lo, 0, v[37:38]
	s_cbranch_vccnz .LBB4_5734
; %bb.5727:                             ;   in Loop: Header=BB4_5663 Depth=1
	s_trap 2
	ds_read_b64 v[48:49], v0
	s_waitcnt lgkmcnt(0)
	v_cmp_eq_u64_e32 vcc_lo, 0, v[48:49]
	s_cbranch_vccnz .LBB4_5734
; %bb.5728:                             ;   in Loop: Header=BB4_5663 Depth=1
	s_mov_b32 s13, -1
	s_and_saveexec_b32 s14, s10
	s_cbranch_execz .LBB4_5730
; %bb.5729:                             ;   in Loop: Header=BB4_5663 Depth=1
	ds_read_b32 v11, v0 offset:720
	s_waitcnt lgkmcnt(0)
	v_and_b32_e32 v11, 15, v11
	v_cmp_eq_u32_e32 vcc_lo, 0, v11
	s_orn2_b32 s13, vcc_lo, exec_lo
.LBB4_5730:                             ;   in Loop: Header=BB4_5663 Depth=1
	s_or_b32 exec_lo, exec_lo, s14
	s_and_saveexec_b32 s14, s11
	s_cbranch_execz .LBB4_5732
; %bb.5731:                             ;   in Loop: Header=BB4_5663 Depth=1
	ds_read_b32 v11, v0 offset:784
	s_waitcnt lgkmcnt(0)
	v_and_b32_e32 v11, 15, v11
	v_cmp_eq_u32_e32 vcc_lo, 0, v11
	s_and_b32 s24, s13, vcc_lo
	s_andn2_b32 s13, s13, exec_lo
	s_and_b32 s24, s24, exec_lo
	s_or_b32 s13, s13, s24
.LBB4_5732:                             ;   in Loop: Header=BB4_5663 Depth=1
	s_or_b32 exec_lo, exec_lo, s14
	v_cmp_eq_u32_e32 vcc_lo, 0, v10
	s_xor_b32 s13, s13, -1
	v_mov_b32_e32 v12, 0
	v_cndmask_b32_e64 v11, 0, 1, s13
	v_mov_b32_e32 v50, v0
	v_cndmask_b32_e32 v86, 0, v14, vcc_lo
	s_mov_b32 s13, -1
	v_cmp_ne_u32_e32 vcc_lo, 0, v11
	v_mov_b32_e32 v13, v86
	s_cbranch_vccz .LBB4_5735
; %bb.5733:                             ;   in Loop: Header=BB4_5663 Depth=1
	s_and_saveexec_b32 s14, s13
	s_cbranch_execnz .LBB4_7042
	s_branch .LBB4_7338
.LBB4_5734:                             ;   in Loop: Header=BB4_5663 Depth=1
	s_mov_b32 s13, 0
	s_and_saveexec_b32 s14, s6
	s_cbranch_execnz .LBB4_7339
	s_branch .LBB4_7357
.LBB4_5735:                             ;   in Loop: Header=BB4_5663 Depth=1
	v_lshrrev_b32_e32 v10, 11, v86
	s_mov_b32 s14, exec_lo
	v_sub_nc_u32_e32 v87, v10, v65
	v_cmpx_lt_i32_e32 0, v87
	s_cbranch_execz .LBB4_6771
; %bb.5736:                             ;   in Loop: Header=BB4_5663 Depth=1
	s_trap 2
	ds_read_b64 v[10:11], v0
	v_mov_b32_e32 v51, v49
	v_mov_b32_e32 v53, v38
	v_mov_b32_e32 v50, v48
	v_mov_b32_e32 v52, v37
	s_mov_b32 s24, 0
	s_waitcnt lgkmcnt(0)
	v_readfirstlane_b32 s13, v10
	s_and_b32 s25, s13, 7
	s_bfe_u32 s28, s13, 0x40003
	s_flbit_i32_b32 s26, s25
	s_min_u32 s26, s26, 32
	s_sub_i32 s27, s26, 28
	s_sub_i32 s26, 29, s26
	s_lshl_b32 s27, s13, s27
	s_and_b32 s27, s27, 7
	s_cmp_eq_u32 s28, 0
	s_cselect_b32 s26, s26, s28
	s_cselect_b32 s25, s27, s25
	s_lshl_b32 s27, s13, 24
	s_lshl_b32 s26, s26, 23
	s_and_b32 s27, s27, 0x80000000
	s_add_i32 s26, s26, 0x3b800000
	s_lshl_b32 s28, s25, 20
	s_or_b32 s26, s27, s26
	s_and_b32 s25, s13, 0xff
	s_or_b32 s26, s26, s28
	s_and_b32 s27, 0xffff, s25
	s_branch .LBB4_5740
.LBB4_5737:                             ;   in Loop: Header=BB4_5740 Depth=2
	s_or_b32 exec_lo, exec_lo, s13
	v_lshrrev_b32_e32 v122, 20, v125
	v_min_i32_e32 v123, 15, v124
	v_cmp_gt_i32_e32 vcc_lo, 16, v124
	v_and_b32_sdwa v13, v13, v82 dst_sel:DWORD dst_unused:UNUSED_PAD src0_sel:BYTE_3 src1_sel:DWORD
	v_lshlrev_b32_e32 v123, 3, v123
	v_cndmask_b32_e32 v122, 7, v122, vcc_lo
	v_and_b32_e32 v123, 0xf8, v123
	v_and_b32_e32 v125, 7, v122
	v_or_b32_e32 v122, v124, v122
	v_or3_b32 v13, v13, v123, v125
	v_cmp_ne_u32_e32 vcc_lo, 0, v122
	v_lshlrev_b32_e32 v13, 8, v13
	v_cndmask_b32_e32 v122, 0, v13, vcc_lo
.LBB4_5738:                             ;   in Loop: Header=BB4_5740 Depth=2
	s_or_b32 exec_lo, exec_lo, s29
.LBB4_5739:                             ;   in Loop: Header=BB4_5740 Depth=2
	s_or_b32 exec_lo, exec_lo, s28
	v_or_b32_sdwa v13, v79, v78 dst_sel:WORD_1 dst_unused:UNUSED_PAD src0_sel:DWORD src1_sel:DWORD
	v_or_b32_sdwa v75, v75, v74 dst_sel:WORD_1 dst_unused:UNUSED_PAD src0_sel:DWORD src1_sel:DWORD
	;; [unrolled: 1-line block ×4, first 2 shown]
	v_sub_nc_u32_e32 v87, v87, v64
	v_or3_b32 v74, v77, v76, v13
	v_or_b32_sdwa v13, v47, v46 dst_sel:WORD_1 dst_unused:UNUSED_PAD src0_sel:DWORD src1_sel:DWORD
	v_or_b32_sdwa v99, v99, v98 dst_sel:WORD_1 dst_unused:UNUSED_PAD src0_sel:DWORD src1_sel:DWORD
	v_or3_b32 v98, v101, v100, v102
	v_add_co_u32 v101, vcc_lo, v71, v50
	v_or3_b32 v42, v45, v44, v13
	v_or_b32_sdwa v13, v63, v62 dst_sel:WORD_1 dst_unused:UNUSED_PAD src0_sel:DWORD src1_sel:DWORD
	v_or_b32_sdwa v78, v91, v90 dst_sel:WORD_1 dst_unused:UNUSED_PAD src0_sel:DWORD src1_sel:DWORD
	;; [unrolled: 1-line block ×6, first 2 shown]
	v_or3_b32 v44, v61, v60, v13
	v_or_b32_sdwa v11, v11, v107 dst_sel:WORD_1 dst_unused:UNUSED_PAD src0_sel:DWORD src1_sel:DWORD
	v_or_b32_sdwa v10, v10, v104 dst_sel:WORD_1 dst_unused:UNUSED_PAD src0_sel:DWORD src1_sel:DWORD
	v_or_b32_sdwa v12, v12, v110 dst_sel:WORD_1 dst_unused:UNUSED_PAD src0_sel:DWORD src1_sel:DWORD
	v_or_b32_sdwa v13, v122, v121 dst_sel:WORD_1 dst_unused:UNUSED_PAD src0_sel:DWORD src1_sel:DWORD
	v_add_co_ci_u32_e64 v102, null, 0, v51, vcc_lo
	v_add_co_u32 v52, vcc_lo, v52, v66
	v_add_co_ci_u32_e64 v53, null, 0, v53, vcc_lo
	v_cmp_gt_i32_e32 vcc_lo, 1, v87
	v_add_co_u32 v50, s13, v50, v66
	v_or3_b32 v73, v73, v72, v75
	v_or3_b32 v75, v89, v88, v78
	;; [unrolled: 1-line block ×8, first 2 shown]
	v_add_co_ci_u32_e64 v51, null, 0, v51, s13
	v_or3_b32 v11, v106, v105, v11
	v_or3_b32 v10, v55, v54, v10
	;; [unrolled: 1-line block ×4, first 2 shown]
	s_or_b32 s24, vcc_lo, s24
	global_store_dwordx4 v[101:102], v[97:100], off glc slc
	global_store_dwordx4 v[101:102], v[41:44], off offset:512 glc slc
	global_store_dwordx4 v[101:102], v[73:76], off offset:1024 glc slc
	;; [unrolled: 1-line block ×3, first 2 shown]
	s_andn2_b32 exec_lo, exec_lo, s24
	s_cbranch_execz .LBB4_6770
.LBB4_5740:                             ;   Parent Loop BB4_5663 Depth=1
                                        ; =>  This Inner Loop Header: Depth=2
	s_cmpk_lt_i32 s25, 0x80
	s_cbranch_scc1 .LBB4_5744
; %bb.5741:                             ;   in Loop: Header=BB4_5740 Depth=2
	s_cmpk_eq_i32 s27, 0x80
	s_mov_b32 s13, -1
	s_cbranch_scc0 .LBB4_5743
; %bb.5742:                             ;   in Loop: Header=BB4_5740 Depth=2
	s_mov_b32 s13, 0
.LBB4_5743:                             ;   in Loop: Header=BB4_5740 Depth=2
	s_mov_b32 s28, 0x7f800001
	s_branch .LBB4_5746
.LBB4_5744:                             ;   in Loop: Header=BB4_5740 Depth=2
	s_mov_b32 s13, 0
	s_mov_b32 s28, 0x7f800001
	s_cbranch_execz .LBB4_5746
; %bb.5745:                             ;   in Loop: Header=BB4_5740 Depth=2
	s_cmp_lg_u32 s27, 0
	s_mov_b32 s28, 0
	s_cselect_b32 s13, -1, 0
.LBB4_5746:                             ;   in Loop: Header=BB4_5740 Depth=2
	s_andn2_b32 vcc_lo, exec_lo, s13
	s_cbranch_vccnz .LBB4_5748
; %bb.5747:                             ;   in Loop: Header=BB4_5740 Depth=2
	s_mov_b32 s28, s26
.LBB4_5748:                             ;   in Loop: Header=BB4_5740 Depth=2
	v_add_co_u32 v54, vcc_lo, v71, v52
	v_add_co_ci_u32_e64 v55, null, 0, v53, vcc_lo
	s_mov_b32 s13, 0
	global_load_dwordx4 v[10:13], v[54:55], off slc
	s_waitcnt vmcnt(0)
	v_cmp_gt_i16_sdwa s29, v10, v81 src0_sel:BYTE_0 src1_sel:DWORD
	s_and_saveexec_b32 s40, s29
	s_xor_b32 s29, exec_lo, s40
	s_cbranch_execz .LBB4_6642
; %bb.5749:                             ;   in Loop: Header=BB4_5740 Depth=2
	v_cmp_eq_u16_sdwa s41, v10, v82 src0_sel:BYTE_0 src1_sel:DWORD
	s_mov_b32 s13, -1
	s_and_saveexec_b32 s40, s41
; %bb.5750:                             ;   in Loop: Header=BB4_5740 Depth=2
	s_xor_b32 s13, exec_lo, -1
; %bb.5751:                             ;   in Loop: Header=BB4_5740 Depth=2
	s_or_b32 exec_lo, exec_lo, s40
	s_and_b32 s13, s13, exec_lo
	s_or_saveexec_b32 s29, s29
	v_mov_b32_e32 v96, 0x7f800001
	s_xor_b32 exec_lo, exec_lo, s29
	s_cbranch_execnz .LBB4_6643
.LBB4_5752:                             ;   in Loop: Header=BB4_5740 Depth=2
	s_or_b32 exec_lo, exec_lo, s29
	s_and_saveexec_b32 s29, s13
	s_cbranch_execz .LBB4_5754
.LBB4_5753:                             ;   in Loop: Header=BB4_5740 Depth=2
	v_and_b32_e32 v96, 7, v10
	v_bfe_u32 v99, v10, 3, 4
	v_lshlrev_b32_e32 v100, 24, v10
	v_ffbh_u32_e32 v97, v96
	v_cmp_eq_u32_e32 vcc_lo, 0, v99
	v_min_u32_e32 v97, 32, v97
	v_subrev_nc_u32_e32 v98, 28, v97
	v_sub_nc_u32_e32 v97, 29, v97
	v_lshlrev_b32_e32 v98, v98, v10
	v_cndmask_b32_e32 v97, v99, v97, vcc_lo
	v_and_b32_e32 v98, 7, v98
	v_lshl_add_u32 v97, v97, 23, 0x3b800000
	v_cndmask_b32_e32 v96, v96, v98, vcc_lo
	v_and_b32_e32 v98, 0x80000000, v100
	v_lshlrev_b32_e32 v96, 20, v96
	v_or3_b32 v96, v98, v97, v96
.LBB4_5754:                             ;   in Loop: Header=BB4_5740 Depth=2
	s_or_b32 exec_lo, exec_lo, s29
	v_mul_f32_e32 v97, s28, v96
	v_and_b32_e32 v96, 0x7f800000, v97
	v_cmp_ne_u32_e32 vcc_lo, 0x7f800000, v96
	v_mov_b32_e32 v96, 0x80
	s_and_saveexec_b32 s29, vcc_lo
	s_cbranch_execz .LBB4_5762
; %bb.5755:                             ;   in Loop: Header=BB4_5740 Depth=2
	v_mov_b32_e32 v96, 0
	s_mov_b32 s40, exec_lo
	v_cmpx_ne_u32_e32 0, v97
	s_cbranch_execz .LBB4_5761
; %bb.5756:                             ;   in Loop: Header=BB4_5740 Depth=2
	v_bfe_u32 v96, v97, 23, 8
	v_and_b32_e32 v98, 0x7fffff, v97
	v_sub_nc_u32_e32 v99, 0x78, v96
	v_cmp_gt_u32_e32 vcc_lo, 0x79, v96
	v_or_b32_e32 v100, 0x800000, v98
	v_cndmask_b32_e32 v99, 0, v99, vcc_lo
	v_cmp_eq_u32_e32 vcc_lo, 0, v96
	v_add_nc_u32_e32 v96, 0xffffff89, v96
	v_cndmask_b32_e64 v99, v99, 0x77, vcc_lo
	v_cndmask_b32_e32 v98, v100, v98, vcc_lo
	v_cndmask_b32_e64 v96, v96, 0xffffff8a, vcc_lo
	v_lshl_add_u32 v100, 0x100000, v99, -1
	v_lshrrev_b32_e32 v101, v99, v98
	v_lshlrev_b32_e64 v103, v99, 0x80000
	v_add_nc_u32_e32 v99, v99, v96
	v_and_b32_e32 v98, v100, v98
	v_bfe_u32 v102, v101, 20, 1
	v_cmp_eq_u32_e64 s13, v98, v103
	v_add_nc_u32_e32 v100, -1, v102
	v_cndmask_b32_e64 v98, 0, v100, s13
	v_lshrrev_b32_e32 v100, 23, v101
	s_mov_b32 s13, exec_lo
	v_add_nc_u32_e32 v98, v98, v101
	v_xor_b32_e32 v100, 1, v100
	v_and_b32_e32 v96, 0xfffff, v98
	v_add_nc_u32_e32 v98, v96, v101
                                        ; implicit-def: $vgpr96
	v_cmpx_ne_u32_e64 v99, v100
	s_xor_b32 s13, exec_lo, s13
; %bb.5757:                             ;   in Loop: Header=BB4_5740 Depth=2
	v_cmp_lt_u32_e32 vcc_lo, 0xffffff, v98
	v_sub_nc_u32_e32 v96, v99, v100
	v_cndmask_b32_e64 v99, 0, 1, vcc_lo
	v_add_co_ci_u32_e64 v96, null, 0, v96, vcc_lo
	v_lshrrev_b32_e32 v98, v99, v98
; %bb.5758:                             ;   in Loop: Header=BB4_5740 Depth=2
	s_andn2_saveexec_b32 s13, s13
; %bb.5759:                             ;   in Loop: Header=BB4_5740 Depth=2
	v_bfe_u32 v96, v98, 23, 1
; %bb.5760:                             ;   in Loop: Header=BB4_5740 Depth=2
	s_or_b32 exec_lo, exec_lo, s13
	v_lshrrev_b32_e32 v98, 20, v98
	v_min_i32_e32 v99, 15, v96
	v_cmp_gt_i32_e32 vcc_lo, 16, v96
	v_and_b32_sdwa v97, v97, v82 dst_sel:DWORD dst_unused:UNUSED_PAD src0_sel:BYTE_3 src1_sel:DWORD
	v_lshlrev_b32_e32 v99, 3, v99
	v_cndmask_b32_e32 v98, 7, v98, vcc_lo
	v_and_b32_e32 v99, 0xf8, v99
	v_and_b32_e32 v100, 7, v98
	v_or_b32_e32 v96, v96, v98
	v_or3_b32 v97, v99, v97, v100
	v_cmp_ne_u32_e32 vcc_lo, 0, v96
	v_cndmask_b32_e32 v96, 0, v97, vcc_lo
.LBB4_5761:                             ;   in Loop: Header=BB4_5740 Depth=2
	s_or_b32 exec_lo, exec_lo, s40
.LBB4_5762:                             ;   in Loop: Header=BB4_5740 Depth=2
	s_or_b32 exec_lo, exec_lo, s29
	v_cmp_gt_i16_sdwa s29, v10, v81 src0_sel:BYTE_1 src1_sel:DWORD
	s_mov_b32 s13, 0
	s_and_saveexec_b32 s40, s29
	s_xor_b32 s29, exec_lo, s40
	s_cbranch_execz .LBB4_6644
; %bb.5763:                             ;   in Loop: Header=BB4_5740 Depth=2
	v_cmp_eq_u16_sdwa s41, v10, v82 src0_sel:BYTE_1 src1_sel:DWORD
	s_mov_b32 s13, -1
	s_and_saveexec_b32 s40, s41
; %bb.5764:                             ;   in Loop: Header=BB4_5740 Depth=2
	s_xor_b32 s13, exec_lo, -1
; %bb.5765:                             ;   in Loop: Header=BB4_5740 Depth=2
	s_or_b32 exec_lo, exec_lo, s40
	s_and_b32 s13, s13, exec_lo
	s_or_saveexec_b32 s29, s29
	v_mov_b32_e32 v97, 0x7f800001
	s_xor_b32 exec_lo, exec_lo, s29
	s_cbranch_execnz .LBB4_6645
.LBB4_5766:                             ;   in Loop: Header=BB4_5740 Depth=2
	s_or_b32 exec_lo, exec_lo, s29
	s_and_saveexec_b32 s29, s13
	s_cbranch_execz .LBB4_5768
.LBB4_5767:                             ;   in Loop: Header=BB4_5740 Depth=2
	v_and_b32_sdwa v97, v83, v10 dst_sel:DWORD dst_unused:UNUSED_PAD src0_sel:DWORD src1_sel:BYTE_1
	v_and_b32_e32 v98, 7, v97
	v_bfe_u32 v101, v97, 3, 4
	v_ffbh_u32_e32 v99, v98
	v_cmp_eq_u32_e32 vcc_lo, 0, v101
	v_min_u32_e32 v99, 32, v99
	v_subrev_nc_u32_e32 v100, 28, v99
	v_sub_nc_u32_e32 v99, 29, v99
	v_lshlrev_b32_e32 v97, v100, v97
	v_lshlrev_b32_sdwa v100, v84, v10 dst_sel:DWORD dst_unused:UNUSED_PAD src0_sel:DWORD src1_sel:BYTE_1
	v_cndmask_b32_e32 v99, v101, v99, vcc_lo
	v_and_b32_e32 v97, 7, v97
	v_lshl_add_u32 v99, v99, 23, 0x3b800000
	v_cndmask_b32_e32 v97, v98, v97, vcc_lo
	v_and_b32_e32 v98, 0x80000000, v100
	v_lshlrev_b32_e32 v97, 20, v97
	v_or3_b32 v97, v98, v99, v97
.LBB4_5768:                             ;   in Loop: Header=BB4_5740 Depth=2
	s_or_b32 exec_lo, exec_lo, s29
	v_mul_f32_e32 v98, s28, v97
	v_and_b32_e32 v97, 0x7f800000, v98
	v_cmp_ne_u32_e32 vcc_lo, 0x7f800000, v97
	v_mov_b32_e32 v97, 0x8000
	s_and_saveexec_b32 s29, vcc_lo
	s_cbranch_execz .LBB4_5776
; %bb.5769:                             ;   in Loop: Header=BB4_5740 Depth=2
	v_mov_b32_e32 v97, 0
	s_mov_b32 s40, exec_lo
	v_cmpx_ne_u32_e32 0, v98
	s_cbranch_execz .LBB4_5775
; %bb.5770:                             ;   in Loop: Header=BB4_5740 Depth=2
	v_bfe_u32 v97, v98, 23, 8
	v_and_b32_e32 v99, 0x7fffff, v98
	v_sub_nc_u32_e32 v100, 0x78, v97
	v_cmp_gt_u32_e32 vcc_lo, 0x79, v97
	v_or_b32_e32 v101, 0x800000, v99
	v_cndmask_b32_e32 v100, 0, v100, vcc_lo
	v_cmp_eq_u32_e32 vcc_lo, 0, v97
	v_add_nc_u32_e32 v97, 0xffffff89, v97
	v_cndmask_b32_e64 v100, v100, 0x77, vcc_lo
	v_cndmask_b32_e32 v99, v101, v99, vcc_lo
	v_cndmask_b32_e64 v97, v97, 0xffffff8a, vcc_lo
	v_lshl_add_u32 v101, 0x100000, v100, -1
	v_lshrrev_b32_e32 v102, v100, v99
	v_lshlrev_b32_e64 v112, v100, 0x80000
	v_add_nc_u32_e32 v100, v100, v97
	v_and_b32_e32 v99, v101, v99
	v_bfe_u32 v103, v102, 20, 1
	v_cmp_eq_u32_e64 s13, v99, v112
	v_add_nc_u32_e32 v101, -1, v103
	v_cndmask_b32_e64 v99, 0, v101, s13
	v_lshrrev_b32_e32 v101, 23, v102
	s_mov_b32 s13, exec_lo
	v_add_nc_u32_e32 v99, v99, v102
	v_xor_b32_e32 v101, 1, v101
	v_and_b32_e32 v97, 0xfffff, v99
	v_add_nc_u32_e32 v99, v97, v102
                                        ; implicit-def: $vgpr97
	v_cmpx_ne_u32_e64 v100, v101
	s_xor_b32 s13, exec_lo, s13
; %bb.5771:                             ;   in Loop: Header=BB4_5740 Depth=2
	v_cmp_lt_u32_e32 vcc_lo, 0xffffff, v99
	v_sub_nc_u32_e32 v97, v100, v101
	v_cndmask_b32_e64 v100, 0, 1, vcc_lo
	v_add_co_ci_u32_e64 v97, null, 0, v97, vcc_lo
	v_lshrrev_b32_e32 v99, v100, v99
; %bb.5772:                             ;   in Loop: Header=BB4_5740 Depth=2
	s_andn2_saveexec_b32 s13, s13
; %bb.5773:                             ;   in Loop: Header=BB4_5740 Depth=2
	v_bfe_u32 v97, v99, 23, 1
; %bb.5774:                             ;   in Loop: Header=BB4_5740 Depth=2
	s_or_b32 exec_lo, exec_lo, s13
	v_lshrrev_b32_e32 v99, 20, v99
	v_min_i32_e32 v100, 15, v97
	v_cmp_gt_i32_e32 vcc_lo, 16, v97
	v_and_b32_sdwa v98, v98, v82 dst_sel:DWORD dst_unused:UNUSED_PAD src0_sel:BYTE_3 src1_sel:DWORD
	v_lshlrev_b32_e32 v100, 3, v100
	v_cndmask_b32_e32 v99, 7, v99, vcc_lo
	v_and_b32_e32 v100, 0xf8, v100
	v_and_b32_e32 v101, 7, v99
	v_or_b32_e32 v97, v97, v99
	v_or3_b32 v98, v98, v100, v101
	v_cmp_ne_u32_e32 vcc_lo, 0, v97
	v_lshlrev_b32_e32 v98, 8, v98
	v_cndmask_b32_e32 v97, 0, v98, vcc_lo
.LBB4_5775:                             ;   in Loop: Header=BB4_5740 Depth=2
	s_or_b32 exec_lo, exec_lo, s40
.LBB4_5776:                             ;   in Loop: Header=BB4_5740 Depth=2
	s_or_b32 exec_lo, exec_lo, s29
	v_and_b32_sdwa v99, v10, v85 dst_sel:DWORD dst_unused:UNUSED_PAD src0_sel:WORD_1 src1_sel:DWORD
	s_mov_b32 s13, 0
	s_mov_b32 s29, exec_lo
	v_cmpx_lt_i16_e32 0x7f, v99
	s_xor_b32 s29, exec_lo, s29
	s_cbranch_execz .LBB4_6646
; %bb.5777:                             ;   in Loop: Header=BB4_5740 Depth=2
	s_mov_b32 s13, -1
	s_mov_b32 s40, exec_lo
	v_cmpx_eq_u16_e32 0x80, v99
; %bb.5778:                             ;   in Loop: Header=BB4_5740 Depth=2
	s_xor_b32 s13, exec_lo, -1
; %bb.5779:                             ;   in Loop: Header=BB4_5740 Depth=2
	s_or_b32 exec_lo, exec_lo, s40
	s_and_b32 s13, s13, exec_lo
                                        ; implicit-def: $vgpr99
	s_or_saveexec_b32 s29, s29
	v_mov_b32_e32 v98, 0x7f800001
	s_xor_b32 exec_lo, exec_lo, s29
	s_cbranch_execnz .LBB4_6647
.LBB4_5780:                             ;   in Loop: Header=BB4_5740 Depth=2
	s_or_b32 exec_lo, exec_lo, s29
	s_and_saveexec_b32 s29, s13
	s_cbranch_execz .LBB4_5782
.LBB4_5781:                             ;   in Loop: Header=BB4_5740 Depth=2
	v_bfe_u32 v98, v10, 16, 3
	v_bfe_u32 v101, v10, 19, 4
	v_lshlrev_b32_e32 v102, 8, v10
	v_ffbh_u32_e32 v99, v98
	v_cmp_eq_u32_e32 vcc_lo, 0, v101
	v_min_u32_e32 v99, 32, v99
	v_subrev_nc_u32_e32 v100, 28, v99
	v_sub_nc_u32_e32 v99, 29, v99
	v_lshlrev_b32_sdwa v100, v100, v10 dst_sel:DWORD dst_unused:UNUSED_PAD src0_sel:DWORD src1_sel:WORD_1
	v_cndmask_b32_e32 v99, v101, v99, vcc_lo
	v_and_b32_e32 v100, 7, v100
	v_lshl_add_u32 v99, v99, 23, 0x3b800000
	v_cndmask_b32_e32 v98, v98, v100, vcc_lo
	v_and_b32_e32 v100, 0x80000000, v102
	v_lshlrev_b32_e32 v98, 20, v98
	v_or3_b32 v98, v100, v99, v98
.LBB4_5782:                             ;   in Loop: Header=BB4_5740 Depth=2
	s_or_b32 exec_lo, exec_lo, s29
	v_mul_f32_e32 v99, s28, v98
	v_and_b32_e32 v98, 0x7f800000, v99
	v_cmp_ne_u32_e32 vcc_lo, 0x7f800000, v98
	v_mov_b32_e32 v98, 0x80
	s_and_saveexec_b32 s29, vcc_lo
	s_cbranch_execz .LBB4_5790
; %bb.5783:                             ;   in Loop: Header=BB4_5740 Depth=2
	v_mov_b32_e32 v98, 0
	s_mov_b32 s40, exec_lo
	v_cmpx_ne_u32_e32 0, v99
	s_cbranch_execz .LBB4_5789
; %bb.5784:                             ;   in Loop: Header=BB4_5740 Depth=2
	v_bfe_u32 v98, v99, 23, 8
	v_and_b32_e32 v100, 0x7fffff, v99
	v_sub_nc_u32_e32 v101, 0x78, v98
	v_cmp_gt_u32_e32 vcc_lo, 0x79, v98
	v_or_b32_e32 v102, 0x800000, v100
	v_cndmask_b32_e32 v101, 0, v101, vcc_lo
	v_cmp_eq_u32_e32 vcc_lo, 0, v98
	v_add_nc_u32_e32 v98, 0xffffff89, v98
	v_cndmask_b32_e64 v101, v101, 0x77, vcc_lo
	v_cndmask_b32_e32 v100, v102, v100, vcc_lo
	v_cndmask_b32_e64 v98, v98, 0xffffff8a, vcc_lo
	v_lshl_add_u32 v102, 0x100000, v101, -1
	v_lshrrev_b32_e32 v103, v101, v100
	v_lshlrev_b32_e64 v113, v101, 0x80000
	v_add_nc_u32_e32 v101, v101, v98
	v_and_b32_e32 v100, v102, v100
	v_bfe_u32 v112, v103, 20, 1
	v_cmp_eq_u32_e64 s13, v100, v113
	v_add_nc_u32_e32 v102, -1, v112
	v_cndmask_b32_e64 v100, 0, v102, s13
	v_lshrrev_b32_e32 v102, 23, v103
	s_mov_b32 s13, exec_lo
	v_add_nc_u32_e32 v100, v100, v103
	v_xor_b32_e32 v102, 1, v102
	v_and_b32_e32 v98, 0xfffff, v100
	v_add_nc_u32_e32 v100, v98, v103
                                        ; implicit-def: $vgpr98
	v_cmpx_ne_u32_e64 v101, v102
	s_xor_b32 s13, exec_lo, s13
; %bb.5785:                             ;   in Loop: Header=BB4_5740 Depth=2
	v_cmp_lt_u32_e32 vcc_lo, 0xffffff, v100
	v_sub_nc_u32_e32 v98, v101, v102
	v_cndmask_b32_e64 v101, 0, 1, vcc_lo
	v_add_co_ci_u32_e64 v98, null, 0, v98, vcc_lo
	v_lshrrev_b32_e32 v100, v101, v100
; %bb.5786:                             ;   in Loop: Header=BB4_5740 Depth=2
	s_andn2_saveexec_b32 s13, s13
; %bb.5787:                             ;   in Loop: Header=BB4_5740 Depth=2
	v_bfe_u32 v98, v100, 23, 1
; %bb.5788:                             ;   in Loop: Header=BB4_5740 Depth=2
	s_or_b32 exec_lo, exec_lo, s13
	v_lshrrev_b32_e32 v100, 20, v100
	v_min_i32_e32 v101, 15, v98
	v_cmp_gt_i32_e32 vcc_lo, 16, v98
	v_and_b32_sdwa v99, v99, v82 dst_sel:DWORD dst_unused:UNUSED_PAD src0_sel:BYTE_3 src1_sel:DWORD
	v_lshlrev_b32_e32 v101, 3, v101
	v_cndmask_b32_e32 v100, 7, v100, vcc_lo
	v_and_b32_e32 v101, 0xf8, v101
	v_and_b32_e32 v102, 7, v100
	v_or_b32_e32 v98, v98, v100
	v_or3_b32 v99, v101, v99, v102
	v_cmp_ne_u32_e32 vcc_lo, 0, v98
	v_cndmask_b32_e32 v98, 0, v99, vcc_lo
.LBB4_5789:                             ;   in Loop: Header=BB4_5740 Depth=2
	s_or_b32 exec_lo, exec_lo, s40
.LBB4_5790:                             ;   in Loop: Header=BB4_5740 Depth=2
	s_or_b32 exec_lo, exec_lo, s29
	v_cmp_gt_i16_sdwa s29, v10, v81 src0_sel:BYTE_3 src1_sel:DWORD
	s_mov_b32 s13, 0
	s_and_saveexec_b32 s40, s29
	s_xor_b32 s29, exec_lo, s40
	s_cbranch_execz .LBB4_6648
; %bb.5791:                             ;   in Loop: Header=BB4_5740 Depth=2
	v_cmp_eq_u16_sdwa s41, v10, v82 src0_sel:BYTE_3 src1_sel:DWORD
	s_mov_b32 s13, -1
	s_and_saveexec_b32 s40, s41
; %bb.5792:                             ;   in Loop: Header=BB4_5740 Depth=2
	s_xor_b32 s13, exec_lo, -1
; %bb.5793:                             ;   in Loop: Header=BB4_5740 Depth=2
	s_or_b32 exec_lo, exec_lo, s40
	s_and_b32 s13, s13, exec_lo
	s_or_saveexec_b32 s29, s29
	v_mov_b32_e32 v99, 0x7f800001
	s_xor_b32 exec_lo, exec_lo, s29
	s_cbranch_execnz .LBB4_6649
.LBB4_5794:                             ;   in Loop: Header=BB4_5740 Depth=2
	s_or_b32 exec_lo, exec_lo, s29
	s_and_saveexec_b32 s29, s13
	s_cbranch_execz .LBB4_5796
.LBB4_5795:                             ;   in Loop: Header=BB4_5740 Depth=2
	v_bfe_u32 v99, v10, 24, 3
	v_bfe_u32 v102, v10, 27, 4
	v_ffbh_u32_e32 v100, v99
	v_cmp_eq_u32_e32 vcc_lo, 0, v102
	v_min_u32_e32 v100, 32, v100
	v_subrev_nc_u32_e32 v101, 28, v100
	v_sub_nc_u32_e32 v100, 29, v100
	v_lshlrev_b32_sdwa v101, v101, v10 dst_sel:DWORD dst_unused:UNUSED_PAD src0_sel:DWORD src1_sel:BYTE_3
	v_cndmask_b32_e32 v100, v102, v100, vcc_lo
	v_and_b32_e32 v10, 0x80000000, v10
	v_and_b32_e32 v101, 7, v101
	v_lshl_add_u32 v100, v100, 23, 0x3b800000
	v_cndmask_b32_e32 v99, v99, v101, vcc_lo
	v_lshlrev_b32_e32 v99, 20, v99
	v_or3_b32 v99, v10, v100, v99
.LBB4_5796:                             ;   in Loop: Header=BB4_5740 Depth=2
	s_or_b32 exec_lo, exec_lo, s29
	v_mul_f32_e32 v10, s28, v99
	v_and_b32_e32 v99, 0x7f800000, v10
	v_cmp_ne_u32_e32 vcc_lo, 0x7f800000, v99
	v_mov_b32_e32 v99, 0x8000
	s_and_saveexec_b32 s29, vcc_lo
	s_cbranch_execz .LBB4_5804
; %bb.5797:                             ;   in Loop: Header=BB4_5740 Depth=2
	v_mov_b32_e32 v99, 0
	s_mov_b32 s40, exec_lo
	v_cmpx_ne_u32_e32 0, v10
	s_cbranch_execz .LBB4_5803
; %bb.5798:                             ;   in Loop: Header=BB4_5740 Depth=2
	v_bfe_u32 v99, v10, 23, 8
	v_and_b32_e32 v100, 0x7fffff, v10
	v_sub_nc_u32_e32 v101, 0x78, v99
	v_cmp_gt_u32_e32 vcc_lo, 0x79, v99
	v_or_b32_e32 v102, 0x800000, v100
	v_cndmask_b32_e32 v101, 0, v101, vcc_lo
	v_cmp_eq_u32_e32 vcc_lo, 0, v99
	v_add_nc_u32_e32 v99, 0xffffff89, v99
	v_cndmask_b32_e64 v101, v101, 0x77, vcc_lo
	v_cndmask_b32_e32 v100, v102, v100, vcc_lo
	v_cndmask_b32_e64 v99, v99, 0xffffff8a, vcc_lo
	v_lshl_add_u32 v102, 0x100000, v101, -1
	v_lshrrev_b32_e32 v103, v101, v100
	v_lshlrev_b32_e64 v113, v101, 0x80000
	v_add_nc_u32_e32 v101, v101, v99
	v_and_b32_e32 v100, v102, v100
	v_bfe_u32 v112, v103, 20, 1
	v_cmp_eq_u32_e64 s13, v100, v113
	v_add_nc_u32_e32 v102, -1, v112
	v_cndmask_b32_e64 v100, 0, v102, s13
	v_lshrrev_b32_e32 v102, 23, v103
	s_mov_b32 s13, exec_lo
	v_add_nc_u32_e32 v100, v100, v103
	v_xor_b32_e32 v102, 1, v102
	v_and_b32_e32 v99, 0xfffff, v100
	v_add_nc_u32_e32 v100, v99, v103
                                        ; implicit-def: $vgpr99
	v_cmpx_ne_u32_e64 v101, v102
	s_xor_b32 s13, exec_lo, s13
; %bb.5799:                             ;   in Loop: Header=BB4_5740 Depth=2
	v_cmp_lt_u32_e32 vcc_lo, 0xffffff, v100
	v_sub_nc_u32_e32 v99, v101, v102
	v_cndmask_b32_e64 v101, 0, 1, vcc_lo
	v_add_co_ci_u32_e64 v99, null, 0, v99, vcc_lo
	v_lshrrev_b32_e32 v100, v101, v100
; %bb.5800:                             ;   in Loop: Header=BB4_5740 Depth=2
	s_andn2_saveexec_b32 s13, s13
; %bb.5801:                             ;   in Loop: Header=BB4_5740 Depth=2
	v_bfe_u32 v99, v100, 23, 1
; %bb.5802:                             ;   in Loop: Header=BB4_5740 Depth=2
	s_or_b32 exec_lo, exec_lo, s13
	v_lshrrev_b32_e32 v100, 20, v100
	v_min_i32_e32 v101, 15, v99
	v_cmp_gt_i32_e32 vcc_lo, 16, v99
	v_and_b32_sdwa v10, v10, v82 dst_sel:DWORD dst_unused:UNUSED_PAD src0_sel:BYTE_3 src1_sel:DWORD
	v_lshlrev_b32_e32 v101, 3, v101
	v_cndmask_b32_e32 v100, 7, v100, vcc_lo
	v_and_b32_e32 v101, 0xf8, v101
	v_and_b32_e32 v102, 7, v100
	v_or_b32_e32 v99, v99, v100
	v_or3_b32 v10, v10, v101, v102
	v_cmp_ne_u32_e32 vcc_lo, 0, v99
	v_lshlrev_b32_e32 v10, 8, v10
	v_cndmask_b32_e32 v99, 0, v10, vcc_lo
.LBB4_5803:                             ;   in Loop: Header=BB4_5740 Depth=2
	s_or_b32 exec_lo, exec_lo, s40
.LBB4_5804:                             ;   in Loop: Header=BB4_5740 Depth=2
	s_or_b32 exec_lo, exec_lo, s29
	v_cmp_gt_i16_sdwa s29, v11, v81 src0_sel:BYTE_0 src1_sel:DWORD
	s_mov_b32 s13, 0
	s_and_saveexec_b32 s40, s29
	s_xor_b32 s29, exec_lo, s40
	s_cbranch_execz .LBB4_6650
; %bb.5805:                             ;   in Loop: Header=BB4_5740 Depth=2
	v_cmp_eq_u16_sdwa s41, v11, v82 src0_sel:BYTE_0 src1_sel:DWORD
	s_mov_b32 s13, -1
	s_and_saveexec_b32 s40, s41
; %bb.5806:                             ;   in Loop: Header=BB4_5740 Depth=2
	s_xor_b32 s13, exec_lo, -1
; %bb.5807:                             ;   in Loop: Header=BB4_5740 Depth=2
	s_or_b32 exec_lo, exec_lo, s40
	s_and_b32 s13, s13, exec_lo
	s_or_saveexec_b32 s29, s29
	v_mov_b32_e32 v10, 0x7f800001
	s_xor_b32 exec_lo, exec_lo, s29
	s_cbranch_execnz .LBB4_6651
.LBB4_5808:                             ;   in Loop: Header=BB4_5740 Depth=2
	s_or_b32 exec_lo, exec_lo, s29
	s_and_saveexec_b32 s29, s13
	s_cbranch_execz .LBB4_5810
.LBB4_5809:                             ;   in Loop: Header=BB4_5740 Depth=2
	v_and_b32_e32 v10, 7, v11
	v_bfe_u32 v102, v11, 3, 4
	v_lshlrev_b32_e32 v103, 24, v11
	v_ffbh_u32_e32 v100, v10
	v_cmp_eq_u32_e32 vcc_lo, 0, v102
	v_min_u32_e32 v100, 32, v100
	v_subrev_nc_u32_e32 v101, 28, v100
	v_sub_nc_u32_e32 v100, 29, v100
	v_lshlrev_b32_e32 v101, v101, v11
	v_cndmask_b32_e32 v100, v102, v100, vcc_lo
	v_and_b32_e32 v101, 7, v101
	v_lshl_add_u32 v100, v100, 23, 0x3b800000
	v_cndmask_b32_e32 v10, v10, v101, vcc_lo
	v_and_b32_e32 v101, 0x80000000, v103
	v_lshlrev_b32_e32 v10, 20, v10
	v_or3_b32 v10, v101, v100, v10
.LBB4_5810:                             ;   in Loop: Header=BB4_5740 Depth=2
	s_or_b32 exec_lo, exec_lo, s29
	v_mul_f32_e32 v10, s28, v10
	v_and_b32_e32 v100, 0x7f800000, v10
	v_cmp_ne_u32_e32 vcc_lo, 0x7f800000, v100
	v_mov_b32_e32 v100, 0x80
	s_and_saveexec_b32 s29, vcc_lo
	s_cbranch_execz .LBB4_5818
; %bb.5811:                             ;   in Loop: Header=BB4_5740 Depth=2
	v_mov_b32_e32 v100, 0
	s_mov_b32 s40, exec_lo
	v_cmpx_ne_u32_e32 0, v10
	s_cbranch_execz .LBB4_5817
; %bb.5812:                             ;   in Loop: Header=BB4_5740 Depth=2
	v_bfe_u32 v100, v10, 23, 8
	v_and_b32_e32 v101, 0x7fffff, v10
	v_sub_nc_u32_e32 v102, 0x78, v100
	v_cmp_gt_u32_e32 vcc_lo, 0x79, v100
	v_or_b32_e32 v103, 0x800000, v101
	v_cndmask_b32_e32 v102, 0, v102, vcc_lo
	v_cmp_eq_u32_e32 vcc_lo, 0, v100
	v_add_nc_u32_e32 v100, 0xffffff89, v100
	v_cndmask_b32_e64 v102, v102, 0x77, vcc_lo
	v_cndmask_b32_e32 v101, v103, v101, vcc_lo
	v_cndmask_b32_e64 v100, v100, 0xffffff8a, vcc_lo
	v_lshl_add_u32 v103, 0x100000, v102, -1
	v_lshrrev_b32_e32 v112, v102, v101
	v_lshlrev_b32_e64 v114, v102, 0x80000
	v_add_nc_u32_e32 v102, v102, v100
	v_and_b32_e32 v101, v103, v101
	v_bfe_u32 v113, v112, 20, 1
	v_cmp_eq_u32_e64 s13, v101, v114
	v_add_nc_u32_e32 v103, -1, v113
	v_cndmask_b32_e64 v101, 0, v103, s13
	v_lshrrev_b32_e32 v103, 23, v112
	s_mov_b32 s13, exec_lo
	v_add_nc_u32_e32 v101, v101, v112
	v_xor_b32_e32 v103, 1, v103
	v_and_b32_e32 v100, 0xfffff, v101
	v_add_nc_u32_e32 v101, v100, v112
                                        ; implicit-def: $vgpr100
	v_cmpx_ne_u32_e64 v102, v103
	s_xor_b32 s13, exec_lo, s13
; %bb.5813:                             ;   in Loop: Header=BB4_5740 Depth=2
	v_cmp_lt_u32_e32 vcc_lo, 0xffffff, v101
	v_sub_nc_u32_e32 v100, v102, v103
	v_cndmask_b32_e64 v102, 0, 1, vcc_lo
	v_add_co_ci_u32_e64 v100, null, 0, v100, vcc_lo
	v_lshrrev_b32_e32 v101, v102, v101
; %bb.5814:                             ;   in Loop: Header=BB4_5740 Depth=2
	s_andn2_saveexec_b32 s13, s13
; %bb.5815:                             ;   in Loop: Header=BB4_5740 Depth=2
	v_bfe_u32 v100, v101, 23, 1
; %bb.5816:                             ;   in Loop: Header=BB4_5740 Depth=2
	s_or_b32 exec_lo, exec_lo, s13
	v_lshrrev_b32_e32 v101, 20, v101
	v_min_i32_e32 v102, 15, v100
	v_cmp_gt_i32_e32 vcc_lo, 16, v100
	v_and_b32_sdwa v10, v10, v82 dst_sel:DWORD dst_unused:UNUSED_PAD src0_sel:BYTE_3 src1_sel:DWORD
	v_lshlrev_b32_e32 v102, 3, v102
	v_cndmask_b32_e32 v101, 7, v101, vcc_lo
	v_and_b32_e32 v102, 0xf8, v102
	v_and_b32_e32 v103, 7, v101
	v_or_b32_e32 v100, v100, v101
	v_or3_b32 v10, v102, v10, v103
	v_cmp_ne_u32_e32 vcc_lo, 0, v100
	v_cndmask_b32_e32 v100, 0, v10, vcc_lo
.LBB4_5817:                             ;   in Loop: Header=BB4_5740 Depth=2
	s_or_b32 exec_lo, exec_lo, s40
.LBB4_5818:                             ;   in Loop: Header=BB4_5740 Depth=2
	s_or_b32 exec_lo, exec_lo, s29
	v_cmp_gt_i16_sdwa s29, v11, v81 src0_sel:BYTE_1 src1_sel:DWORD
	s_mov_b32 s13, 0
	s_and_saveexec_b32 s40, s29
	s_xor_b32 s29, exec_lo, s40
	s_cbranch_execz .LBB4_6652
; %bb.5819:                             ;   in Loop: Header=BB4_5740 Depth=2
	v_cmp_eq_u16_sdwa s41, v11, v82 src0_sel:BYTE_1 src1_sel:DWORD
	s_mov_b32 s13, -1
	s_and_saveexec_b32 s40, s41
; %bb.5820:                             ;   in Loop: Header=BB4_5740 Depth=2
	s_xor_b32 s13, exec_lo, -1
; %bb.5821:                             ;   in Loop: Header=BB4_5740 Depth=2
	s_or_b32 exec_lo, exec_lo, s40
	s_and_b32 s13, s13, exec_lo
	s_or_saveexec_b32 s29, s29
	v_mov_b32_e32 v10, 0x7f800001
	s_xor_b32 exec_lo, exec_lo, s29
	s_cbranch_execnz .LBB4_6653
.LBB4_5822:                             ;   in Loop: Header=BB4_5740 Depth=2
	s_or_b32 exec_lo, exec_lo, s29
	s_and_saveexec_b32 s29, s13
	s_cbranch_execz .LBB4_5824
.LBB4_5823:                             ;   in Loop: Header=BB4_5740 Depth=2
	v_and_b32_sdwa v10, v83, v11 dst_sel:DWORD dst_unused:UNUSED_PAD src0_sel:DWORD src1_sel:BYTE_1
	v_and_b32_e32 v101, 7, v10
	v_bfe_u32 v112, v10, 3, 4
	v_ffbh_u32_e32 v102, v101
	v_cmp_eq_u32_e32 vcc_lo, 0, v112
	v_min_u32_e32 v102, 32, v102
	v_subrev_nc_u32_e32 v103, 28, v102
	v_sub_nc_u32_e32 v102, 29, v102
	v_lshlrev_b32_e32 v10, v103, v10
	v_lshlrev_b32_sdwa v103, v84, v11 dst_sel:DWORD dst_unused:UNUSED_PAD src0_sel:DWORD src1_sel:BYTE_1
	v_cndmask_b32_e32 v102, v112, v102, vcc_lo
	v_and_b32_e32 v10, 7, v10
	v_lshl_add_u32 v102, v102, 23, 0x3b800000
	v_cndmask_b32_e32 v10, v101, v10, vcc_lo
	v_and_b32_e32 v101, 0x80000000, v103
	v_lshlrev_b32_e32 v10, 20, v10
	v_or3_b32 v10, v101, v102, v10
.LBB4_5824:                             ;   in Loop: Header=BB4_5740 Depth=2
	s_or_b32 exec_lo, exec_lo, s29
	v_mul_f32_e32 v10, s28, v10
	v_and_b32_e32 v101, 0x7f800000, v10
	v_cmp_ne_u32_e32 vcc_lo, 0x7f800000, v101
	v_mov_b32_e32 v101, 0x8000
	s_and_saveexec_b32 s29, vcc_lo
	s_cbranch_execz .LBB4_5832
; %bb.5825:                             ;   in Loop: Header=BB4_5740 Depth=2
	v_mov_b32_e32 v101, 0
	s_mov_b32 s40, exec_lo
	v_cmpx_ne_u32_e32 0, v10
	s_cbranch_execz .LBB4_5831
; %bb.5826:                             ;   in Loop: Header=BB4_5740 Depth=2
	v_bfe_u32 v101, v10, 23, 8
	v_and_b32_e32 v102, 0x7fffff, v10
	v_sub_nc_u32_e32 v103, 0x78, v101
	v_cmp_gt_u32_e32 vcc_lo, 0x79, v101
	v_or_b32_e32 v112, 0x800000, v102
	v_cndmask_b32_e32 v103, 0, v103, vcc_lo
	v_cmp_eq_u32_e32 vcc_lo, 0, v101
	v_add_nc_u32_e32 v101, 0xffffff89, v101
	v_cndmask_b32_e64 v103, v103, 0x77, vcc_lo
	v_cndmask_b32_e32 v102, v112, v102, vcc_lo
	v_cndmask_b32_e64 v101, v101, 0xffffff8a, vcc_lo
	v_lshl_add_u32 v112, 0x100000, v103, -1
	v_lshrrev_b32_e32 v113, v103, v102
	v_lshlrev_b32_e64 v115, v103, 0x80000
	v_add_nc_u32_e32 v103, v103, v101
	v_and_b32_e32 v102, v112, v102
	v_bfe_u32 v114, v113, 20, 1
	v_cmp_eq_u32_e64 s13, v102, v115
	v_add_nc_u32_e32 v112, -1, v114
	v_cndmask_b32_e64 v102, 0, v112, s13
	v_lshrrev_b32_e32 v112, 23, v113
	s_mov_b32 s13, exec_lo
	v_add_nc_u32_e32 v102, v102, v113
	v_xor_b32_e32 v112, 1, v112
	v_and_b32_e32 v101, 0xfffff, v102
	v_add_nc_u32_e32 v102, v101, v113
                                        ; implicit-def: $vgpr101
	v_cmpx_ne_u32_e64 v103, v112
	s_xor_b32 s13, exec_lo, s13
; %bb.5827:                             ;   in Loop: Header=BB4_5740 Depth=2
	v_cmp_lt_u32_e32 vcc_lo, 0xffffff, v102
	v_sub_nc_u32_e32 v101, v103, v112
	v_cndmask_b32_e64 v103, 0, 1, vcc_lo
	v_add_co_ci_u32_e64 v101, null, 0, v101, vcc_lo
	v_lshrrev_b32_e32 v102, v103, v102
; %bb.5828:                             ;   in Loop: Header=BB4_5740 Depth=2
	s_andn2_saveexec_b32 s13, s13
; %bb.5829:                             ;   in Loop: Header=BB4_5740 Depth=2
	v_bfe_u32 v101, v102, 23, 1
; %bb.5830:                             ;   in Loop: Header=BB4_5740 Depth=2
	s_or_b32 exec_lo, exec_lo, s13
	v_lshrrev_b32_e32 v102, 20, v102
	v_min_i32_e32 v103, 15, v101
	v_cmp_gt_i32_e32 vcc_lo, 16, v101
	v_and_b32_sdwa v10, v10, v82 dst_sel:DWORD dst_unused:UNUSED_PAD src0_sel:BYTE_3 src1_sel:DWORD
	v_lshlrev_b32_e32 v103, 3, v103
	v_cndmask_b32_e32 v102, 7, v102, vcc_lo
	v_and_b32_e32 v103, 0xf8, v103
	v_and_b32_e32 v112, 7, v102
	v_or_b32_e32 v101, v101, v102
	v_or3_b32 v10, v10, v103, v112
	v_cmp_ne_u32_e32 vcc_lo, 0, v101
	v_lshlrev_b32_e32 v10, 8, v10
	v_cndmask_b32_e32 v101, 0, v10, vcc_lo
.LBB4_5831:                             ;   in Loop: Header=BB4_5740 Depth=2
	s_or_b32 exec_lo, exec_lo, s40
.LBB4_5832:                             ;   in Loop: Header=BB4_5740 Depth=2
	s_or_b32 exec_lo, exec_lo, s29
	v_and_b32_sdwa v102, v11, v85 dst_sel:DWORD dst_unused:UNUSED_PAD src0_sel:WORD_1 src1_sel:DWORD
	s_mov_b32 s13, 0
	s_mov_b32 s29, exec_lo
	v_cmpx_lt_i16_e32 0x7f, v102
	s_xor_b32 s29, exec_lo, s29
	s_cbranch_execz .LBB4_6654
; %bb.5833:                             ;   in Loop: Header=BB4_5740 Depth=2
	s_mov_b32 s13, -1
	s_mov_b32 s40, exec_lo
	v_cmpx_eq_u16_e32 0x80, v102
; %bb.5834:                             ;   in Loop: Header=BB4_5740 Depth=2
	s_xor_b32 s13, exec_lo, -1
; %bb.5835:                             ;   in Loop: Header=BB4_5740 Depth=2
	s_or_b32 exec_lo, exec_lo, s40
	s_and_b32 s13, s13, exec_lo
                                        ; implicit-def: $vgpr102
	s_or_saveexec_b32 s29, s29
	v_mov_b32_e32 v10, 0x7f800001
	s_xor_b32 exec_lo, exec_lo, s29
	s_cbranch_execnz .LBB4_6655
.LBB4_5836:                             ;   in Loop: Header=BB4_5740 Depth=2
	s_or_b32 exec_lo, exec_lo, s29
	s_and_saveexec_b32 s29, s13
	s_cbranch_execz .LBB4_5838
.LBB4_5837:                             ;   in Loop: Header=BB4_5740 Depth=2
	v_bfe_u32 v10, v11, 16, 3
	v_bfe_u32 v112, v11, 19, 4
	v_lshlrev_b32_e32 v113, 8, v11
	v_ffbh_u32_e32 v102, v10
	v_cmp_eq_u32_e32 vcc_lo, 0, v112
	v_min_u32_e32 v102, 32, v102
	v_subrev_nc_u32_e32 v103, 28, v102
	v_sub_nc_u32_e32 v102, 29, v102
	v_lshlrev_b32_sdwa v103, v103, v11 dst_sel:DWORD dst_unused:UNUSED_PAD src0_sel:DWORD src1_sel:WORD_1
	v_cndmask_b32_e32 v102, v112, v102, vcc_lo
	v_and_b32_e32 v103, 7, v103
	v_lshl_add_u32 v102, v102, 23, 0x3b800000
	v_cndmask_b32_e32 v10, v10, v103, vcc_lo
	v_and_b32_e32 v103, 0x80000000, v113
	v_lshlrev_b32_e32 v10, 20, v10
	v_or3_b32 v10, v103, v102, v10
.LBB4_5838:                             ;   in Loop: Header=BB4_5740 Depth=2
	s_or_b32 exec_lo, exec_lo, s29
	v_mul_f32_e32 v10, s28, v10
	v_and_b32_e32 v102, 0x7f800000, v10
	v_cmp_ne_u32_e32 vcc_lo, 0x7f800000, v102
	v_mov_b32_e32 v102, 0x80
	s_and_saveexec_b32 s29, vcc_lo
	s_cbranch_execz .LBB4_5846
; %bb.5839:                             ;   in Loop: Header=BB4_5740 Depth=2
	v_mov_b32_e32 v102, 0
	s_mov_b32 s40, exec_lo
	v_cmpx_ne_u32_e32 0, v10
	s_cbranch_execz .LBB4_5845
; %bb.5840:                             ;   in Loop: Header=BB4_5740 Depth=2
	v_bfe_u32 v102, v10, 23, 8
	v_and_b32_e32 v103, 0x7fffff, v10
	v_sub_nc_u32_e32 v112, 0x78, v102
	v_cmp_gt_u32_e32 vcc_lo, 0x79, v102
	v_or_b32_e32 v113, 0x800000, v103
	v_cndmask_b32_e32 v112, 0, v112, vcc_lo
	v_cmp_eq_u32_e32 vcc_lo, 0, v102
	v_add_nc_u32_e32 v102, 0xffffff89, v102
	v_cndmask_b32_e64 v112, v112, 0x77, vcc_lo
	v_cndmask_b32_e32 v103, v113, v103, vcc_lo
	v_cndmask_b32_e64 v102, v102, 0xffffff8a, vcc_lo
	v_lshl_add_u32 v113, 0x100000, v112, -1
	v_lshrrev_b32_e32 v114, v112, v103
	v_lshlrev_b32_e64 v116, v112, 0x80000
	v_add_nc_u32_e32 v112, v112, v102
	v_and_b32_e32 v103, v113, v103
	v_bfe_u32 v115, v114, 20, 1
	v_cmp_eq_u32_e64 s13, v103, v116
	v_add_nc_u32_e32 v113, -1, v115
	v_cndmask_b32_e64 v103, 0, v113, s13
	v_lshrrev_b32_e32 v113, 23, v114
	s_mov_b32 s13, exec_lo
	v_add_nc_u32_e32 v103, v103, v114
	v_xor_b32_e32 v113, 1, v113
	v_and_b32_e32 v102, 0xfffff, v103
	v_add_nc_u32_e32 v103, v102, v114
                                        ; implicit-def: $vgpr102
	v_cmpx_ne_u32_e64 v112, v113
	s_xor_b32 s13, exec_lo, s13
; %bb.5841:                             ;   in Loop: Header=BB4_5740 Depth=2
	v_cmp_lt_u32_e32 vcc_lo, 0xffffff, v103
	v_sub_nc_u32_e32 v102, v112, v113
	v_cndmask_b32_e64 v112, 0, 1, vcc_lo
	v_add_co_ci_u32_e64 v102, null, 0, v102, vcc_lo
	v_lshrrev_b32_e32 v103, v112, v103
; %bb.5842:                             ;   in Loop: Header=BB4_5740 Depth=2
	s_andn2_saveexec_b32 s13, s13
; %bb.5843:                             ;   in Loop: Header=BB4_5740 Depth=2
	v_bfe_u32 v102, v103, 23, 1
; %bb.5844:                             ;   in Loop: Header=BB4_5740 Depth=2
	s_or_b32 exec_lo, exec_lo, s13
	v_lshrrev_b32_e32 v103, 20, v103
	v_min_i32_e32 v112, 15, v102
	v_cmp_gt_i32_e32 vcc_lo, 16, v102
	v_and_b32_sdwa v10, v10, v82 dst_sel:DWORD dst_unused:UNUSED_PAD src0_sel:BYTE_3 src1_sel:DWORD
	v_lshlrev_b32_e32 v112, 3, v112
	v_cndmask_b32_e32 v103, 7, v103, vcc_lo
	v_and_b32_e32 v112, 0xf8, v112
	v_and_b32_e32 v113, 7, v103
	v_or_b32_e32 v102, v102, v103
	v_or3_b32 v10, v112, v10, v113
	v_cmp_ne_u32_e32 vcc_lo, 0, v102
	v_cndmask_b32_e32 v102, 0, v10, vcc_lo
.LBB4_5845:                             ;   in Loop: Header=BB4_5740 Depth=2
	s_or_b32 exec_lo, exec_lo, s40
.LBB4_5846:                             ;   in Loop: Header=BB4_5740 Depth=2
	s_or_b32 exec_lo, exec_lo, s29
	v_cmp_gt_i16_sdwa s29, v11, v81 src0_sel:BYTE_3 src1_sel:DWORD
	s_mov_b32 s13, 0
	s_and_saveexec_b32 s40, s29
	s_xor_b32 s29, exec_lo, s40
	s_cbranch_execz .LBB4_6656
; %bb.5847:                             ;   in Loop: Header=BB4_5740 Depth=2
	v_cmp_eq_u16_sdwa s41, v11, v82 src0_sel:BYTE_3 src1_sel:DWORD
	s_mov_b32 s13, -1
	s_and_saveexec_b32 s40, s41
; %bb.5848:                             ;   in Loop: Header=BB4_5740 Depth=2
	s_xor_b32 s13, exec_lo, -1
; %bb.5849:                             ;   in Loop: Header=BB4_5740 Depth=2
	s_or_b32 exec_lo, exec_lo, s40
	s_and_b32 s13, s13, exec_lo
	s_or_saveexec_b32 s29, s29
	v_mov_b32_e32 v10, 0x7f800001
	s_xor_b32 exec_lo, exec_lo, s29
	s_cbranch_execnz .LBB4_6657
.LBB4_5850:                             ;   in Loop: Header=BB4_5740 Depth=2
	s_or_b32 exec_lo, exec_lo, s29
	s_and_saveexec_b32 s29, s13
	s_cbranch_execz .LBB4_5852
.LBB4_5851:                             ;   in Loop: Header=BB4_5740 Depth=2
	v_bfe_u32 v10, v11, 24, 3
	v_bfe_u32 v113, v11, 27, 4
	v_ffbh_u32_e32 v103, v10
	v_cmp_eq_u32_e32 vcc_lo, 0, v113
	v_min_u32_e32 v103, 32, v103
	v_subrev_nc_u32_e32 v112, 28, v103
	v_sub_nc_u32_e32 v103, 29, v103
	v_lshlrev_b32_sdwa v112, v112, v11 dst_sel:DWORD dst_unused:UNUSED_PAD src0_sel:DWORD src1_sel:BYTE_3
	v_cndmask_b32_e32 v103, v113, v103, vcc_lo
	v_and_b32_e32 v11, 0x80000000, v11
	v_and_b32_e32 v112, 7, v112
	v_lshl_add_u32 v103, v103, 23, 0x3b800000
	v_cndmask_b32_e32 v10, v10, v112, vcc_lo
	v_lshlrev_b32_e32 v10, 20, v10
	v_or3_b32 v10, v11, v103, v10
.LBB4_5852:                             ;   in Loop: Header=BB4_5740 Depth=2
	s_or_b32 exec_lo, exec_lo, s29
	v_mul_f32_e32 v10, s28, v10
	v_mov_b32_e32 v103, 0x8000
	s_mov_b32 s29, exec_lo
	v_and_b32_e32 v11, 0x7f800000, v10
	v_cmpx_ne_u32_e32 0x7f800000, v11
	s_cbranch_execz .LBB4_5860
; %bb.5853:                             ;   in Loop: Header=BB4_5740 Depth=2
	v_mov_b32_e32 v103, 0
	s_mov_b32 s40, exec_lo
	v_cmpx_ne_u32_e32 0, v10
	s_cbranch_execz .LBB4_5859
; %bb.5854:                             ;   in Loop: Header=BB4_5740 Depth=2
	v_bfe_u32 v11, v10, 23, 8
	v_and_b32_e32 v103, 0x7fffff, v10
	v_sub_nc_u32_e32 v112, 0x78, v11
	v_cmp_gt_u32_e32 vcc_lo, 0x79, v11
	v_or_b32_e32 v113, 0x800000, v103
	v_cndmask_b32_e32 v112, 0, v112, vcc_lo
	v_cmp_eq_u32_e32 vcc_lo, 0, v11
	v_add_nc_u32_e32 v11, 0xffffff89, v11
	v_cndmask_b32_e64 v112, v112, 0x77, vcc_lo
	v_cndmask_b32_e32 v103, v113, v103, vcc_lo
	v_cndmask_b32_e64 v11, v11, 0xffffff8a, vcc_lo
	v_lshl_add_u32 v113, 0x100000, v112, -1
	v_lshrrev_b32_e32 v114, v112, v103
	v_lshlrev_b32_e64 v116, v112, 0x80000
	v_add_nc_u32_e32 v112, v112, v11
	v_and_b32_e32 v103, v113, v103
	v_bfe_u32 v115, v114, 20, 1
	v_cmp_eq_u32_e64 s13, v103, v116
	v_add_nc_u32_e32 v113, -1, v115
	v_cndmask_b32_e64 v103, 0, v113, s13
	v_lshrrev_b32_e32 v113, 23, v114
	s_mov_b32 s13, exec_lo
	v_add_nc_u32_e32 v103, v103, v114
	v_xor_b32_e32 v113, 1, v113
	v_and_b32_e32 v11, 0xfffff, v103
	v_add_nc_u32_e32 v103, v11, v114
                                        ; implicit-def: $vgpr11
	v_cmpx_ne_u32_e64 v112, v113
	s_xor_b32 s13, exec_lo, s13
; %bb.5855:                             ;   in Loop: Header=BB4_5740 Depth=2
	v_cmp_lt_u32_e32 vcc_lo, 0xffffff, v103
	v_sub_nc_u32_e32 v11, v112, v113
	v_cndmask_b32_e64 v112, 0, 1, vcc_lo
	v_add_co_ci_u32_e64 v11, null, 0, v11, vcc_lo
	v_lshrrev_b32_e32 v103, v112, v103
; %bb.5856:                             ;   in Loop: Header=BB4_5740 Depth=2
	s_andn2_saveexec_b32 s13, s13
; %bb.5857:                             ;   in Loop: Header=BB4_5740 Depth=2
	v_bfe_u32 v11, v103, 23, 1
; %bb.5858:                             ;   in Loop: Header=BB4_5740 Depth=2
	s_or_b32 exec_lo, exec_lo, s13
	v_lshrrev_b32_e32 v103, 20, v103
	v_min_i32_e32 v112, 15, v11
	v_cmp_gt_i32_e32 vcc_lo, 16, v11
	v_and_b32_sdwa v10, v10, v82 dst_sel:DWORD dst_unused:UNUSED_PAD src0_sel:BYTE_3 src1_sel:DWORD
	v_lshlrev_b32_e32 v112, 3, v112
	v_cndmask_b32_e32 v103, 7, v103, vcc_lo
	v_and_b32_e32 v112, 0xf8, v112
	v_and_b32_e32 v113, 7, v103
	v_or_b32_e32 v11, v11, v103
	v_or3_b32 v10, v10, v112, v113
	v_cmp_ne_u32_e32 vcc_lo, 0, v11
	v_lshlrev_b32_e32 v10, 8, v10
	v_cndmask_b32_e32 v103, 0, v10, vcc_lo
.LBB4_5859:                             ;   in Loop: Header=BB4_5740 Depth=2
	s_or_b32 exec_lo, exec_lo, s40
.LBB4_5860:                             ;   in Loop: Header=BB4_5740 Depth=2
	s_or_b32 exec_lo, exec_lo, s29
	v_cmp_gt_i16_sdwa s29, v12, v81 src0_sel:BYTE_0 src1_sel:DWORD
	s_mov_b32 s13, 0
	s_and_saveexec_b32 s40, s29
	s_xor_b32 s29, exec_lo, s40
	s_cbranch_execz .LBB4_6658
; %bb.5861:                             ;   in Loop: Header=BB4_5740 Depth=2
	v_cmp_eq_u16_sdwa s41, v12, v82 src0_sel:BYTE_0 src1_sel:DWORD
	s_mov_b32 s13, -1
	s_and_saveexec_b32 s40, s41
; %bb.5862:                             ;   in Loop: Header=BB4_5740 Depth=2
	s_xor_b32 s13, exec_lo, -1
; %bb.5863:                             ;   in Loop: Header=BB4_5740 Depth=2
	s_or_b32 exec_lo, exec_lo, s40
	s_and_b32 s13, s13, exec_lo
	s_or_saveexec_b32 s29, s29
	v_mov_b32_e32 v10, 0x7f800001
	s_xor_b32 exec_lo, exec_lo, s29
	s_cbranch_execnz .LBB4_6659
.LBB4_5864:                             ;   in Loop: Header=BB4_5740 Depth=2
	s_or_b32 exec_lo, exec_lo, s29
	s_and_saveexec_b32 s29, s13
	s_cbranch_execz .LBB4_5866
.LBB4_5865:                             ;   in Loop: Header=BB4_5740 Depth=2
	v_and_b32_e32 v10, 7, v12
	v_bfe_u32 v113, v12, 3, 4
	v_lshlrev_b32_e32 v114, 24, v12
	v_ffbh_u32_e32 v11, v10
	v_cmp_eq_u32_e32 vcc_lo, 0, v113
	v_min_u32_e32 v11, 32, v11
	v_subrev_nc_u32_e32 v112, 28, v11
	v_sub_nc_u32_e32 v11, 29, v11
	v_lshlrev_b32_e32 v112, v112, v12
	v_cndmask_b32_e32 v11, v113, v11, vcc_lo
	v_and_b32_e32 v112, 7, v112
	v_lshl_add_u32 v11, v11, 23, 0x3b800000
	v_cndmask_b32_e32 v10, v10, v112, vcc_lo
	v_and_b32_e32 v112, 0x80000000, v114
	v_lshlrev_b32_e32 v10, 20, v10
	v_or3_b32 v10, v112, v11, v10
.LBB4_5866:                             ;   in Loop: Header=BB4_5740 Depth=2
	s_or_b32 exec_lo, exec_lo, s29
	v_mul_f32_e32 v10, s28, v10
	v_mov_b32_e32 v112, 0x80
	s_mov_b32 s29, exec_lo
	v_and_b32_e32 v11, 0x7f800000, v10
	v_cmpx_ne_u32_e32 0x7f800000, v11
	s_cbranch_execz .LBB4_5874
; %bb.5867:                             ;   in Loop: Header=BB4_5740 Depth=2
	v_mov_b32_e32 v112, 0
	s_mov_b32 s40, exec_lo
	v_cmpx_ne_u32_e32 0, v10
	s_cbranch_execz .LBB4_5873
; %bb.5868:                             ;   in Loop: Header=BB4_5740 Depth=2
	v_bfe_u32 v11, v10, 23, 8
	v_and_b32_e32 v112, 0x7fffff, v10
	v_sub_nc_u32_e32 v113, 0x78, v11
	v_cmp_gt_u32_e32 vcc_lo, 0x79, v11
	v_or_b32_e32 v114, 0x800000, v112
	v_cndmask_b32_e32 v113, 0, v113, vcc_lo
	v_cmp_eq_u32_e32 vcc_lo, 0, v11
	v_add_nc_u32_e32 v11, 0xffffff89, v11
	v_cndmask_b32_e64 v113, v113, 0x77, vcc_lo
	v_cndmask_b32_e32 v112, v114, v112, vcc_lo
	v_cndmask_b32_e64 v11, v11, 0xffffff8a, vcc_lo
	v_lshl_add_u32 v114, 0x100000, v113, -1
	v_lshrrev_b32_e32 v115, v113, v112
	v_lshlrev_b32_e64 v117, v113, 0x80000
	v_add_nc_u32_e32 v113, v113, v11
	v_and_b32_e32 v112, v114, v112
	v_bfe_u32 v116, v115, 20, 1
	v_cmp_eq_u32_e64 s13, v112, v117
	v_add_nc_u32_e32 v114, -1, v116
	v_cndmask_b32_e64 v112, 0, v114, s13
	v_lshrrev_b32_e32 v114, 23, v115
	s_mov_b32 s13, exec_lo
	v_add_nc_u32_e32 v112, v112, v115
	v_xor_b32_e32 v114, 1, v114
	v_and_b32_e32 v11, 0xfffff, v112
	v_add_nc_u32_e32 v112, v11, v115
                                        ; implicit-def: $vgpr11
	v_cmpx_ne_u32_e64 v113, v114
	s_xor_b32 s13, exec_lo, s13
; %bb.5869:                             ;   in Loop: Header=BB4_5740 Depth=2
	v_cmp_lt_u32_e32 vcc_lo, 0xffffff, v112
	v_sub_nc_u32_e32 v11, v113, v114
	v_cndmask_b32_e64 v113, 0, 1, vcc_lo
	v_add_co_ci_u32_e64 v11, null, 0, v11, vcc_lo
	v_lshrrev_b32_e32 v112, v113, v112
; %bb.5870:                             ;   in Loop: Header=BB4_5740 Depth=2
	s_andn2_saveexec_b32 s13, s13
; %bb.5871:                             ;   in Loop: Header=BB4_5740 Depth=2
	v_bfe_u32 v11, v112, 23, 1
; %bb.5872:                             ;   in Loop: Header=BB4_5740 Depth=2
	s_or_b32 exec_lo, exec_lo, s13
	v_lshrrev_b32_e32 v112, 20, v112
	v_min_i32_e32 v113, 15, v11
	v_cmp_gt_i32_e32 vcc_lo, 16, v11
	v_and_b32_sdwa v10, v10, v82 dst_sel:DWORD dst_unused:UNUSED_PAD src0_sel:BYTE_3 src1_sel:DWORD
	v_lshlrev_b32_e32 v113, 3, v113
	v_cndmask_b32_e32 v112, 7, v112, vcc_lo
	v_and_b32_e32 v113, 0xf8, v113
	v_and_b32_e32 v114, 7, v112
	v_or_b32_e32 v11, v11, v112
	v_or3_b32 v10, v113, v10, v114
	v_cmp_ne_u32_e32 vcc_lo, 0, v11
	v_cndmask_b32_e32 v112, 0, v10, vcc_lo
.LBB4_5873:                             ;   in Loop: Header=BB4_5740 Depth=2
	s_or_b32 exec_lo, exec_lo, s40
.LBB4_5874:                             ;   in Loop: Header=BB4_5740 Depth=2
	s_or_b32 exec_lo, exec_lo, s29
	v_cmp_gt_i16_sdwa s29, v12, v81 src0_sel:BYTE_1 src1_sel:DWORD
	s_mov_b32 s13, 0
	s_and_saveexec_b32 s40, s29
	s_xor_b32 s29, exec_lo, s40
	s_cbranch_execz .LBB4_6660
; %bb.5875:                             ;   in Loop: Header=BB4_5740 Depth=2
	v_cmp_eq_u16_sdwa s41, v12, v82 src0_sel:BYTE_1 src1_sel:DWORD
	s_mov_b32 s13, -1
	s_and_saveexec_b32 s40, s41
; %bb.5876:                             ;   in Loop: Header=BB4_5740 Depth=2
	s_xor_b32 s13, exec_lo, -1
; %bb.5877:                             ;   in Loop: Header=BB4_5740 Depth=2
	s_or_b32 exec_lo, exec_lo, s40
	s_and_b32 s13, s13, exec_lo
	s_or_saveexec_b32 s29, s29
	v_mov_b32_e32 v10, 0x7f800001
	s_xor_b32 exec_lo, exec_lo, s29
	s_cbranch_execnz .LBB4_6661
.LBB4_5878:                             ;   in Loop: Header=BB4_5740 Depth=2
	s_or_b32 exec_lo, exec_lo, s29
	s_and_saveexec_b32 s29, s13
	s_cbranch_execz .LBB4_5880
.LBB4_5879:                             ;   in Loop: Header=BB4_5740 Depth=2
	v_and_b32_sdwa v10, v83, v12 dst_sel:DWORD dst_unused:UNUSED_PAD src0_sel:DWORD src1_sel:BYTE_1
	v_and_b32_e32 v11, 7, v10
	v_bfe_u32 v115, v10, 3, 4
	v_ffbh_u32_e32 v113, v11
	v_cmp_eq_u32_e32 vcc_lo, 0, v115
	v_min_u32_e32 v113, 32, v113
	v_subrev_nc_u32_e32 v114, 28, v113
	v_sub_nc_u32_e32 v113, 29, v113
	v_lshlrev_b32_e32 v10, v114, v10
	v_lshlrev_b32_sdwa v114, v84, v12 dst_sel:DWORD dst_unused:UNUSED_PAD src0_sel:DWORD src1_sel:BYTE_1
	v_cndmask_b32_e32 v113, v115, v113, vcc_lo
	v_and_b32_e32 v10, 7, v10
	v_lshl_add_u32 v113, v113, 23, 0x3b800000
	v_cndmask_b32_e32 v10, v11, v10, vcc_lo
	v_and_b32_e32 v11, 0x80000000, v114
	v_lshlrev_b32_e32 v10, 20, v10
	v_or3_b32 v10, v11, v113, v10
.LBB4_5880:                             ;   in Loop: Header=BB4_5740 Depth=2
	s_or_b32 exec_lo, exec_lo, s29
	v_mul_f32_e32 v10, s28, v10
	v_mov_b32_e32 v113, 0x8000
	s_mov_b32 s29, exec_lo
	v_and_b32_e32 v11, 0x7f800000, v10
	v_cmpx_ne_u32_e32 0x7f800000, v11
	s_cbranch_execz .LBB4_5888
; %bb.5881:                             ;   in Loop: Header=BB4_5740 Depth=2
	v_mov_b32_e32 v113, 0
	s_mov_b32 s40, exec_lo
	v_cmpx_ne_u32_e32 0, v10
	s_cbranch_execz .LBB4_5887
; %bb.5882:                             ;   in Loop: Header=BB4_5740 Depth=2
	v_bfe_u32 v11, v10, 23, 8
	v_and_b32_e32 v113, 0x7fffff, v10
	v_sub_nc_u32_e32 v114, 0x78, v11
	v_cmp_gt_u32_e32 vcc_lo, 0x79, v11
	v_or_b32_e32 v115, 0x800000, v113
	v_cndmask_b32_e32 v114, 0, v114, vcc_lo
	v_cmp_eq_u32_e32 vcc_lo, 0, v11
	v_add_nc_u32_e32 v11, 0xffffff89, v11
	v_cndmask_b32_e64 v114, v114, 0x77, vcc_lo
	v_cndmask_b32_e32 v113, v115, v113, vcc_lo
	v_cndmask_b32_e64 v11, v11, 0xffffff8a, vcc_lo
	v_lshl_add_u32 v115, 0x100000, v114, -1
	v_lshrrev_b32_e32 v116, v114, v113
	v_lshlrev_b32_e64 v118, v114, 0x80000
	v_add_nc_u32_e32 v114, v114, v11
	v_and_b32_e32 v113, v115, v113
	v_bfe_u32 v117, v116, 20, 1
	v_cmp_eq_u32_e64 s13, v113, v118
	v_add_nc_u32_e32 v115, -1, v117
	v_cndmask_b32_e64 v113, 0, v115, s13
	v_lshrrev_b32_e32 v115, 23, v116
	s_mov_b32 s13, exec_lo
	v_add_nc_u32_e32 v113, v113, v116
	v_xor_b32_e32 v115, 1, v115
	v_and_b32_e32 v11, 0xfffff, v113
	v_add_nc_u32_e32 v113, v11, v116
                                        ; implicit-def: $vgpr11
	v_cmpx_ne_u32_e64 v114, v115
	s_xor_b32 s13, exec_lo, s13
; %bb.5883:                             ;   in Loop: Header=BB4_5740 Depth=2
	v_cmp_lt_u32_e32 vcc_lo, 0xffffff, v113
	v_sub_nc_u32_e32 v11, v114, v115
	v_cndmask_b32_e64 v114, 0, 1, vcc_lo
	v_add_co_ci_u32_e64 v11, null, 0, v11, vcc_lo
	v_lshrrev_b32_e32 v113, v114, v113
; %bb.5884:                             ;   in Loop: Header=BB4_5740 Depth=2
	s_andn2_saveexec_b32 s13, s13
; %bb.5885:                             ;   in Loop: Header=BB4_5740 Depth=2
	v_bfe_u32 v11, v113, 23, 1
; %bb.5886:                             ;   in Loop: Header=BB4_5740 Depth=2
	s_or_b32 exec_lo, exec_lo, s13
	v_lshrrev_b32_e32 v113, 20, v113
	v_min_i32_e32 v114, 15, v11
	v_cmp_gt_i32_e32 vcc_lo, 16, v11
	v_and_b32_sdwa v10, v10, v82 dst_sel:DWORD dst_unused:UNUSED_PAD src0_sel:BYTE_3 src1_sel:DWORD
	v_lshlrev_b32_e32 v114, 3, v114
	v_cndmask_b32_e32 v113, 7, v113, vcc_lo
	v_and_b32_e32 v114, 0xf8, v114
	v_and_b32_e32 v115, 7, v113
	v_or_b32_e32 v11, v11, v113
	v_or3_b32 v10, v10, v114, v115
	v_cmp_ne_u32_e32 vcc_lo, 0, v11
	v_lshlrev_b32_e32 v10, 8, v10
	v_cndmask_b32_e32 v113, 0, v10, vcc_lo
.LBB4_5887:                             ;   in Loop: Header=BB4_5740 Depth=2
	s_or_b32 exec_lo, exec_lo, s40
.LBB4_5888:                             ;   in Loop: Header=BB4_5740 Depth=2
	s_or_b32 exec_lo, exec_lo, s29
	v_and_b32_sdwa v11, v12, v85 dst_sel:DWORD dst_unused:UNUSED_PAD src0_sel:WORD_1 src1_sel:DWORD
	s_mov_b32 s13, 0
	s_mov_b32 s29, exec_lo
	v_cmpx_lt_i16_e32 0x7f, v11
	s_xor_b32 s29, exec_lo, s29
	s_cbranch_execz .LBB4_6662
; %bb.5889:                             ;   in Loop: Header=BB4_5740 Depth=2
	s_mov_b32 s13, -1
	s_mov_b32 s40, exec_lo
	v_cmpx_eq_u16_e32 0x80, v11
; %bb.5890:                             ;   in Loop: Header=BB4_5740 Depth=2
	s_xor_b32 s13, exec_lo, -1
; %bb.5891:                             ;   in Loop: Header=BB4_5740 Depth=2
	s_or_b32 exec_lo, exec_lo, s40
	s_and_b32 s13, s13, exec_lo
                                        ; implicit-def: $vgpr11
	s_or_saveexec_b32 s29, s29
	v_mov_b32_e32 v10, 0x7f800001
	s_xor_b32 exec_lo, exec_lo, s29
	s_cbranch_execnz .LBB4_6663
.LBB4_5892:                             ;   in Loop: Header=BB4_5740 Depth=2
	s_or_b32 exec_lo, exec_lo, s29
	s_and_saveexec_b32 s29, s13
	s_cbranch_execz .LBB4_5894
.LBB4_5893:                             ;   in Loop: Header=BB4_5740 Depth=2
	v_bfe_u32 v10, v12, 16, 3
	v_bfe_u32 v115, v12, 19, 4
	v_lshlrev_b32_e32 v116, 8, v12
	v_ffbh_u32_e32 v11, v10
	v_cmp_eq_u32_e32 vcc_lo, 0, v115
	v_min_u32_e32 v11, 32, v11
	v_subrev_nc_u32_e32 v114, 28, v11
	v_sub_nc_u32_e32 v11, 29, v11
	v_lshlrev_b32_sdwa v114, v114, v12 dst_sel:DWORD dst_unused:UNUSED_PAD src0_sel:DWORD src1_sel:WORD_1
	v_cndmask_b32_e32 v11, v115, v11, vcc_lo
	v_and_b32_e32 v114, 7, v114
	v_lshl_add_u32 v11, v11, 23, 0x3b800000
	v_cndmask_b32_e32 v10, v10, v114, vcc_lo
	v_and_b32_e32 v114, 0x80000000, v116
	v_lshlrev_b32_e32 v10, 20, v10
	v_or3_b32 v10, v114, v11, v10
.LBB4_5894:                             ;   in Loop: Header=BB4_5740 Depth=2
	s_or_b32 exec_lo, exec_lo, s29
	v_mul_f32_e32 v10, s28, v10
	v_mov_b32_e32 v114, 0x80
	s_mov_b32 s29, exec_lo
	v_and_b32_e32 v11, 0x7f800000, v10
	v_cmpx_ne_u32_e32 0x7f800000, v11
	s_cbranch_execz .LBB4_5902
; %bb.5895:                             ;   in Loop: Header=BB4_5740 Depth=2
	v_mov_b32_e32 v114, 0
	s_mov_b32 s40, exec_lo
	v_cmpx_ne_u32_e32 0, v10
	s_cbranch_execz .LBB4_5901
; %bb.5896:                             ;   in Loop: Header=BB4_5740 Depth=2
	v_bfe_u32 v11, v10, 23, 8
	v_and_b32_e32 v114, 0x7fffff, v10
	v_sub_nc_u32_e32 v115, 0x78, v11
	v_cmp_gt_u32_e32 vcc_lo, 0x79, v11
	v_or_b32_e32 v116, 0x800000, v114
	v_cndmask_b32_e32 v115, 0, v115, vcc_lo
	v_cmp_eq_u32_e32 vcc_lo, 0, v11
	v_add_nc_u32_e32 v11, 0xffffff89, v11
	v_cndmask_b32_e64 v115, v115, 0x77, vcc_lo
	v_cndmask_b32_e32 v114, v116, v114, vcc_lo
	v_cndmask_b32_e64 v11, v11, 0xffffff8a, vcc_lo
	v_lshl_add_u32 v116, 0x100000, v115, -1
	v_lshrrev_b32_e32 v117, v115, v114
	v_lshlrev_b32_e64 v119, v115, 0x80000
	v_add_nc_u32_e32 v115, v115, v11
	v_and_b32_e32 v114, v116, v114
	v_bfe_u32 v118, v117, 20, 1
	v_cmp_eq_u32_e64 s13, v114, v119
	v_add_nc_u32_e32 v116, -1, v118
	v_cndmask_b32_e64 v114, 0, v116, s13
	v_lshrrev_b32_e32 v116, 23, v117
	s_mov_b32 s13, exec_lo
	v_add_nc_u32_e32 v114, v114, v117
	v_xor_b32_e32 v116, 1, v116
	v_and_b32_e32 v11, 0xfffff, v114
	v_add_nc_u32_e32 v114, v11, v117
                                        ; implicit-def: $vgpr11
	v_cmpx_ne_u32_e64 v115, v116
	s_xor_b32 s13, exec_lo, s13
; %bb.5897:                             ;   in Loop: Header=BB4_5740 Depth=2
	v_cmp_lt_u32_e32 vcc_lo, 0xffffff, v114
	v_sub_nc_u32_e32 v11, v115, v116
	v_cndmask_b32_e64 v115, 0, 1, vcc_lo
	v_add_co_ci_u32_e64 v11, null, 0, v11, vcc_lo
	v_lshrrev_b32_e32 v114, v115, v114
; %bb.5898:                             ;   in Loop: Header=BB4_5740 Depth=2
	s_andn2_saveexec_b32 s13, s13
; %bb.5899:                             ;   in Loop: Header=BB4_5740 Depth=2
	v_bfe_u32 v11, v114, 23, 1
; %bb.5900:                             ;   in Loop: Header=BB4_5740 Depth=2
	s_or_b32 exec_lo, exec_lo, s13
	v_lshrrev_b32_e32 v114, 20, v114
	v_min_i32_e32 v115, 15, v11
	v_cmp_gt_i32_e32 vcc_lo, 16, v11
	v_and_b32_sdwa v10, v10, v82 dst_sel:DWORD dst_unused:UNUSED_PAD src0_sel:BYTE_3 src1_sel:DWORD
	v_lshlrev_b32_e32 v115, 3, v115
	v_cndmask_b32_e32 v114, 7, v114, vcc_lo
	v_and_b32_e32 v115, 0xf8, v115
	v_and_b32_e32 v116, 7, v114
	v_or_b32_e32 v11, v11, v114
	v_or3_b32 v10, v115, v10, v116
	v_cmp_ne_u32_e32 vcc_lo, 0, v11
	v_cndmask_b32_e32 v114, 0, v10, vcc_lo
.LBB4_5901:                             ;   in Loop: Header=BB4_5740 Depth=2
	s_or_b32 exec_lo, exec_lo, s40
.LBB4_5902:                             ;   in Loop: Header=BB4_5740 Depth=2
	s_or_b32 exec_lo, exec_lo, s29
	v_cmp_gt_i16_sdwa s29, v12, v81 src0_sel:BYTE_3 src1_sel:DWORD
	s_mov_b32 s13, 0
	s_and_saveexec_b32 s40, s29
	s_xor_b32 s29, exec_lo, s40
	s_cbranch_execz .LBB4_6664
; %bb.5903:                             ;   in Loop: Header=BB4_5740 Depth=2
	v_cmp_eq_u16_sdwa s41, v12, v82 src0_sel:BYTE_3 src1_sel:DWORD
	s_mov_b32 s13, -1
	s_and_saveexec_b32 s40, s41
; %bb.5904:                             ;   in Loop: Header=BB4_5740 Depth=2
	s_xor_b32 s13, exec_lo, -1
; %bb.5905:                             ;   in Loop: Header=BB4_5740 Depth=2
	s_or_b32 exec_lo, exec_lo, s40
	s_and_b32 s13, s13, exec_lo
	s_or_saveexec_b32 s29, s29
	v_mov_b32_e32 v10, 0x7f800001
	s_xor_b32 exec_lo, exec_lo, s29
	s_cbranch_execnz .LBB4_6665
.LBB4_5906:                             ;   in Loop: Header=BB4_5740 Depth=2
	s_or_b32 exec_lo, exec_lo, s29
	s_and_saveexec_b32 s29, s13
	s_cbranch_execz .LBB4_5908
.LBB4_5907:                             ;   in Loop: Header=BB4_5740 Depth=2
	v_bfe_u32 v10, v12, 24, 3
	v_bfe_u32 v116, v12, 27, 4
	v_ffbh_u32_e32 v11, v10
	v_cmp_eq_u32_e32 vcc_lo, 0, v116
	v_min_u32_e32 v11, 32, v11
	v_subrev_nc_u32_e32 v115, 28, v11
	v_sub_nc_u32_e32 v11, 29, v11
	v_lshlrev_b32_sdwa v115, v115, v12 dst_sel:DWORD dst_unused:UNUSED_PAD src0_sel:DWORD src1_sel:BYTE_3
	v_cndmask_b32_e32 v11, v116, v11, vcc_lo
	v_and_b32_e32 v12, 0x80000000, v12
	v_and_b32_e32 v115, 7, v115
	v_lshl_add_u32 v11, v11, 23, 0x3b800000
	v_cndmask_b32_e32 v10, v10, v115, vcc_lo
	v_lshlrev_b32_e32 v10, 20, v10
	v_or3_b32 v10, v12, v11, v10
.LBB4_5908:                             ;   in Loop: Header=BB4_5740 Depth=2
	s_or_b32 exec_lo, exec_lo, s29
	v_mul_f32_e32 v10, s28, v10
	v_mov_b32_e32 v115, 0x8000
	s_mov_b32 s29, exec_lo
	v_and_b32_e32 v11, 0x7f800000, v10
	v_cmpx_ne_u32_e32 0x7f800000, v11
	s_cbranch_execz .LBB4_5916
; %bb.5909:                             ;   in Loop: Header=BB4_5740 Depth=2
	v_mov_b32_e32 v115, 0
	s_mov_b32 s40, exec_lo
	v_cmpx_ne_u32_e32 0, v10
	s_cbranch_execz .LBB4_5915
; %bb.5910:                             ;   in Loop: Header=BB4_5740 Depth=2
	v_bfe_u32 v11, v10, 23, 8
	v_and_b32_e32 v12, 0x7fffff, v10
	v_sub_nc_u32_e32 v115, 0x78, v11
	v_cmp_gt_u32_e32 vcc_lo, 0x79, v11
	v_or_b32_e32 v116, 0x800000, v12
	v_cndmask_b32_e32 v115, 0, v115, vcc_lo
	v_cmp_eq_u32_e32 vcc_lo, 0, v11
	v_add_nc_u32_e32 v11, 0xffffff89, v11
	v_cndmask_b32_e64 v115, v115, 0x77, vcc_lo
	v_cndmask_b32_e32 v12, v116, v12, vcc_lo
	v_cndmask_b32_e64 v11, v11, 0xffffff8a, vcc_lo
	v_lshl_add_u32 v116, 0x100000, v115, -1
	v_lshrrev_b32_e32 v117, v115, v12
	v_lshlrev_b32_e64 v119, v115, 0x80000
	v_add_nc_u32_e32 v115, v115, v11
	v_and_b32_e32 v12, v116, v12
	v_bfe_u32 v118, v117, 20, 1
	v_cmp_eq_u32_e64 s13, v12, v119
	v_add_nc_u32_e32 v116, -1, v118
	v_cndmask_b32_e64 v12, 0, v116, s13
	v_lshrrev_b32_e32 v116, 23, v117
	s_mov_b32 s13, exec_lo
	v_add_nc_u32_e32 v12, v12, v117
	v_xor_b32_e32 v116, 1, v116
	v_and_b32_e32 v11, 0xfffff, v12
	v_add_nc_u32_e32 v12, v11, v117
                                        ; implicit-def: $vgpr11
	v_cmpx_ne_u32_e64 v115, v116
	s_xor_b32 s13, exec_lo, s13
; %bb.5911:                             ;   in Loop: Header=BB4_5740 Depth=2
	v_cmp_lt_u32_e32 vcc_lo, 0xffffff, v12
	v_sub_nc_u32_e32 v11, v115, v116
	v_cndmask_b32_e64 v115, 0, 1, vcc_lo
	v_add_co_ci_u32_e64 v11, null, 0, v11, vcc_lo
	v_lshrrev_b32_e32 v12, v115, v12
; %bb.5912:                             ;   in Loop: Header=BB4_5740 Depth=2
	s_andn2_saveexec_b32 s13, s13
; %bb.5913:                             ;   in Loop: Header=BB4_5740 Depth=2
	v_bfe_u32 v11, v12, 23, 1
; %bb.5914:                             ;   in Loop: Header=BB4_5740 Depth=2
	s_or_b32 exec_lo, exec_lo, s13
	v_lshrrev_b32_e32 v12, 20, v12
	v_min_i32_e32 v115, 15, v11
	v_cmp_gt_i32_e32 vcc_lo, 16, v11
	v_and_b32_sdwa v10, v10, v82 dst_sel:DWORD dst_unused:UNUSED_PAD src0_sel:BYTE_3 src1_sel:DWORD
	v_lshlrev_b32_e32 v115, 3, v115
	v_cndmask_b32_e32 v12, 7, v12, vcc_lo
	v_and_b32_e32 v115, 0xf8, v115
	v_and_b32_e32 v116, 7, v12
	v_or_b32_e32 v11, v11, v12
	v_or3_b32 v10, v10, v115, v116
	v_cmp_ne_u32_e32 vcc_lo, 0, v11
	v_lshlrev_b32_e32 v10, 8, v10
	v_cndmask_b32_e32 v115, 0, v10, vcc_lo
.LBB4_5915:                             ;   in Loop: Header=BB4_5740 Depth=2
	s_or_b32 exec_lo, exec_lo, s40
.LBB4_5916:                             ;   in Loop: Header=BB4_5740 Depth=2
	s_or_b32 exec_lo, exec_lo, s29
	v_cmp_gt_i16_sdwa s29, v13, v81 src0_sel:BYTE_0 src1_sel:DWORD
	s_mov_b32 s13, 0
	s_and_saveexec_b32 s40, s29
	s_xor_b32 s29, exec_lo, s40
	s_cbranch_execz .LBB4_6666
; %bb.5917:                             ;   in Loop: Header=BB4_5740 Depth=2
	v_cmp_eq_u16_sdwa s41, v13, v82 src0_sel:BYTE_0 src1_sel:DWORD
	s_mov_b32 s13, -1
	s_and_saveexec_b32 s40, s41
; %bb.5918:                             ;   in Loop: Header=BB4_5740 Depth=2
	s_xor_b32 s13, exec_lo, -1
; %bb.5919:                             ;   in Loop: Header=BB4_5740 Depth=2
	s_or_b32 exec_lo, exec_lo, s40
	s_and_b32 s13, s13, exec_lo
	s_or_saveexec_b32 s29, s29
	v_mov_b32_e32 v10, 0x7f800001
	s_xor_b32 exec_lo, exec_lo, s29
	s_cbranch_execnz .LBB4_6667
.LBB4_5920:                             ;   in Loop: Header=BB4_5740 Depth=2
	s_or_b32 exec_lo, exec_lo, s29
	s_and_saveexec_b32 s29, s13
	s_cbranch_execz .LBB4_5922
.LBB4_5921:                             ;   in Loop: Header=BB4_5740 Depth=2
	v_and_b32_e32 v10, 7, v13
	v_bfe_u32 v116, v13, 3, 4
	v_lshlrev_b32_e32 v117, 24, v13
	v_ffbh_u32_e32 v11, v10
	v_cmp_eq_u32_e32 vcc_lo, 0, v116
	v_min_u32_e32 v11, 32, v11
	v_subrev_nc_u32_e32 v12, 28, v11
	v_sub_nc_u32_e32 v11, 29, v11
	v_lshlrev_b32_e32 v12, v12, v13
	v_cndmask_b32_e32 v11, v116, v11, vcc_lo
	v_and_b32_e32 v12, 7, v12
	v_lshl_add_u32 v11, v11, 23, 0x3b800000
	v_cndmask_b32_e32 v10, v10, v12, vcc_lo
	v_and_b32_e32 v12, 0x80000000, v117
	v_lshlrev_b32_e32 v10, 20, v10
	v_or3_b32 v10, v12, v11, v10
.LBB4_5922:                             ;   in Loop: Header=BB4_5740 Depth=2
	s_or_b32 exec_lo, exec_lo, s29
	v_mul_f32_e32 v10, s28, v10
	v_mov_b32_e32 v116, 0x80
	s_mov_b32 s29, exec_lo
	v_and_b32_e32 v11, 0x7f800000, v10
	v_cmpx_ne_u32_e32 0x7f800000, v11
	s_cbranch_execz .LBB4_5930
; %bb.5923:                             ;   in Loop: Header=BB4_5740 Depth=2
	v_mov_b32_e32 v116, 0
	s_mov_b32 s40, exec_lo
	v_cmpx_ne_u32_e32 0, v10
	s_cbranch_execz .LBB4_5929
; %bb.5924:                             ;   in Loop: Header=BB4_5740 Depth=2
	v_bfe_u32 v11, v10, 23, 8
	v_and_b32_e32 v12, 0x7fffff, v10
	v_sub_nc_u32_e32 v116, 0x78, v11
	v_cmp_gt_u32_e32 vcc_lo, 0x79, v11
	v_or_b32_e32 v117, 0x800000, v12
	v_cndmask_b32_e32 v116, 0, v116, vcc_lo
	v_cmp_eq_u32_e32 vcc_lo, 0, v11
	v_add_nc_u32_e32 v11, 0xffffff89, v11
	v_cndmask_b32_e64 v116, v116, 0x77, vcc_lo
	v_cndmask_b32_e32 v12, v117, v12, vcc_lo
	v_cndmask_b32_e64 v11, v11, 0xffffff8a, vcc_lo
	v_lshl_add_u32 v117, 0x100000, v116, -1
	v_lshrrev_b32_e32 v118, v116, v12
	v_lshlrev_b32_e64 v40, v116, 0x80000
	v_add_nc_u32_e32 v116, v116, v11
	v_and_b32_e32 v12, v117, v12
	v_bfe_u32 v119, v118, 20, 1
	v_cmp_eq_u32_e64 s13, v12, v40
	v_add_nc_u32_e32 v117, -1, v119
	v_cndmask_b32_e64 v12, 0, v117, s13
	v_lshrrev_b32_e32 v117, 23, v118
	s_mov_b32 s13, exec_lo
	v_add_nc_u32_e32 v12, v12, v118
	v_xor_b32_e32 v117, 1, v117
	v_and_b32_e32 v11, 0xfffff, v12
	v_add_nc_u32_e32 v12, v11, v118
                                        ; implicit-def: $vgpr11
	v_cmpx_ne_u32_e64 v116, v117
	s_xor_b32 s13, exec_lo, s13
; %bb.5925:                             ;   in Loop: Header=BB4_5740 Depth=2
	v_cmp_lt_u32_e32 vcc_lo, 0xffffff, v12
	v_sub_nc_u32_e32 v11, v116, v117
	v_cndmask_b32_e64 v116, 0, 1, vcc_lo
	v_add_co_ci_u32_e64 v11, null, 0, v11, vcc_lo
	v_lshrrev_b32_e32 v12, v116, v12
; %bb.5926:                             ;   in Loop: Header=BB4_5740 Depth=2
	s_andn2_saveexec_b32 s13, s13
; %bb.5927:                             ;   in Loop: Header=BB4_5740 Depth=2
	v_bfe_u32 v11, v12, 23, 1
; %bb.5928:                             ;   in Loop: Header=BB4_5740 Depth=2
	s_or_b32 exec_lo, exec_lo, s13
	v_lshrrev_b32_e32 v12, 20, v12
	v_min_i32_e32 v116, 15, v11
	v_cmp_gt_i32_e32 vcc_lo, 16, v11
	v_and_b32_sdwa v10, v10, v82 dst_sel:DWORD dst_unused:UNUSED_PAD src0_sel:BYTE_3 src1_sel:DWORD
	v_lshlrev_b32_e32 v116, 3, v116
	v_cndmask_b32_e32 v12, 7, v12, vcc_lo
	v_and_b32_e32 v116, 0xf8, v116
	v_and_b32_e32 v117, 7, v12
	v_or_b32_e32 v11, v11, v12
	v_or3_b32 v10, v116, v10, v117
	v_cmp_ne_u32_e32 vcc_lo, 0, v11
	v_cndmask_b32_e32 v116, 0, v10, vcc_lo
.LBB4_5929:                             ;   in Loop: Header=BB4_5740 Depth=2
	s_or_b32 exec_lo, exec_lo, s40
.LBB4_5930:                             ;   in Loop: Header=BB4_5740 Depth=2
	s_or_b32 exec_lo, exec_lo, s29
	v_cmp_gt_i16_sdwa s29, v13, v81 src0_sel:BYTE_1 src1_sel:DWORD
	s_mov_b32 s13, 0
	s_and_saveexec_b32 s40, s29
	s_xor_b32 s29, exec_lo, s40
	s_cbranch_execz .LBB4_6668
; %bb.5931:                             ;   in Loop: Header=BB4_5740 Depth=2
	v_cmp_eq_u16_sdwa s41, v13, v82 src0_sel:BYTE_1 src1_sel:DWORD
	s_mov_b32 s13, -1
	s_and_saveexec_b32 s40, s41
; %bb.5932:                             ;   in Loop: Header=BB4_5740 Depth=2
	s_xor_b32 s13, exec_lo, -1
; %bb.5933:                             ;   in Loop: Header=BB4_5740 Depth=2
	s_or_b32 exec_lo, exec_lo, s40
	s_and_b32 s13, s13, exec_lo
	s_or_saveexec_b32 s29, s29
	v_mov_b32_e32 v10, 0x7f800001
	s_xor_b32 exec_lo, exec_lo, s29
	s_cbranch_execnz .LBB4_6669
.LBB4_5934:                             ;   in Loop: Header=BB4_5740 Depth=2
	s_or_b32 exec_lo, exec_lo, s29
	s_and_saveexec_b32 s29, s13
	s_cbranch_execz .LBB4_5936
.LBB4_5935:                             ;   in Loop: Header=BB4_5740 Depth=2
	v_and_b32_sdwa v10, v83, v13 dst_sel:DWORD dst_unused:UNUSED_PAD src0_sel:DWORD src1_sel:BYTE_1
	v_and_b32_e32 v11, 7, v10
	v_bfe_u32 v118, v10, 3, 4
	v_ffbh_u32_e32 v12, v11
	v_cmp_eq_u32_e32 vcc_lo, 0, v118
	v_min_u32_e32 v12, 32, v12
	v_subrev_nc_u32_e32 v117, 28, v12
	v_sub_nc_u32_e32 v12, 29, v12
	v_lshlrev_b32_e32 v10, v117, v10
	v_lshlrev_b32_sdwa v117, v84, v13 dst_sel:DWORD dst_unused:UNUSED_PAD src0_sel:DWORD src1_sel:BYTE_1
	v_cndmask_b32_e32 v12, v118, v12, vcc_lo
	v_and_b32_e32 v10, 7, v10
	v_lshl_add_u32 v12, v12, 23, 0x3b800000
	v_cndmask_b32_e32 v10, v11, v10, vcc_lo
	v_and_b32_e32 v11, 0x80000000, v117
	v_lshlrev_b32_e32 v10, 20, v10
	v_or3_b32 v10, v11, v12, v10
.LBB4_5936:                             ;   in Loop: Header=BB4_5740 Depth=2
	s_or_b32 exec_lo, exec_lo, s29
	v_mul_f32_e32 v10, s28, v10
	v_mov_b32_e32 v117, 0x8000
	s_mov_b32 s29, exec_lo
	v_and_b32_e32 v11, 0x7f800000, v10
	v_cmpx_ne_u32_e32 0x7f800000, v11
	s_cbranch_execz .LBB4_5944
; %bb.5937:                             ;   in Loop: Header=BB4_5740 Depth=2
	v_mov_b32_e32 v117, 0
	s_mov_b32 s40, exec_lo
	v_cmpx_ne_u32_e32 0, v10
	s_cbranch_execz .LBB4_5943
; %bb.5938:                             ;   in Loop: Header=BB4_5740 Depth=2
	v_bfe_u32 v11, v10, 23, 8
	v_and_b32_e32 v12, 0x7fffff, v10
	v_sub_nc_u32_e32 v117, 0x78, v11
	v_cmp_gt_u32_e32 vcc_lo, 0x79, v11
	v_or_b32_e32 v118, 0x800000, v12
	v_cndmask_b32_e32 v117, 0, v117, vcc_lo
	v_cmp_eq_u32_e32 vcc_lo, 0, v11
	v_add_nc_u32_e32 v11, 0xffffff89, v11
	v_cndmask_b32_e64 v117, v117, 0x77, vcc_lo
	v_cndmask_b32_e32 v12, v118, v12, vcc_lo
	v_cndmask_b32_e64 v11, v11, 0xffffff8a, vcc_lo
	v_lshl_add_u32 v118, 0x100000, v117, -1
	v_lshrrev_b32_e32 v119, v117, v12
	v_lshlrev_b32_e64 v41, v117, 0x80000
	v_add_nc_u32_e32 v117, v117, v11
	v_and_b32_e32 v12, v118, v12
	v_bfe_u32 v40, v119, 20, 1
	v_cmp_eq_u32_e64 s13, v12, v41
	v_add_nc_u32_e32 v118, -1, v40
	v_cndmask_b32_e64 v12, 0, v118, s13
	v_lshrrev_b32_e32 v118, 23, v119
	s_mov_b32 s13, exec_lo
	v_add_nc_u32_e32 v12, v12, v119
	v_xor_b32_e32 v118, 1, v118
	v_and_b32_e32 v11, 0xfffff, v12
	v_add_nc_u32_e32 v12, v11, v119
                                        ; implicit-def: $vgpr11
	v_cmpx_ne_u32_e64 v117, v118
	s_xor_b32 s13, exec_lo, s13
; %bb.5939:                             ;   in Loop: Header=BB4_5740 Depth=2
	v_cmp_lt_u32_e32 vcc_lo, 0xffffff, v12
	v_sub_nc_u32_e32 v11, v117, v118
	v_cndmask_b32_e64 v117, 0, 1, vcc_lo
	v_add_co_ci_u32_e64 v11, null, 0, v11, vcc_lo
	v_lshrrev_b32_e32 v12, v117, v12
; %bb.5940:                             ;   in Loop: Header=BB4_5740 Depth=2
	s_andn2_saveexec_b32 s13, s13
; %bb.5941:                             ;   in Loop: Header=BB4_5740 Depth=2
	v_bfe_u32 v11, v12, 23, 1
; %bb.5942:                             ;   in Loop: Header=BB4_5740 Depth=2
	s_or_b32 exec_lo, exec_lo, s13
	v_lshrrev_b32_e32 v12, 20, v12
	v_min_i32_e32 v117, 15, v11
	v_cmp_gt_i32_e32 vcc_lo, 16, v11
	v_and_b32_sdwa v10, v10, v82 dst_sel:DWORD dst_unused:UNUSED_PAD src0_sel:BYTE_3 src1_sel:DWORD
	v_lshlrev_b32_e32 v117, 3, v117
	v_cndmask_b32_e32 v12, 7, v12, vcc_lo
	v_and_b32_e32 v117, 0xf8, v117
	v_and_b32_e32 v118, 7, v12
	v_or_b32_e32 v11, v11, v12
	v_or3_b32 v10, v10, v117, v118
	v_cmp_ne_u32_e32 vcc_lo, 0, v11
	v_lshlrev_b32_e32 v10, 8, v10
	v_cndmask_b32_e32 v117, 0, v10, vcc_lo
.LBB4_5943:                             ;   in Loop: Header=BB4_5740 Depth=2
	s_or_b32 exec_lo, exec_lo, s40
.LBB4_5944:                             ;   in Loop: Header=BB4_5740 Depth=2
	s_or_b32 exec_lo, exec_lo, s29
	v_and_b32_sdwa v11, v13, v85 dst_sel:DWORD dst_unused:UNUSED_PAD src0_sel:WORD_1 src1_sel:DWORD
	s_mov_b32 s13, 0
	s_mov_b32 s29, exec_lo
	v_cmpx_lt_i16_e32 0x7f, v11
	s_xor_b32 s29, exec_lo, s29
	s_cbranch_execz .LBB4_6670
; %bb.5945:                             ;   in Loop: Header=BB4_5740 Depth=2
	s_mov_b32 s13, -1
	s_mov_b32 s40, exec_lo
	v_cmpx_eq_u16_e32 0x80, v11
; %bb.5946:                             ;   in Loop: Header=BB4_5740 Depth=2
	s_xor_b32 s13, exec_lo, -1
; %bb.5947:                             ;   in Loop: Header=BB4_5740 Depth=2
	s_or_b32 exec_lo, exec_lo, s40
	s_and_b32 s13, s13, exec_lo
                                        ; implicit-def: $vgpr11
	s_or_saveexec_b32 s29, s29
	v_mov_b32_e32 v10, 0x7f800001
	s_xor_b32 exec_lo, exec_lo, s29
	s_cbranch_execnz .LBB4_6671
.LBB4_5948:                             ;   in Loop: Header=BB4_5740 Depth=2
	s_or_b32 exec_lo, exec_lo, s29
	s_and_saveexec_b32 s29, s13
	s_cbranch_execz .LBB4_5950
.LBB4_5949:                             ;   in Loop: Header=BB4_5740 Depth=2
	v_bfe_u32 v10, v13, 16, 3
	v_bfe_u32 v118, v13, 19, 4
	v_lshlrev_b32_e32 v119, 8, v13
	v_ffbh_u32_e32 v11, v10
	v_cmp_eq_u32_e32 vcc_lo, 0, v118
	v_min_u32_e32 v11, 32, v11
	v_subrev_nc_u32_e32 v12, 28, v11
	v_sub_nc_u32_e32 v11, 29, v11
	v_lshlrev_b32_sdwa v12, v12, v13 dst_sel:DWORD dst_unused:UNUSED_PAD src0_sel:DWORD src1_sel:WORD_1
	v_cndmask_b32_e32 v11, v118, v11, vcc_lo
	v_and_b32_e32 v12, 7, v12
	v_lshl_add_u32 v11, v11, 23, 0x3b800000
	v_cndmask_b32_e32 v10, v10, v12, vcc_lo
	v_and_b32_e32 v12, 0x80000000, v119
	v_lshlrev_b32_e32 v10, 20, v10
	v_or3_b32 v10, v12, v11, v10
.LBB4_5950:                             ;   in Loop: Header=BB4_5740 Depth=2
	s_or_b32 exec_lo, exec_lo, s29
	v_mul_f32_e32 v10, s28, v10
	v_mov_b32_e32 v118, 0x80
	s_mov_b32 s29, exec_lo
	v_and_b32_e32 v11, 0x7f800000, v10
	v_cmpx_ne_u32_e32 0x7f800000, v11
	s_cbranch_execz .LBB4_5958
; %bb.5951:                             ;   in Loop: Header=BB4_5740 Depth=2
	v_mov_b32_e32 v118, 0
	s_mov_b32 s40, exec_lo
	v_cmpx_ne_u32_e32 0, v10
	s_cbranch_execz .LBB4_5957
; %bb.5952:                             ;   in Loop: Header=BB4_5740 Depth=2
	v_bfe_u32 v11, v10, 23, 8
	v_and_b32_e32 v12, 0x7fffff, v10
	v_sub_nc_u32_e32 v118, 0x78, v11
	v_cmp_gt_u32_e32 vcc_lo, 0x79, v11
	v_or_b32_e32 v119, 0x800000, v12
	v_cndmask_b32_e32 v118, 0, v118, vcc_lo
	v_cmp_eq_u32_e32 vcc_lo, 0, v11
	v_add_nc_u32_e32 v11, 0xffffff89, v11
	v_cndmask_b32_e64 v118, v118, 0x77, vcc_lo
	v_cndmask_b32_e32 v12, v119, v12, vcc_lo
	v_cndmask_b32_e64 v11, v11, 0xffffff8a, vcc_lo
	v_lshl_add_u32 v119, 0x100000, v118, -1
	v_lshrrev_b32_e32 v40, v118, v12
	v_lshlrev_b32_e64 v42, v118, 0x80000
	v_add_nc_u32_e32 v118, v118, v11
	v_and_b32_e32 v12, v119, v12
	v_bfe_u32 v41, v40, 20, 1
	v_cmp_eq_u32_e64 s13, v12, v42
	v_add_nc_u32_e32 v119, -1, v41
	v_cndmask_b32_e64 v12, 0, v119, s13
	v_lshrrev_b32_e32 v119, 23, v40
	s_mov_b32 s13, exec_lo
	v_add_nc_u32_e32 v12, v12, v40
	v_xor_b32_e32 v119, 1, v119
	v_and_b32_e32 v11, 0xfffff, v12
	v_add_nc_u32_e32 v12, v11, v40
                                        ; implicit-def: $vgpr11
	v_cmpx_ne_u32_e64 v118, v119
	s_xor_b32 s13, exec_lo, s13
; %bb.5953:                             ;   in Loop: Header=BB4_5740 Depth=2
	v_cmp_lt_u32_e32 vcc_lo, 0xffffff, v12
	v_sub_nc_u32_e32 v11, v118, v119
	v_cndmask_b32_e64 v118, 0, 1, vcc_lo
	v_add_co_ci_u32_e64 v11, null, 0, v11, vcc_lo
	v_lshrrev_b32_e32 v12, v118, v12
; %bb.5954:                             ;   in Loop: Header=BB4_5740 Depth=2
	s_andn2_saveexec_b32 s13, s13
; %bb.5955:                             ;   in Loop: Header=BB4_5740 Depth=2
	v_bfe_u32 v11, v12, 23, 1
; %bb.5956:                             ;   in Loop: Header=BB4_5740 Depth=2
	s_or_b32 exec_lo, exec_lo, s13
	v_lshrrev_b32_e32 v12, 20, v12
	v_min_i32_e32 v118, 15, v11
	v_cmp_gt_i32_e32 vcc_lo, 16, v11
	v_and_b32_sdwa v10, v10, v82 dst_sel:DWORD dst_unused:UNUSED_PAD src0_sel:BYTE_3 src1_sel:DWORD
	v_lshlrev_b32_e32 v118, 3, v118
	v_cndmask_b32_e32 v12, 7, v12, vcc_lo
	v_and_b32_e32 v118, 0xf8, v118
	v_and_b32_e32 v119, 7, v12
	v_or_b32_e32 v11, v11, v12
	v_or3_b32 v10, v118, v10, v119
	v_cmp_ne_u32_e32 vcc_lo, 0, v11
	v_cndmask_b32_e32 v118, 0, v10, vcc_lo
.LBB4_5957:                             ;   in Loop: Header=BB4_5740 Depth=2
	s_or_b32 exec_lo, exec_lo, s40
.LBB4_5958:                             ;   in Loop: Header=BB4_5740 Depth=2
	s_or_b32 exec_lo, exec_lo, s29
	v_cmp_gt_i16_sdwa s29, v13, v81 src0_sel:BYTE_3 src1_sel:DWORD
	s_mov_b32 s13, 0
	s_and_saveexec_b32 s40, s29
	s_xor_b32 s29, exec_lo, s40
	s_cbranch_execz .LBB4_6672
; %bb.5959:                             ;   in Loop: Header=BB4_5740 Depth=2
	v_cmp_eq_u16_sdwa s41, v13, v82 src0_sel:BYTE_3 src1_sel:DWORD
	s_mov_b32 s13, -1
	s_and_saveexec_b32 s40, s41
; %bb.5960:                             ;   in Loop: Header=BB4_5740 Depth=2
	s_xor_b32 s13, exec_lo, -1
; %bb.5961:                             ;   in Loop: Header=BB4_5740 Depth=2
	s_or_b32 exec_lo, exec_lo, s40
	s_and_b32 s13, s13, exec_lo
	s_or_saveexec_b32 s29, s29
	v_mov_b32_e32 v10, 0x7f800001
	s_xor_b32 exec_lo, exec_lo, s29
	s_cbranch_execnz .LBB4_6673
.LBB4_5962:                             ;   in Loop: Header=BB4_5740 Depth=2
	s_or_b32 exec_lo, exec_lo, s29
	s_and_saveexec_b32 s29, s13
	s_cbranch_execz .LBB4_5964
.LBB4_5963:                             ;   in Loop: Header=BB4_5740 Depth=2
	v_bfe_u32 v10, v13, 24, 3
	v_bfe_u32 v119, v13, 27, 4
	v_ffbh_u32_e32 v11, v10
	v_cmp_eq_u32_e32 vcc_lo, 0, v119
	v_min_u32_e32 v11, 32, v11
	v_subrev_nc_u32_e32 v12, 28, v11
	v_sub_nc_u32_e32 v11, 29, v11
	v_lshlrev_b32_sdwa v12, v12, v13 dst_sel:DWORD dst_unused:UNUSED_PAD src0_sel:DWORD src1_sel:BYTE_3
	v_cndmask_b32_e32 v11, v119, v11, vcc_lo
	v_and_b32_e32 v12, 7, v12
	v_lshl_add_u32 v11, v11, 23, 0x3b800000
	v_cndmask_b32_e32 v10, v10, v12, vcc_lo
	v_and_b32_e32 v12, 0x80000000, v13
	v_lshlrev_b32_e32 v10, 20, v10
	v_or3_b32 v10, v12, v11, v10
.LBB4_5964:                             ;   in Loop: Header=BB4_5740 Depth=2
	s_or_b32 exec_lo, exec_lo, s29
	v_mul_f32_e32 v10, s28, v10
	v_mov_b32_e32 v119, 0x8000
	s_mov_b32 s29, exec_lo
	v_and_b32_e32 v11, 0x7f800000, v10
	v_cmpx_ne_u32_e32 0x7f800000, v11
	s_cbranch_execz .LBB4_5972
; %bb.5965:                             ;   in Loop: Header=BB4_5740 Depth=2
	v_mov_b32_e32 v119, 0
	s_mov_b32 s40, exec_lo
	v_cmpx_ne_u32_e32 0, v10
	s_cbranch_execz .LBB4_5971
; %bb.5966:                             ;   in Loop: Header=BB4_5740 Depth=2
	v_bfe_u32 v11, v10, 23, 8
	v_and_b32_e32 v12, 0x7fffff, v10
	v_sub_nc_u32_e32 v13, 0x78, v11
	v_cmp_gt_u32_e32 vcc_lo, 0x79, v11
	v_or_b32_e32 v119, 0x800000, v12
	v_cndmask_b32_e32 v13, 0, v13, vcc_lo
	v_cmp_eq_u32_e32 vcc_lo, 0, v11
	v_add_nc_u32_e32 v11, 0xffffff89, v11
	v_cndmask_b32_e64 v13, v13, 0x77, vcc_lo
	v_cndmask_b32_e32 v12, v119, v12, vcc_lo
	v_cndmask_b32_e64 v11, v11, 0xffffff8a, vcc_lo
	v_lshl_add_u32 v119, 0x100000, v13, -1
	v_lshrrev_b32_e32 v40, v13, v12
	v_lshlrev_b32_e64 v42, v13, 0x80000
	v_add_nc_u32_e32 v13, v13, v11
	v_and_b32_e32 v12, v119, v12
	v_bfe_u32 v41, v40, 20, 1
	v_cmp_eq_u32_e64 s13, v12, v42
	v_add_nc_u32_e32 v119, -1, v41
	v_cndmask_b32_e64 v12, 0, v119, s13
	v_lshrrev_b32_e32 v119, 23, v40
	s_mov_b32 s13, exec_lo
	v_add_nc_u32_e32 v12, v12, v40
	v_xor_b32_e32 v119, 1, v119
	v_and_b32_e32 v11, 0xfffff, v12
	v_add_nc_u32_e32 v12, v11, v40
                                        ; implicit-def: $vgpr11
	v_cmpx_ne_u32_e64 v13, v119
	s_xor_b32 s13, exec_lo, s13
; %bb.5967:                             ;   in Loop: Header=BB4_5740 Depth=2
	v_cmp_lt_u32_e32 vcc_lo, 0xffffff, v12
	v_sub_nc_u32_e32 v11, v13, v119
	v_cndmask_b32_e64 v13, 0, 1, vcc_lo
	v_add_co_ci_u32_e64 v11, null, 0, v11, vcc_lo
	v_lshrrev_b32_e32 v12, v13, v12
; %bb.5968:                             ;   in Loop: Header=BB4_5740 Depth=2
	s_andn2_saveexec_b32 s13, s13
; %bb.5969:                             ;   in Loop: Header=BB4_5740 Depth=2
	v_bfe_u32 v11, v12, 23, 1
; %bb.5970:                             ;   in Loop: Header=BB4_5740 Depth=2
	s_or_b32 exec_lo, exec_lo, s13
	v_lshrrev_b32_e32 v12, 20, v12
	v_min_i32_e32 v13, 15, v11
	v_cmp_gt_i32_e32 vcc_lo, 16, v11
	v_and_b32_sdwa v10, v10, v82 dst_sel:DWORD dst_unused:UNUSED_PAD src0_sel:BYTE_3 src1_sel:DWORD
	v_lshlrev_b32_e32 v13, 3, v13
	v_cndmask_b32_e32 v12, 7, v12, vcc_lo
	v_and_b32_e32 v13, 0xf8, v13
	v_and_b32_e32 v119, 7, v12
	v_or_b32_e32 v11, v11, v12
	v_or3_b32 v10, v10, v13, v119
	v_cmp_ne_u32_e32 vcc_lo, 0, v11
	v_lshlrev_b32_e32 v10, 8, v10
	v_cndmask_b32_e32 v119, 0, v10, vcc_lo
.LBB4_5971:                             ;   in Loop: Header=BB4_5740 Depth=2
	s_or_b32 exec_lo, exec_lo, s40
.LBB4_5972:                             ;   in Loop: Header=BB4_5740 Depth=2
	s_or_b32 exec_lo, exec_lo, s29
	global_load_dwordx4 v[10:13], v[54:55], off offset:512 slc
	s_mov_b32 s13, 0
	s_waitcnt vmcnt(0)
	v_cmp_gt_i16_sdwa s29, v10, v81 src0_sel:BYTE_0 src1_sel:DWORD
	s_and_saveexec_b32 s40, s29
	s_xor_b32 s29, exec_lo, s40
	s_cbranch_execz .LBB4_6674
; %bb.5973:                             ;   in Loop: Header=BB4_5740 Depth=2
	v_cmp_eq_u16_sdwa s41, v10, v82 src0_sel:BYTE_0 src1_sel:DWORD
	s_mov_b32 s13, -1
	s_and_saveexec_b32 s40, s41
; %bb.5974:                             ;   in Loop: Header=BB4_5740 Depth=2
	s_xor_b32 s13, exec_lo, -1
; %bb.5975:                             ;   in Loop: Header=BB4_5740 Depth=2
	s_or_b32 exec_lo, exec_lo, s40
	s_and_b32 s13, s13, exec_lo
	s_or_saveexec_b32 s29, s29
	v_mov_b32_e32 v40, 0x7f800001
	s_xor_b32 exec_lo, exec_lo, s29
	s_cbranch_execnz .LBB4_6675
.LBB4_5976:                             ;   in Loop: Header=BB4_5740 Depth=2
	s_or_b32 exec_lo, exec_lo, s29
	s_and_saveexec_b32 s29, s13
	s_cbranch_execz .LBB4_5978
.LBB4_5977:                             ;   in Loop: Header=BB4_5740 Depth=2
	v_and_b32_e32 v40, 7, v10
	v_bfe_u32 v43, v10, 3, 4
	v_lshlrev_b32_e32 v44, 24, v10
	v_ffbh_u32_e32 v41, v40
	v_cmp_eq_u32_e32 vcc_lo, 0, v43
	v_min_u32_e32 v41, 32, v41
	v_subrev_nc_u32_e32 v42, 28, v41
	v_sub_nc_u32_e32 v41, 29, v41
	v_lshlrev_b32_e32 v42, v42, v10
	v_cndmask_b32_e32 v41, v43, v41, vcc_lo
	v_and_b32_e32 v42, 7, v42
	v_lshl_add_u32 v41, v41, 23, 0x3b800000
	v_cndmask_b32_e32 v40, v40, v42, vcc_lo
	v_and_b32_e32 v42, 0x80000000, v44
	v_lshlrev_b32_e32 v40, 20, v40
	v_or3_b32 v40, v42, v41, v40
.LBB4_5978:                             ;   in Loop: Header=BB4_5740 Depth=2
	s_or_b32 exec_lo, exec_lo, s29
	v_mul_f32_e32 v41, s28, v40
	v_and_b32_e32 v40, 0x7f800000, v41
	v_cmp_ne_u32_e32 vcc_lo, 0x7f800000, v40
	v_mov_b32_e32 v40, 0x80
	s_and_saveexec_b32 s29, vcc_lo
	s_cbranch_execz .LBB4_5986
; %bb.5979:                             ;   in Loop: Header=BB4_5740 Depth=2
	v_mov_b32_e32 v40, 0
	s_mov_b32 s40, exec_lo
	v_cmpx_ne_u32_e32 0, v41
	s_cbranch_execz .LBB4_5985
; %bb.5980:                             ;   in Loop: Header=BB4_5740 Depth=2
	v_bfe_u32 v40, v41, 23, 8
	v_and_b32_e32 v42, 0x7fffff, v41
	v_sub_nc_u32_e32 v43, 0x78, v40
	v_cmp_gt_u32_e32 vcc_lo, 0x79, v40
	v_or_b32_e32 v44, 0x800000, v42
	v_cndmask_b32_e32 v43, 0, v43, vcc_lo
	v_cmp_eq_u32_e32 vcc_lo, 0, v40
	v_add_nc_u32_e32 v40, 0xffffff89, v40
	v_cndmask_b32_e64 v43, v43, 0x77, vcc_lo
	v_cndmask_b32_e32 v42, v44, v42, vcc_lo
	v_cndmask_b32_e64 v40, v40, 0xffffff8a, vcc_lo
	v_lshl_add_u32 v44, 0x100000, v43, -1
	v_lshrrev_b32_e32 v45, v43, v42
	v_lshlrev_b32_e64 v47, v43, 0x80000
	v_add_nc_u32_e32 v43, v43, v40
	v_and_b32_e32 v42, v44, v42
	v_bfe_u32 v46, v45, 20, 1
	v_cmp_eq_u32_e64 s13, v42, v47
	v_add_nc_u32_e32 v44, -1, v46
	v_cndmask_b32_e64 v42, 0, v44, s13
	v_lshrrev_b32_e32 v44, 23, v45
	s_mov_b32 s13, exec_lo
	v_add_nc_u32_e32 v42, v42, v45
	v_xor_b32_e32 v44, 1, v44
	v_and_b32_e32 v40, 0xfffff, v42
	v_add_nc_u32_e32 v42, v40, v45
                                        ; implicit-def: $vgpr40
	v_cmpx_ne_u32_e64 v43, v44
	s_xor_b32 s13, exec_lo, s13
; %bb.5981:                             ;   in Loop: Header=BB4_5740 Depth=2
	v_cmp_lt_u32_e32 vcc_lo, 0xffffff, v42
	v_sub_nc_u32_e32 v40, v43, v44
	v_cndmask_b32_e64 v43, 0, 1, vcc_lo
	v_add_co_ci_u32_e64 v40, null, 0, v40, vcc_lo
	v_lshrrev_b32_e32 v42, v43, v42
; %bb.5982:                             ;   in Loop: Header=BB4_5740 Depth=2
	s_andn2_saveexec_b32 s13, s13
; %bb.5983:                             ;   in Loop: Header=BB4_5740 Depth=2
	v_bfe_u32 v40, v42, 23, 1
; %bb.5984:                             ;   in Loop: Header=BB4_5740 Depth=2
	s_or_b32 exec_lo, exec_lo, s13
	v_lshrrev_b32_e32 v42, 20, v42
	v_min_i32_e32 v43, 15, v40
	v_cmp_gt_i32_e32 vcc_lo, 16, v40
	v_and_b32_sdwa v41, v41, v82 dst_sel:DWORD dst_unused:UNUSED_PAD src0_sel:BYTE_3 src1_sel:DWORD
	v_lshlrev_b32_e32 v43, 3, v43
	v_cndmask_b32_e32 v42, 7, v42, vcc_lo
	v_and_b32_e32 v43, 0xf8, v43
	v_and_b32_e32 v44, 7, v42
	v_or_b32_e32 v40, v40, v42
	v_or3_b32 v41, v43, v41, v44
	v_cmp_ne_u32_e32 vcc_lo, 0, v40
	v_cndmask_b32_e32 v40, 0, v41, vcc_lo
.LBB4_5985:                             ;   in Loop: Header=BB4_5740 Depth=2
	s_or_b32 exec_lo, exec_lo, s40
.LBB4_5986:                             ;   in Loop: Header=BB4_5740 Depth=2
	s_or_b32 exec_lo, exec_lo, s29
	v_cmp_gt_i16_sdwa s29, v10, v81 src0_sel:BYTE_1 src1_sel:DWORD
	s_mov_b32 s13, 0
	s_and_saveexec_b32 s40, s29
	s_xor_b32 s29, exec_lo, s40
	s_cbranch_execz .LBB4_6676
; %bb.5987:                             ;   in Loop: Header=BB4_5740 Depth=2
	v_cmp_eq_u16_sdwa s41, v10, v82 src0_sel:BYTE_1 src1_sel:DWORD
	s_mov_b32 s13, -1
	s_and_saveexec_b32 s40, s41
; %bb.5988:                             ;   in Loop: Header=BB4_5740 Depth=2
	s_xor_b32 s13, exec_lo, -1
; %bb.5989:                             ;   in Loop: Header=BB4_5740 Depth=2
	s_or_b32 exec_lo, exec_lo, s40
	s_and_b32 s13, s13, exec_lo
	s_or_saveexec_b32 s29, s29
	v_mov_b32_e32 v41, 0x7f800001
	s_xor_b32 exec_lo, exec_lo, s29
	s_cbranch_execnz .LBB4_6677
.LBB4_5990:                             ;   in Loop: Header=BB4_5740 Depth=2
	s_or_b32 exec_lo, exec_lo, s29
	s_and_saveexec_b32 s29, s13
	s_cbranch_execz .LBB4_5992
.LBB4_5991:                             ;   in Loop: Header=BB4_5740 Depth=2
	v_and_b32_sdwa v41, v83, v10 dst_sel:DWORD dst_unused:UNUSED_PAD src0_sel:DWORD src1_sel:BYTE_1
	v_and_b32_e32 v42, 7, v41
	v_bfe_u32 v45, v41, 3, 4
	v_ffbh_u32_e32 v43, v42
	v_cmp_eq_u32_e32 vcc_lo, 0, v45
	v_min_u32_e32 v43, 32, v43
	v_subrev_nc_u32_e32 v44, 28, v43
	v_sub_nc_u32_e32 v43, 29, v43
	v_lshlrev_b32_e32 v41, v44, v41
	v_lshlrev_b32_sdwa v44, v84, v10 dst_sel:DWORD dst_unused:UNUSED_PAD src0_sel:DWORD src1_sel:BYTE_1
	v_cndmask_b32_e32 v43, v45, v43, vcc_lo
	v_and_b32_e32 v41, 7, v41
	v_lshl_add_u32 v43, v43, 23, 0x3b800000
	v_cndmask_b32_e32 v41, v42, v41, vcc_lo
	v_and_b32_e32 v42, 0x80000000, v44
	v_lshlrev_b32_e32 v41, 20, v41
	v_or3_b32 v41, v42, v43, v41
.LBB4_5992:                             ;   in Loop: Header=BB4_5740 Depth=2
	s_or_b32 exec_lo, exec_lo, s29
	v_mul_f32_e32 v42, s28, v41
	v_and_b32_e32 v41, 0x7f800000, v42
	v_cmp_ne_u32_e32 vcc_lo, 0x7f800000, v41
	v_mov_b32_e32 v41, 0x8000
	s_and_saveexec_b32 s29, vcc_lo
	s_cbranch_execz .LBB4_6000
; %bb.5993:                             ;   in Loop: Header=BB4_5740 Depth=2
	v_mov_b32_e32 v41, 0
	s_mov_b32 s40, exec_lo
	v_cmpx_ne_u32_e32 0, v42
	s_cbranch_execz .LBB4_5999
; %bb.5994:                             ;   in Loop: Header=BB4_5740 Depth=2
	v_bfe_u32 v41, v42, 23, 8
	v_and_b32_e32 v43, 0x7fffff, v42
	v_sub_nc_u32_e32 v44, 0x78, v41
	v_cmp_gt_u32_e32 vcc_lo, 0x79, v41
	v_or_b32_e32 v45, 0x800000, v43
	v_cndmask_b32_e32 v44, 0, v44, vcc_lo
	v_cmp_eq_u32_e32 vcc_lo, 0, v41
	v_add_nc_u32_e32 v41, 0xffffff89, v41
	v_cndmask_b32_e64 v44, v44, 0x77, vcc_lo
	v_cndmask_b32_e32 v43, v45, v43, vcc_lo
	v_cndmask_b32_e64 v41, v41, 0xffffff8a, vcc_lo
	v_lshl_add_u32 v45, 0x100000, v44, -1
	v_lshrrev_b32_e32 v46, v44, v43
	v_lshlrev_b32_e64 v56, v44, 0x80000
	v_add_nc_u32_e32 v44, v44, v41
	v_and_b32_e32 v43, v45, v43
	v_bfe_u32 v47, v46, 20, 1
	v_cmp_eq_u32_e64 s13, v43, v56
	v_add_nc_u32_e32 v45, -1, v47
	v_cndmask_b32_e64 v43, 0, v45, s13
	v_lshrrev_b32_e32 v45, 23, v46
	s_mov_b32 s13, exec_lo
	v_add_nc_u32_e32 v43, v43, v46
	v_xor_b32_e32 v45, 1, v45
	v_and_b32_e32 v41, 0xfffff, v43
	v_add_nc_u32_e32 v43, v41, v46
                                        ; implicit-def: $vgpr41
	v_cmpx_ne_u32_e64 v44, v45
	s_xor_b32 s13, exec_lo, s13
; %bb.5995:                             ;   in Loop: Header=BB4_5740 Depth=2
	v_cmp_lt_u32_e32 vcc_lo, 0xffffff, v43
	v_sub_nc_u32_e32 v41, v44, v45
	v_cndmask_b32_e64 v44, 0, 1, vcc_lo
	v_add_co_ci_u32_e64 v41, null, 0, v41, vcc_lo
	v_lshrrev_b32_e32 v43, v44, v43
; %bb.5996:                             ;   in Loop: Header=BB4_5740 Depth=2
	s_andn2_saveexec_b32 s13, s13
; %bb.5997:                             ;   in Loop: Header=BB4_5740 Depth=2
	v_bfe_u32 v41, v43, 23, 1
; %bb.5998:                             ;   in Loop: Header=BB4_5740 Depth=2
	s_or_b32 exec_lo, exec_lo, s13
	v_lshrrev_b32_e32 v43, 20, v43
	v_min_i32_e32 v44, 15, v41
	v_cmp_gt_i32_e32 vcc_lo, 16, v41
	v_and_b32_sdwa v42, v42, v82 dst_sel:DWORD dst_unused:UNUSED_PAD src0_sel:BYTE_3 src1_sel:DWORD
	v_lshlrev_b32_e32 v44, 3, v44
	v_cndmask_b32_e32 v43, 7, v43, vcc_lo
	v_and_b32_e32 v44, 0xf8, v44
	v_and_b32_e32 v45, 7, v43
	v_or_b32_e32 v41, v41, v43
	v_or3_b32 v42, v42, v44, v45
	v_cmp_ne_u32_e32 vcc_lo, 0, v41
	v_lshlrev_b32_e32 v42, 8, v42
	v_cndmask_b32_e32 v41, 0, v42, vcc_lo
.LBB4_5999:                             ;   in Loop: Header=BB4_5740 Depth=2
	s_or_b32 exec_lo, exec_lo, s40
.LBB4_6000:                             ;   in Loop: Header=BB4_5740 Depth=2
	s_or_b32 exec_lo, exec_lo, s29
	v_and_b32_sdwa v43, v10, v85 dst_sel:DWORD dst_unused:UNUSED_PAD src0_sel:WORD_1 src1_sel:DWORD
	s_mov_b32 s13, 0
	s_mov_b32 s29, exec_lo
	v_cmpx_lt_i16_e32 0x7f, v43
	s_xor_b32 s29, exec_lo, s29
	s_cbranch_execz .LBB4_6678
; %bb.6001:                             ;   in Loop: Header=BB4_5740 Depth=2
	s_mov_b32 s13, -1
	s_mov_b32 s40, exec_lo
	v_cmpx_eq_u16_e32 0x80, v43
; %bb.6002:                             ;   in Loop: Header=BB4_5740 Depth=2
	s_xor_b32 s13, exec_lo, -1
; %bb.6003:                             ;   in Loop: Header=BB4_5740 Depth=2
	s_or_b32 exec_lo, exec_lo, s40
	s_and_b32 s13, s13, exec_lo
                                        ; implicit-def: $vgpr43
	s_or_saveexec_b32 s29, s29
	v_mov_b32_e32 v42, 0x7f800001
	s_xor_b32 exec_lo, exec_lo, s29
	s_cbranch_execnz .LBB4_6679
.LBB4_6004:                             ;   in Loop: Header=BB4_5740 Depth=2
	s_or_b32 exec_lo, exec_lo, s29
	s_and_saveexec_b32 s29, s13
	s_cbranch_execz .LBB4_6006
.LBB4_6005:                             ;   in Loop: Header=BB4_5740 Depth=2
	v_bfe_u32 v42, v10, 16, 3
	v_bfe_u32 v45, v10, 19, 4
	v_lshlrev_b32_e32 v46, 8, v10
	v_ffbh_u32_e32 v43, v42
	v_cmp_eq_u32_e32 vcc_lo, 0, v45
	v_min_u32_e32 v43, 32, v43
	v_subrev_nc_u32_e32 v44, 28, v43
	v_sub_nc_u32_e32 v43, 29, v43
	v_lshlrev_b32_sdwa v44, v44, v10 dst_sel:DWORD dst_unused:UNUSED_PAD src0_sel:DWORD src1_sel:WORD_1
	v_cndmask_b32_e32 v43, v45, v43, vcc_lo
	v_and_b32_e32 v44, 7, v44
	v_lshl_add_u32 v43, v43, 23, 0x3b800000
	v_cndmask_b32_e32 v42, v42, v44, vcc_lo
	v_and_b32_e32 v44, 0x80000000, v46
	v_lshlrev_b32_e32 v42, 20, v42
	v_or3_b32 v42, v44, v43, v42
.LBB4_6006:                             ;   in Loop: Header=BB4_5740 Depth=2
	s_or_b32 exec_lo, exec_lo, s29
	v_mul_f32_e32 v43, s28, v42
	v_and_b32_e32 v42, 0x7f800000, v43
	v_cmp_ne_u32_e32 vcc_lo, 0x7f800000, v42
	v_mov_b32_e32 v42, 0x80
	s_and_saveexec_b32 s29, vcc_lo
	s_cbranch_execz .LBB4_6014
; %bb.6007:                             ;   in Loop: Header=BB4_5740 Depth=2
	v_mov_b32_e32 v42, 0
	s_mov_b32 s40, exec_lo
	v_cmpx_ne_u32_e32 0, v43
	s_cbranch_execz .LBB4_6013
; %bb.6008:                             ;   in Loop: Header=BB4_5740 Depth=2
	v_bfe_u32 v42, v43, 23, 8
	v_and_b32_e32 v44, 0x7fffff, v43
	v_sub_nc_u32_e32 v45, 0x78, v42
	v_cmp_gt_u32_e32 vcc_lo, 0x79, v42
	v_or_b32_e32 v46, 0x800000, v44
	v_cndmask_b32_e32 v45, 0, v45, vcc_lo
	v_cmp_eq_u32_e32 vcc_lo, 0, v42
	v_add_nc_u32_e32 v42, 0xffffff89, v42
	v_cndmask_b32_e64 v45, v45, 0x77, vcc_lo
	v_cndmask_b32_e32 v44, v46, v44, vcc_lo
	v_cndmask_b32_e64 v42, v42, 0xffffff8a, vcc_lo
	v_lshl_add_u32 v46, 0x100000, v45, -1
	v_lshrrev_b32_e32 v47, v45, v44
	v_lshlrev_b32_e64 v57, v45, 0x80000
	v_add_nc_u32_e32 v45, v45, v42
	v_and_b32_e32 v44, v46, v44
	v_bfe_u32 v56, v47, 20, 1
	v_cmp_eq_u32_e64 s13, v44, v57
	v_add_nc_u32_e32 v46, -1, v56
	v_cndmask_b32_e64 v44, 0, v46, s13
	v_lshrrev_b32_e32 v46, 23, v47
	s_mov_b32 s13, exec_lo
	v_add_nc_u32_e32 v44, v44, v47
	v_xor_b32_e32 v46, 1, v46
	v_and_b32_e32 v42, 0xfffff, v44
	v_add_nc_u32_e32 v44, v42, v47
                                        ; implicit-def: $vgpr42
	v_cmpx_ne_u32_e64 v45, v46
	s_xor_b32 s13, exec_lo, s13
; %bb.6009:                             ;   in Loop: Header=BB4_5740 Depth=2
	v_cmp_lt_u32_e32 vcc_lo, 0xffffff, v44
	v_sub_nc_u32_e32 v42, v45, v46
	v_cndmask_b32_e64 v45, 0, 1, vcc_lo
	v_add_co_ci_u32_e64 v42, null, 0, v42, vcc_lo
	v_lshrrev_b32_e32 v44, v45, v44
; %bb.6010:                             ;   in Loop: Header=BB4_5740 Depth=2
	s_andn2_saveexec_b32 s13, s13
; %bb.6011:                             ;   in Loop: Header=BB4_5740 Depth=2
	v_bfe_u32 v42, v44, 23, 1
; %bb.6012:                             ;   in Loop: Header=BB4_5740 Depth=2
	s_or_b32 exec_lo, exec_lo, s13
	v_lshrrev_b32_e32 v44, 20, v44
	v_min_i32_e32 v45, 15, v42
	v_cmp_gt_i32_e32 vcc_lo, 16, v42
	v_and_b32_sdwa v43, v43, v82 dst_sel:DWORD dst_unused:UNUSED_PAD src0_sel:BYTE_3 src1_sel:DWORD
	v_lshlrev_b32_e32 v45, 3, v45
	v_cndmask_b32_e32 v44, 7, v44, vcc_lo
	v_and_b32_e32 v45, 0xf8, v45
	v_and_b32_e32 v46, 7, v44
	v_or_b32_e32 v42, v42, v44
	v_or3_b32 v43, v45, v43, v46
	v_cmp_ne_u32_e32 vcc_lo, 0, v42
	v_cndmask_b32_e32 v42, 0, v43, vcc_lo
.LBB4_6013:                             ;   in Loop: Header=BB4_5740 Depth=2
	s_or_b32 exec_lo, exec_lo, s40
.LBB4_6014:                             ;   in Loop: Header=BB4_5740 Depth=2
	s_or_b32 exec_lo, exec_lo, s29
	v_cmp_gt_i16_sdwa s29, v10, v81 src0_sel:BYTE_3 src1_sel:DWORD
	s_mov_b32 s13, 0
	s_and_saveexec_b32 s40, s29
	s_xor_b32 s29, exec_lo, s40
	s_cbranch_execz .LBB4_6680
; %bb.6015:                             ;   in Loop: Header=BB4_5740 Depth=2
	v_cmp_eq_u16_sdwa s41, v10, v82 src0_sel:BYTE_3 src1_sel:DWORD
	s_mov_b32 s13, -1
	s_and_saveexec_b32 s40, s41
; %bb.6016:                             ;   in Loop: Header=BB4_5740 Depth=2
	s_xor_b32 s13, exec_lo, -1
; %bb.6017:                             ;   in Loop: Header=BB4_5740 Depth=2
	s_or_b32 exec_lo, exec_lo, s40
	s_and_b32 s13, s13, exec_lo
	s_or_saveexec_b32 s29, s29
	v_mov_b32_e32 v43, 0x7f800001
	s_xor_b32 exec_lo, exec_lo, s29
	s_cbranch_execnz .LBB4_6681
.LBB4_6018:                             ;   in Loop: Header=BB4_5740 Depth=2
	s_or_b32 exec_lo, exec_lo, s29
	s_and_saveexec_b32 s29, s13
	s_cbranch_execz .LBB4_6020
.LBB4_6019:                             ;   in Loop: Header=BB4_5740 Depth=2
	v_bfe_u32 v43, v10, 24, 3
	v_bfe_u32 v46, v10, 27, 4
	v_ffbh_u32_e32 v44, v43
	v_cmp_eq_u32_e32 vcc_lo, 0, v46
	v_min_u32_e32 v44, 32, v44
	v_subrev_nc_u32_e32 v45, 28, v44
	v_sub_nc_u32_e32 v44, 29, v44
	v_lshlrev_b32_sdwa v45, v45, v10 dst_sel:DWORD dst_unused:UNUSED_PAD src0_sel:DWORD src1_sel:BYTE_3
	v_cndmask_b32_e32 v44, v46, v44, vcc_lo
	v_and_b32_e32 v10, 0x80000000, v10
	v_and_b32_e32 v45, 7, v45
	v_lshl_add_u32 v44, v44, 23, 0x3b800000
	v_cndmask_b32_e32 v43, v43, v45, vcc_lo
	v_lshlrev_b32_e32 v43, 20, v43
	v_or3_b32 v43, v10, v44, v43
.LBB4_6020:                             ;   in Loop: Header=BB4_5740 Depth=2
	s_or_b32 exec_lo, exec_lo, s29
	v_mul_f32_e32 v10, s28, v43
	v_and_b32_e32 v43, 0x7f800000, v10
	v_cmp_ne_u32_e32 vcc_lo, 0x7f800000, v43
	v_mov_b32_e32 v43, 0x8000
	s_and_saveexec_b32 s29, vcc_lo
	s_cbranch_execz .LBB4_6028
; %bb.6021:                             ;   in Loop: Header=BB4_5740 Depth=2
	v_mov_b32_e32 v43, 0
	s_mov_b32 s40, exec_lo
	v_cmpx_ne_u32_e32 0, v10
	s_cbranch_execz .LBB4_6027
; %bb.6022:                             ;   in Loop: Header=BB4_5740 Depth=2
	v_bfe_u32 v43, v10, 23, 8
	v_and_b32_e32 v44, 0x7fffff, v10
	v_sub_nc_u32_e32 v45, 0x78, v43
	v_cmp_gt_u32_e32 vcc_lo, 0x79, v43
	v_or_b32_e32 v46, 0x800000, v44
	v_cndmask_b32_e32 v45, 0, v45, vcc_lo
	v_cmp_eq_u32_e32 vcc_lo, 0, v43
	v_add_nc_u32_e32 v43, 0xffffff89, v43
	v_cndmask_b32_e64 v45, v45, 0x77, vcc_lo
	v_cndmask_b32_e32 v44, v46, v44, vcc_lo
	v_cndmask_b32_e64 v43, v43, 0xffffff8a, vcc_lo
	v_lshl_add_u32 v46, 0x100000, v45, -1
	v_lshrrev_b32_e32 v47, v45, v44
	v_lshlrev_b32_e64 v57, v45, 0x80000
	v_add_nc_u32_e32 v45, v45, v43
	v_and_b32_e32 v44, v46, v44
	v_bfe_u32 v56, v47, 20, 1
	v_cmp_eq_u32_e64 s13, v44, v57
	v_add_nc_u32_e32 v46, -1, v56
	v_cndmask_b32_e64 v44, 0, v46, s13
	v_lshrrev_b32_e32 v46, 23, v47
	s_mov_b32 s13, exec_lo
	v_add_nc_u32_e32 v44, v44, v47
	v_xor_b32_e32 v46, 1, v46
	v_and_b32_e32 v43, 0xfffff, v44
	v_add_nc_u32_e32 v44, v43, v47
                                        ; implicit-def: $vgpr43
	v_cmpx_ne_u32_e64 v45, v46
	s_xor_b32 s13, exec_lo, s13
; %bb.6023:                             ;   in Loop: Header=BB4_5740 Depth=2
	v_cmp_lt_u32_e32 vcc_lo, 0xffffff, v44
	v_sub_nc_u32_e32 v43, v45, v46
	v_cndmask_b32_e64 v45, 0, 1, vcc_lo
	v_add_co_ci_u32_e64 v43, null, 0, v43, vcc_lo
	v_lshrrev_b32_e32 v44, v45, v44
; %bb.6024:                             ;   in Loop: Header=BB4_5740 Depth=2
	s_andn2_saveexec_b32 s13, s13
; %bb.6025:                             ;   in Loop: Header=BB4_5740 Depth=2
	v_bfe_u32 v43, v44, 23, 1
; %bb.6026:                             ;   in Loop: Header=BB4_5740 Depth=2
	s_or_b32 exec_lo, exec_lo, s13
	v_lshrrev_b32_e32 v44, 20, v44
	v_min_i32_e32 v45, 15, v43
	v_cmp_gt_i32_e32 vcc_lo, 16, v43
	v_and_b32_sdwa v10, v10, v82 dst_sel:DWORD dst_unused:UNUSED_PAD src0_sel:BYTE_3 src1_sel:DWORD
	v_lshlrev_b32_e32 v45, 3, v45
	v_cndmask_b32_e32 v44, 7, v44, vcc_lo
	v_and_b32_e32 v45, 0xf8, v45
	v_and_b32_e32 v46, 7, v44
	v_or_b32_e32 v43, v43, v44
	v_or3_b32 v10, v10, v45, v46
	v_cmp_ne_u32_e32 vcc_lo, 0, v43
	v_lshlrev_b32_e32 v10, 8, v10
	v_cndmask_b32_e32 v43, 0, v10, vcc_lo
.LBB4_6027:                             ;   in Loop: Header=BB4_5740 Depth=2
	s_or_b32 exec_lo, exec_lo, s40
.LBB4_6028:                             ;   in Loop: Header=BB4_5740 Depth=2
	s_or_b32 exec_lo, exec_lo, s29
	v_cmp_gt_i16_sdwa s29, v11, v81 src0_sel:BYTE_0 src1_sel:DWORD
	s_mov_b32 s13, 0
	s_and_saveexec_b32 s40, s29
	s_xor_b32 s29, exec_lo, s40
	s_cbranch_execz .LBB4_6682
; %bb.6029:                             ;   in Loop: Header=BB4_5740 Depth=2
	v_cmp_eq_u16_sdwa s41, v11, v82 src0_sel:BYTE_0 src1_sel:DWORD
	s_mov_b32 s13, -1
	s_and_saveexec_b32 s40, s41
; %bb.6030:                             ;   in Loop: Header=BB4_5740 Depth=2
	s_xor_b32 s13, exec_lo, -1
; %bb.6031:                             ;   in Loop: Header=BB4_5740 Depth=2
	s_or_b32 exec_lo, exec_lo, s40
	s_and_b32 s13, s13, exec_lo
	s_or_saveexec_b32 s29, s29
	v_mov_b32_e32 v10, 0x7f800001
	s_xor_b32 exec_lo, exec_lo, s29
	s_cbranch_execnz .LBB4_6683
.LBB4_6032:                             ;   in Loop: Header=BB4_5740 Depth=2
	s_or_b32 exec_lo, exec_lo, s29
	s_and_saveexec_b32 s29, s13
	s_cbranch_execz .LBB4_6034
.LBB4_6033:                             ;   in Loop: Header=BB4_5740 Depth=2
	v_and_b32_e32 v10, 7, v11
	v_bfe_u32 v46, v11, 3, 4
	v_lshlrev_b32_e32 v47, 24, v11
	v_ffbh_u32_e32 v44, v10
	v_cmp_eq_u32_e32 vcc_lo, 0, v46
	v_min_u32_e32 v44, 32, v44
	v_subrev_nc_u32_e32 v45, 28, v44
	v_sub_nc_u32_e32 v44, 29, v44
	v_lshlrev_b32_e32 v45, v45, v11
	v_cndmask_b32_e32 v44, v46, v44, vcc_lo
	v_and_b32_e32 v45, 7, v45
	v_lshl_add_u32 v44, v44, 23, 0x3b800000
	v_cndmask_b32_e32 v10, v10, v45, vcc_lo
	v_and_b32_e32 v45, 0x80000000, v47
	v_lshlrev_b32_e32 v10, 20, v10
	v_or3_b32 v10, v45, v44, v10
.LBB4_6034:                             ;   in Loop: Header=BB4_5740 Depth=2
	s_or_b32 exec_lo, exec_lo, s29
	v_mul_f32_e32 v10, s28, v10
	v_and_b32_e32 v44, 0x7f800000, v10
	v_cmp_ne_u32_e32 vcc_lo, 0x7f800000, v44
	v_mov_b32_e32 v44, 0x80
	s_and_saveexec_b32 s29, vcc_lo
	s_cbranch_execz .LBB4_6042
; %bb.6035:                             ;   in Loop: Header=BB4_5740 Depth=2
	v_mov_b32_e32 v44, 0
	s_mov_b32 s40, exec_lo
	v_cmpx_ne_u32_e32 0, v10
	s_cbranch_execz .LBB4_6041
; %bb.6036:                             ;   in Loop: Header=BB4_5740 Depth=2
	v_bfe_u32 v44, v10, 23, 8
	v_and_b32_e32 v45, 0x7fffff, v10
	v_sub_nc_u32_e32 v46, 0x78, v44
	v_cmp_gt_u32_e32 vcc_lo, 0x79, v44
	v_or_b32_e32 v47, 0x800000, v45
	v_cndmask_b32_e32 v46, 0, v46, vcc_lo
	v_cmp_eq_u32_e32 vcc_lo, 0, v44
	v_add_nc_u32_e32 v44, 0xffffff89, v44
	v_cndmask_b32_e64 v46, v46, 0x77, vcc_lo
	v_cndmask_b32_e32 v45, v47, v45, vcc_lo
	v_cndmask_b32_e64 v44, v44, 0xffffff8a, vcc_lo
	v_lshl_add_u32 v47, 0x100000, v46, -1
	v_lshrrev_b32_e32 v56, v46, v45
	v_lshlrev_b32_e64 v58, v46, 0x80000
	v_add_nc_u32_e32 v46, v46, v44
	v_and_b32_e32 v45, v47, v45
	v_bfe_u32 v57, v56, 20, 1
	v_cmp_eq_u32_e64 s13, v45, v58
	v_add_nc_u32_e32 v47, -1, v57
	v_cndmask_b32_e64 v45, 0, v47, s13
	v_lshrrev_b32_e32 v47, 23, v56
	s_mov_b32 s13, exec_lo
	v_add_nc_u32_e32 v45, v45, v56
	v_xor_b32_e32 v47, 1, v47
	v_and_b32_e32 v44, 0xfffff, v45
	v_add_nc_u32_e32 v45, v44, v56
                                        ; implicit-def: $vgpr44
	v_cmpx_ne_u32_e64 v46, v47
	s_xor_b32 s13, exec_lo, s13
; %bb.6037:                             ;   in Loop: Header=BB4_5740 Depth=2
	v_cmp_lt_u32_e32 vcc_lo, 0xffffff, v45
	v_sub_nc_u32_e32 v44, v46, v47
	v_cndmask_b32_e64 v46, 0, 1, vcc_lo
	v_add_co_ci_u32_e64 v44, null, 0, v44, vcc_lo
	v_lshrrev_b32_e32 v45, v46, v45
; %bb.6038:                             ;   in Loop: Header=BB4_5740 Depth=2
	s_andn2_saveexec_b32 s13, s13
; %bb.6039:                             ;   in Loop: Header=BB4_5740 Depth=2
	v_bfe_u32 v44, v45, 23, 1
; %bb.6040:                             ;   in Loop: Header=BB4_5740 Depth=2
	s_or_b32 exec_lo, exec_lo, s13
	v_lshrrev_b32_e32 v45, 20, v45
	v_min_i32_e32 v46, 15, v44
	v_cmp_gt_i32_e32 vcc_lo, 16, v44
	v_and_b32_sdwa v10, v10, v82 dst_sel:DWORD dst_unused:UNUSED_PAD src0_sel:BYTE_3 src1_sel:DWORD
	v_lshlrev_b32_e32 v46, 3, v46
	v_cndmask_b32_e32 v45, 7, v45, vcc_lo
	v_and_b32_e32 v46, 0xf8, v46
	v_and_b32_e32 v47, 7, v45
	v_or_b32_e32 v44, v44, v45
	v_or3_b32 v10, v46, v10, v47
	v_cmp_ne_u32_e32 vcc_lo, 0, v44
	v_cndmask_b32_e32 v44, 0, v10, vcc_lo
.LBB4_6041:                             ;   in Loop: Header=BB4_5740 Depth=2
	s_or_b32 exec_lo, exec_lo, s40
.LBB4_6042:                             ;   in Loop: Header=BB4_5740 Depth=2
	s_or_b32 exec_lo, exec_lo, s29
	v_cmp_gt_i16_sdwa s29, v11, v81 src0_sel:BYTE_1 src1_sel:DWORD
	s_mov_b32 s13, 0
	s_and_saveexec_b32 s40, s29
	s_xor_b32 s29, exec_lo, s40
	s_cbranch_execz .LBB4_6684
; %bb.6043:                             ;   in Loop: Header=BB4_5740 Depth=2
	v_cmp_eq_u16_sdwa s41, v11, v82 src0_sel:BYTE_1 src1_sel:DWORD
	s_mov_b32 s13, -1
	s_and_saveexec_b32 s40, s41
; %bb.6044:                             ;   in Loop: Header=BB4_5740 Depth=2
	s_xor_b32 s13, exec_lo, -1
; %bb.6045:                             ;   in Loop: Header=BB4_5740 Depth=2
	s_or_b32 exec_lo, exec_lo, s40
	s_and_b32 s13, s13, exec_lo
	s_or_saveexec_b32 s29, s29
	v_mov_b32_e32 v10, 0x7f800001
	s_xor_b32 exec_lo, exec_lo, s29
	s_cbranch_execnz .LBB4_6685
.LBB4_6046:                             ;   in Loop: Header=BB4_5740 Depth=2
	s_or_b32 exec_lo, exec_lo, s29
	s_and_saveexec_b32 s29, s13
	s_cbranch_execz .LBB4_6048
.LBB4_6047:                             ;   in Loop: Header=BB4_5740 Depth=2
	v_and_b32_sdwa v10, v83, v11 dst_sel:DWORD dst_unused:UNUSED_PAD src0_sel:DWORD src1_sel:BYTE_1
	v_and_b32_e32 v45, 7, v10
	v_bfe_u32 v56, v10, 3, 4
	v_ffbh_u32_e32 v46, v45
	v_cmp_eq_u32_e32 vcc_lo, 0, v56
	v_min_u32_e32 v46, 32, v46
	v_subrev_nc_u32_e32 v47, 28, v46
	v_sub_nc_u32_e32 v46, 29, v46
	v_lshlrev_b32_e32 v10, v47, v10
	v_lshlrev_b32_sdwa v47, v84, v11 dst_sel:DWORD dst_unused:UNUSED_PAD src0_sel:DWORD src1_sel:BYTE_1
	v_cndmask_b32_e32 v46, v56, v46, vcc_lo
	v_and_b32_e32 v10, 7, v10
	v_lshl_add_u32 v46, v46, 23, 0x3b800000
	v_cndmask_b32_e32 v10, v45, v10, vcc_lo
	v_and_b32_e32 v45, 0x80000000, v47
	v_lshlrev_b32_e32 v10, 20, v10
	v_or3_b32 v10, v45, v46, v10
.LBB4_6048:                             ;   in Loop: Header=BB4_5740 Depth=2
	s_or_b32 exec_lo, exec_lo, s29
	v_mul_f32_e32 v10, s28, v10
	v_and_b32_e32 v45, 0x7f800000, v10
	v_cmp_ne_u32_e32 vcc_lo, 0x7f800000, v45
	v_mov_b32_e32 v45, 0x8000
	s_and_saveexec_b32 s29, vcc_lo
	s_cbranch_execz .LBB4_6056
; %bb.6049:                             ;   in Loop: Header=BB4_5740 Depth=2
	v_mov_b32_e32 v45, 0
	s_mov_b32 s40, exec_lo
	v_cmpx_ne_u32_e32 0, v10
	s_cbranch_execz .LBB4_6055
; %bb.6050:                             ;   in Loop: Header=BB4_5740 Depth=2
	v_bfe_u32 v45, v10, 23, 8
	v_and_b32_e32 v46, 0x7fffff, v10
	v_sub_nc_u32_e32 v47, 0x78, v45
	v_cmp_gt_u32_e32 vcc_lo, 0x79, v45
	v_or_b32_e32 v56, 0x800000, v46
	v_cndmask_b32_e32 v47, 0, v47, vcc_lo
	v_cmp_eq_u32_e32 vcc_lo, 0, v45
	v_add_nc_u32_e32 v45, 0xffffff89, v45
	v_cndmask_b32_e64 v47, v47, 0x77, vcc_lo
	v_cndmask_b32_e32 v46, v56, v46, vcc_lo
	v_cndmask_b32_e64 v45, v45, 0xffffff8a, vcc_lo
	v_lshl_add_u32 v56, 0x100000, v47, -1
	v_lshrrev_b32_e32 v57, v47, v46
	v_lshlrev_b32_e64 v59, v47, 0x80000
	v_add_nc_u32_e32 v47, v47, v45
	v_and_b32_e32 v46, v56, v46
	v_bfe_u32 v58, v57, 20, 1
	v_cmp_eq_u32_e64 s13, v46, v59
	v_add_nc_u32_e32 v56, -1, v58
	v_cndmask_b32_e64 v46, 0, v56, s13
	v_lshrrev_b32_e32 v56, 23, v57
	s_mov_b32 s13, exec_lo
	v_add_nc_u32_e32 v46, v46, v57
	v_xor_b32_e32 v56, 1, v56
	v_and_b32_e32 v45, 0xfffff, v46
	v_add_nc_u32_e32 v46, v45, v57
                                        ; implicit-def: $vgpr45
	v_cmpx_ne_u32_e64 v47, v56
	s_xor_b32 s13, exec_lo, s13
; %bb.6051:                             ;   in Loop: Header=BB4_5740 Depth=2
	v_cmp_lt_u32_e32 vcc_lo, 0xffffff, v46
	v_sub_nc_u32_e32 v45, v47, v56
	v_cndmask_b32_e64 v47, 0, 1, vcc_lo
	v_add_co_ci_u32_e64 v45, null, 0, v45, vcc_lo
	v_lshrrev_b32_e32 v46, v47, v46
; %bb.6052:                             ;   in Loop: Header=BB4_5740 Depth=2
	s_andn2_saveexec_b32 s13, s13
; %bb.6053:                             ;   in Loop: Header=BB4_5740 Depth=2
	v_bfe_u32 v45, v46, 23, 1
; %bb.6054:                             ;   in Loop: Header=BB4_5740 Depth=2
	s_or_b32 exec_lo, exec_lo, s13
	v_lshrrev_b32_e32 v46, 20, v46
	v_min_i32_e32 v47, 15, v45
	v_cmp_gt_i32_e32 vcc_lo, 16, v45
	v_and_b32_sdwa v10, v10, v82 dst_sel:DWORD dst_unused:UNUSED_PAD src0_sel:BYTE_3 src1_sel:DWORD
	v_lshlrev_b32_e32 v47, 3, v47
	v_cndmask_b32_e32 v46, 7, v46, vcc_lo
	v_and_b32_e32 v47, 0xf8, v47
	v_and_b32_e32 v56, 7, v46
	v_or_b32_e32 v45, v45, v46
	v_or3_b32 v10, v10, v47, v56
	v_cmp_ne_u32_e32 vcc_lo, 0, v45
	v_lshlrev_b32_e32 v10, 8, v10
	v_cndmask_b32_e32 v45, 0, v10, vcc_lo
.LBB4_6055:                             ;   in Loop: Header=BB4_5740 Depth=2
	s_or_b32 exec_lo, exec_lo, s40
.LBB4_6056:                             ;   in Loop: Header=BB4_5740 Depth=2
	s_or_b32 exec_lo, exec_lo, s29
	v_and_b32_sdwa v46, v11, v85 dst_sel:DWORD dst_unused:UNUSED_PAD src0_sel:WORD_1 src1_sel:DWORD
	s_mov_b32 s13, 0
	s_mov_b32 s29, exec_lo
	v_cmpx_lt_i16_e32 0x7f, v46
	s_xor_b32 s29, exec_lo, s29
	s_cbranch_execz .LBB4_6686
; %bb.6057:                             ;   in Loop: Header=BB4_5740 Depth=2
	s_mov_b32 s13, -1
	s_mov_b32 s40, exec_lo
	v_cmpx_eq_u16_e32 0x80, v46
; %bb.6058:                             ;   in Loop: Header=BB4_5740 Depth=2
	s_xor_b32 s13, exec_lo, -1
; %bb.6059:                             ;   in Loop: Header=BB4_5740 Depth=2
	s_or_b32 exec_lo, exec_lo, s40
	s_and_b32 s13, s13, exec_lo
                                        ; implicit-def: $vgpr46
	s_or_saveexec_b32 s29, s29
	v_mov_b32_e32 v10, 0x7f800001
	s_xor_b32 exec_lo, exec_lo, s29
	s_cbranch_execnz .LBB4_6687
.LBB4_6060:                             ;   in Loop: Header=BB4_5740 Depth=2
	s_or_b32 exec_lo, exec_lo, s29
	s_and_saveexec_b32 s29, s13
	s_cbranch_execz .LBB4_6062
.LBB4_6061:                             ;   in Loop: Header=BB4_5740 Depth=2
	v_bfe_u32 v10, v11, 16, 3
	v_bfe_u32 v56, v11, 19, 4
	v_lshlrev_b32_e32 v57, 8, v11
	v_ffbh_u32_e32 v46, v10
	v_cmp_eq_u32_e32 vcc_lo, 0, v56
	v_min_u32_e32 v46, 32, v46
	v_subrev_nc_u32_e32 v47, 28, v46
	v_sub_nc_u32_e32 v46, 29, v46
	v_lshlrev_b32_sdwa v47, v47, v11 dst_sel:DWORD dst_unused:UNUSED_PAD src0_sel:DWORD src1_sel:WORD_1
	v_cndmask_b32_e32 v46, v56, v46, vcc_lo
	v_and_b32_e32 v47, 7, v47
	v_lshl_add_u32 v46, v46, 23, 0x3b800000
	v_cndmask_b32_e32 v10, v10, v47, vcc_lo
	v_and_b32_e32 v47, 0x80000000, v57
	v_lshlrev_b32_e32 v10, 20, v10
	v_or3_b32 v10, v47, v46, v10
.LBB4_6062:                             ;   in Loop: Header=BB4_5740 Depth=2
	s_or_b32 exec_lo, exec_lo, s29
	v_mul_f32_e32 v10, s28, v10
	v_and_b32_e32 v46, 0x7f800000, v10
	v_cmp_ne_u32_e32 vcc_lo, 0x7f800000, v46
	v_mov_b32_e32 v46, 0x80
	s_and_saveexec_b32 s29, vcc_lo
	s_cbranch_execz .LBB4_6070
; %bb.6063:                             ;   in Loop: Header=BB4_5740 Depth=2
	v_mov_b32_e32 v46, 0
	s_mov_b32 s40, exec_lo
	v_cmpx_ne_u32_e32 0, v10
	s_cbranch_execz .LBB4_6069
; %bb.6064:                             ;   in Loop: Header=BB4_5740 Depth=2
	v_bfe_u32 v46, v10, 23, 8
	v_and_b32_e32 v47, 0x7fffff, v10
	v_sub_nc_u32_e32 v56, 0x78, v46
	v_cmp_gt_u32_e32 vcc_lo, 0x79, v46
	v_or_b32_e32 v57, 0x800000, v47
	v_cndmask_b32_e32 v56, 0, v56, vcc_lo
	v_cmp_eq_u32_e32 vcc_lo, 0, v46
	v_add_nc_u32_e32 v46, 0xffffff89, v46
	v_cndmask_b32_e64 v56, v56, 0x77, vcc_lo
	v_cndmask_b32_e32 v47, v57, v47, vcc_lo
	v_cndmask_b32_e64 v46, v46, 0xffffff8a, vcc_lo
	v_lshl_add_u32 v57, 0x100000, v56, -1
	v_lshrrev_b32_e32 v58, v56, v47
	v_lshlrev_b32_e64 v60, v56, 0x80000
	v_add_nc_u32_e32 v56, v56, v46
	v_and_b32_e32 v47, v57, v47
	v_bfe_u32 v59, v58, 20, 1
	v_cmp_eq_u32_e64 s13, v47, v60
	v_add_nc_u32_e32 v57, -1, v59
	v_cndmask_b32_e64 v47, 0, v57, s13
	v_lshrrev_b32_e32 v57, 23, v58
	s_mov_b32 s13, exec_lo
	v_add_nc_u32_e32 v47, v47, v58
	v_xor_b32_e32 v57, 1, v57
	v_and_b32_e32 v46, 0xfffff, v47
	v_add_nc_u32_e32 v47, v46, v58
                                        ; implicit-def: $vgpr46
	v_cmpx_ne_u32_e64 v56, v57
	s_xor_b32 s13, exec_lo, s13
; %bb.6065:                             ;   in Loop: Header=BB4_5740 Depth=2
	v_cmp_lt_u32_e32 vcc_lo, 0xffffff, v47
	v_sub_nc_u32_e32 v46, v56, v57
	v_cndmask_b32_e64 v56, 0, 1, vcc_lo
	v_add_co_ci_u32_e64 v46, null, 0, v46, vcc_lo
	v_lshrrev_b32_e32 v47, v56, v47
; %bb.6066:                             ;   in Loop: Header=BB4_5740 Depth=2
	s_andn2_saveexec_b32 s13, s13
; %bb.6067:                             ;   in Loop: Header=BB4_5740 Depth=2
	v_bfe_u32 v46, v47, 23, 1
; %bb.6068:                             ;   in Loop: Header=BB4_5740 Depth=2
	s_or_b32 exec_lo, exec_lo, s13
	v_lshrrev_b32_e32 v47, 20, v47
	v_min_i32_e32 v56, 15, v46
	v_cmp_gt_i32_e32 vcc_lo, 16, v46
	v_and_b32_sdwa v10, v10, v82 dst_sel:DWORD dst_unused:UNUSED_PAD src0_sel:BYTE_3 src1_sel:DWORD
	v_lshlrev_b32_e32 v56, 3, v56
	v_cndmask_b32_e32 v47, 7, v47, vcc_lo
	v_and_b32_e32 v56, 0xf8, v56
	v_and_b32_e32 v57, 7, v47
	v_or_b32_e32 v46, v46, v47
	v_or3_b32 v10, v56, v10, v57
	v_cmp_ne_u32_e32 vcc_lo, 0, v46
	v_cndmask_b32_e32 v46, 0, v10, vcc_lo
.LBB4_6069:                             ;   in Loop: Header=BB4_5740 Depth=2
	s_or_b32 exec_lo, exec_lo, s40
.LBB4_6070:                             ;   in Loop: Header=BB4_5740 Depth=2
	s_or_b32 exec_lo, exec_lo, s29
	v_cmp_gt_i16_sdwa s29, v11, v81 src0_sel:BYTE_3 src1_sel:DWORD
	s_mov_b32 s13, 0
	s_and_saveexec_b32 s40, s29
	s_xor_b32 s29, exec_lo, s40
	s_cbranch_execz .LBB4_6688
; %bb.6071:                             ;   in Loop: Header=BB4_5740 Depth=2
	v_cmp_eq_u16_sdwa s41, v11, v82 src0_sel:BYTE_3 src1_sel:DWORD
	s_mov_b32 s13, -1
	s_and_saveexec_b32 s40, s41
; %bb.6072:                             ;   in Loop: Header=BB4_5740 Depth=2
	s_xor_b32 s13, exec_lo, -1
; %bb.6073:                             ;   in Loop: Header=BB4_5740 Depth=2
	s_or_b32 exec_lo, exec_lo, s40
	s_and_b32 s13, s13, exec_lo
	s_or_saveexec_b32 s29, s29
	v_mov_b32_e32 v10, 0x7f800001
	s_xor_b32 exec_lo, exec_lo, s29
	s_cbranch_execnz .LBB4_6689
.LBB4_6074:                             ;   in Loop: Header=BB4_5740 Depth=2
	s_or_b32 exec_lo, exec_lo, s29
	s_and_saveexec_b32 s29, s13
	s_cbranch_execz .LBB4_6076
.LBB4_6075:                             ;   in Loop: Header=BB4_5740 Depth=2
	v_bfe_u32 v10, v11, 24, 3
	v_bfe_u32 v57, v11, 27, 4
	v_ffbh_u32_e32 v47, v10
	v_cmp_eq_u32_e32 vcc_lo, 0, v57
	v_min_u32_e32 v47, 32, v47
	v_subrev_nc_u32_e32 v56, 28, v47
	v_sub_nc_u32_e32 v47, 29, v47
	v_lshlrev_b32_sdwa v56, v56, v11 dst_sel:DWORD dst_unused:UNUSED_PAD src0_sel:DWORD src1_sel:BYTE_3
	v_cndmask_b32_e32 v47, v57, v47, vcc_lo
	v_and_b32_e32 v11, 0x80000000, v11
	v_and_b32_e32 v56, 7, v56
	v_lshl_add_u32 v47, v47, 23, 0x3b800000
	v_cndmask_b32_e32 v10, v10, v56, vcc_lo
	v_lshlrev_b32_e32 v10, 20, v10
	v_or3_b32 v10, v11, v47, v10
.LBB4_6076:                             ;   in Loop: Header=BB4_5740 Depth=2
	s_or_b32 exec_lo, exec_lo, s29
	v_mul_f32_e32 v10, s28, v10
	v_mov_b32_e32 v47, 0x8000
	s_mov_b32 s29, exec_lo
	v_and_b32_e32 v11, 0x7f800000, v10
	v_cmpx_ne_u32_e32 0x7f800000, v11
	s_cbranch_execz .LBB4_6084
; %bb.6077:                             ;   in Loop: Header=BB4_5740 Depth=2
	v_mov_b32_e32 v47, 0
	s_mov_b32 s40, exec_lo
	v_cmpx_ne_u32_e32 0, v10
	s_cbranch_execz .LBB4_6083
; %bb.6078:                             ;   in Loop: Header=BB4_5740 Depth=2
	v_bfe_u32 v11, v10, 23, 8
	v_and_b32_e32 v47, 0x7fffff, v10
	v_sub_nc_u32_e32 v56, 0x78, v11
	v_cmp_gt_u32_e32 vcc_lo, 0x79, v11
	v_or_b32_e32 v57, 0x800000, v47
	v_cndmask_b32_e32 v56, 0, v56, vcc_lo
	v_cmp_eq_u32_e32 vcc_lo, 0, v11
	v_add_nc_u32_e32 v11, 0xffffff89, v11
	v_cndmask_b32_e64 v56, v56, 0x77, vcc_lo
	v_cndmask_b32_e32 v47, v57, v47, vcc_lo
	v_cndmask_b32_e64 v11, v11, 0xffffff8a, vcc_lo
	v_lshl_add_u32 v57, 0x100000, v56, -1
	v_lshrrev_b32_e32 v58, v56, v47
	v_lshlrev_b32_e64 v60, v56, 0x80000
	v_add_nc_u32_e32 v56, v56, v11
	v_and_b32_e32 v47, v57, v47
	v_bfe_u32 v59, v58, 20, 1
	v_cmp_eq_u32_e64 s13, v47, v60
	v_add_nc_u32_e32 v57, -1, v59
	v_cndmask_b32_e64 v47, 0, v57, s13
	v_lshrrev_b32_e32 v57, 23, v58
	s_mov_b32 s13, exec_lo
	v_add_nc_u32_e32 v47, v47, v58
	v_xor_b32_e32 v57, 1, v57
	v_and_b32_e32 v11, 0xfffff, v47
	v_add_nc_u32_e32 v47, v11, v58
                                        ; implicit-def: $vgpr11
	v_cmpx_ne_u32_e64 v56, v57
	s_xor_b32 s13, exec_lo, s13
; %bb.6079:                             ;   in Loop: Header=BB4_5740 Depth=2
	v_cmp_lt_u32_e32 vcc_lo, 0xffffff, v47
	v_sub_nc_u32_e32 v11, v56, v57
	v_cndmask_b32_e64 v56, 0, 1, vcc_lo
	v_add_co_ci_u32_e64 v11, null, 0, v11, vcc_lo
	v_lshrrev_b32_e32 v47, v56, v47
; %bb.6080:                             ;   in Loop: Header=BB4_5740 Depth=2
	s_andn2_saveexec_b32 s13, s13
; %bb.6081:                             ;   in Loop: Header=BB4_5740 Depth=2
	v_bfe_u32 v11, v47, 23, 1
; %bb.6082:                             ;   in Loop: Header=BB4_5740 Depth=2
	s_or_b32 exec_lo, exec_lo, s13
	v_lshrrev_b32_e32 v47, 20, v47
	v_min_i32_e32 v56, 15, v11
	v_cmp_gt_i32_e32 vcc_lo, 16, v11
	v_and_b32_sdwa v10, v10, v82 dst_sel:DWORD dst_unused:UNUSED_PAD src0_sel:BYTE_3 src1_sel:DWORD
	v_lshlrev_b32_e32 v56, 3, v56
	v_cndmask_b32_e32 v47, 7, v47, vcc_lo
	v_and_b32_e32 v56, 0xf8, v56
	v_and_b32_e32 v57, 7, v47
	v_or_b32_e32 v11, v11, v47
	v_or3_b32 v10, v10, v56, v57
	v_cmp_ne_u32_e32 vcc_lo, 0, v11
	v_lshlrev_b32_e32 v10, 8, v10
	v_cndmask_b32_e32 v47, 0, v10, vcc_lo
.LBB4_6083:                             ;   in Loop: Header=BB4_5740 Depth=2
	s_or_b32 exec_lo, exec_lo, s40
.LBB4_6084:                             ;   in Loop: Header=BB4_5740 Depth=2
	s_or_b32 exec_lo, exec_lo, s29
	v_cmp_gt_i16_sdwa s29, v12, v81 src0_sel:BYTE_0 src1_sel:DWORD
	s_mov_b32 s13, 0
	s_and_saveexec_b32 s40, s29
	s_xor_b32 s29, exec_lo, s40
	s_cbranch_execz .LBB4_6690
; %bb.6085:                             ;   in Loop: Header=BB4_5740 Depth=2
	v_cmp_eq_u16_sdwa s41, v12, v82 src0_sel:BYTE_0 src1_sel:DWORD
	s_mov_b32 s13, -1
	s_and_saveexec_b32 s40, s41
; %bb.6086:                             ;   in Loop: Header=BB4_5740 Depth=2
	s_xor_b32 s13, exec_lo, -1
; %bb.6087:                             ;   in Loop: Header=BB4_5740 Depth=2
	s_or_b32 exec_lo, exec_lo, s40
	s_and_b32 s13, s13, exec_lo
	s_or_saveexec_b32 s29, s29
	v_mov_b32_e32 v10, 0x7f800001
	s_xor_b32 exec_lo, exec_lo, s29
	s_cbranch_execnz .LBB4_6691
.LBB4_6088:                             ;   in Loop: Header=BB4_5740 Depth=2
	s_or_b32 exec_lo, exec_lo, s29
	s_and_saveexec_b32 s29, s13
	s_cbranch_execz .LBB4_6090
.LBB4_6089:                             ;   in Loop: Header=BB4_5740 Depth=2
	v_and_b32_e32 v10, 7, v12
	v_bfe_u32 v57, v12, 3, 4
	v_lshlrev_b32_e32 v58, 24, v12
	v_ffbh_u32_e32 v11, v10
	v_cmp_eq_u32_e32 vcc_lo, 0, v57
	v_min_u32_e32 v11, 32, v11
	v_subrev_nc_u32_e32 v56, 28, v11
	v_sub_nc_u32_e32 v11, 29, v11
	v_lshlrev_b32_e32 v56, v56, v12
	v_cndmask_b32_e32 v11, v57, v11, vcc_lo
	v_and_b32_e32 v56, 7, v56
	v_lshl_add_u32 v11, v11, 23, 0x3b800000
	v_cndmask_b32_e32 v10, v10, v56, vcc_lo
	v_and_b32_e32 v56, 0x80000000, v58
	v_lshlrev_b32_e32 v10, 20, v10
	v_or3_b32 v10, v56, v11, v10
.LBB4_6090:                             ;   in Loop: Header=BB4_5740 Depth=2
	s_or_b32 exec_lo, exec_lo, s29
	v_mul_f32_e32 v10, s28, v10
	v_mov_b32_e32 v56, 0x80
	s_mov_b32 s29, exec_lo
	v_and_b32_e32 v11, 0x7f800000, v10
	v_cmpx_ne_u32_e32 0x7f800000, v11
	s_cbranch_execz .LBB4_6098
; %bb.6091:                             ;   in Loop: Header=BB4_5740 Depth=2
	v_mov_b32_e32 v56, 0
	s_mov_b32 s40, exec_lo
	v_cmpx_ne_u32_e32 0, v10
	s_cbranch_execz .LBB4_6097
; %bb.6092:                             ;   in Loop: Header=BB4_5740 Depth=2
	v_bfe_u32 v11, v10, 23, 8
	v_and_b32_e32 v56, 0x7fffff, v10
	v_sub_nc_u32_e32 v57, 0x78, v11
	v_cmp_gt_u32_e32 vcc_lo, 0x79, v11
	v_or_b32_e32 v58, 0x800000, v56
	v_cndmask_b32_e32 v57, 0, v57, vcc_lo
	v_cmp_eq_u32_e32 vcc_lo, 0, v11
	v_add_nc_u32_e32 v11, 0xffffff89, v11
	v_cndmask_b32_e64 v57, v57, 0x77, vcc_lo
	v_cndmask_b32_e32 v56, v58, v56, vcc_lo
	v_cndmask_b32_e64 v11, v11, 0xffffff8a, vcc_lo
	v_lshl_add_u32 v58, 0x100000, v57, -1
	v_lshrrev_b32_e32 v59, v57, v56
	v_lshlrev_b32_e64 v61, v57, 0x80000
	v_add_nc_u32_e32 v57, v57, v11
	v_and_b32_e32 v56, v58, v56
	v_bfe_u32 v60, v59, 20, 1
	v_cmp_eq_u32_e64 s13, v56, v61
	v_add_nc_u32_e32 v58, -1, v60
	v_cndmask_b32_e64 v56, 0, v58, s13
	v_lshrrev_b32_e32 v58, 23, v59
	s_mov_b32 s13, exec_lo
	v_add_nc_u32_e32 v56, v56, v59
	v_xor_b32_e32 v58, 1, v58
	v_and_b32_e32 v11, 0xfffff, v56
	v_add_nc_u32_e32 v56, v11, v59
                                        ; implicit-def: $vgpr11
	v_cmpx_ne_u32_e64 v57, v58
	s_xor_b32 s13, exec_lo, s13
; %bb.6093:                             ;   in Loop: Header=BB4_5740 Depth=2
	v_cmp_lt_u32_e32 vcc_lo, 0xffffff, v56
	v_sub_nc_u32_e32 v11, v57, v58
	v_cndmask_b32_e64 v57, 0, 1, vcc_lo
	v_add_co_ci_u32_e64 v11, null, 0, v11, vcc_lo
	v_lshrrev_b32_e32 v56, v57, v56
; %bb.6094:                             ;   in Loop: Header=BB4_5740 Depth=2
	s_andn2_saveexec_b32 s13, s13
; %bb.6095:                             ;   in Loop: Header=BB4_5740 Depth=2
	v_bfe_u32 v11, v56, 23, 1
; %bb.6096:                             ;   in Loop: Header=BB4_5740 Depth=2
	s_or_b32 exec_lo, exec_lo, s13
	v_lshrrev_b32_e32 v56, 20, v56
	v_min_i32_e32 v57, 15, v11
	v_cmp_gt_i32_e32 vcc_lo, 16, v11
	v_and_b32_sdwa v10, v10, v82 dst_sel:DWORD dst_unused:UNUSED_PAD src0_sel:BYTE_3 src1_sel:DWORD
	v_lshlrev_b32_e32 v57, 3, v57
	v_cndmask_b32_e32 v56, 7, v56, vcc_lo
	v_and_b32_e32 v57, 0xf8, v57
	v_and_b32_e32 v58, 7, v56
	v_or_b32_e32 v11, v11, v56
	v_or3_b32 v10, v57, v10, v58
	v_cmp_ne_u32_e32 vcc_lo, 0, v11
	v_cndmask_b32_e32 v56, 0, v10, vcc_lo
.LBB4_6097:                             ;   in Loop: Header=BB4_5740 Depth=2
	s_or_b32 exec_lo, exec_lo, s40
.LBB4_6098:                             ;   in Loop: Header=BB4_5740 Depth=2
	s_or_b32 exec_lo, exec_lo, s29
	v_cmp_gt_i16_sdwa s29, v12, v81 src0_sel:BYTE_1 src1_sel:DWORD
	s_mov_b32 s13, 0
	s_and_saveexec_b32 s40, s29
	s_xor_b32 s29, exec_lo, s40
	s_cbranch_execz .LBB4_6692
; %bb.6099:                             ;   in Loop: Header=BB4_5740 Depth=2
	v_cmp_eq_u16_sdwa s41, v12, v82 src0_sel:BYTE_1 src1_sel:DWORD
	s_mov_b32 s13, -1
	s_and_saveexec_b32 s40, s41
; %bb.6100:                             ;   in Loop: Header=BB4_5740 Depth=2
	s_xor_b32 s13, exec_lo, -1
; %bb.6101:                             ;   in Loop: Header=BB4_5740 Depth=2
	s_or_b32 exec_lo, exec_lo, s40
	s_and_b32 s13, s13, exec_lo
	s_or_saveexec_b32 s29, s29
	v_mov_b32_e32 v10, 0x7f800001
	s_xor_b32 exec_lo, exec_lo, s29
	s_cbranch_execnz .LBB4_6693
.LBB4_6102:                             ;   in Loop: Header=BB4_5740 Depth=2
	s_or_b32 exec_lo, exec_lo, s29
	s_and_saveexec_b32 s29, s13
	s_cbranch_execz .LBB4_6104
.LBB4_6103:                             ;   in Loop: Header=BB4_5740 Depth=2
	v_and_b32_sdwa v10, v83, v12 dst_sel:DWORD dst_unused:UNUSED_PAD src0_sel:DWORD src1_sel:BYTE_1
	v_and_b32_e32 v11, 7, v10
	v_bfe_u32 v59, v10, 3, 4
	v_ffbh_u32_e32 v57, v11
	v_cmp_eq_u32_e32 vcc_lo, 0, v59
	v_min_u32_e32 v57, 32, v57
	v_subrev_nc_u32_e32 v58, 28, v57
	v_sub_nc_u32_e32 v57, 29, v57
	v_lshlrev_b32_e32 v10, v58, v10
	v_lshlrev_b32_sdwa v58, v84, v12 dst_sel:DWORD dst_unused:UNUSED_PAD src0_sel:DWORD src1_sel:BYTE_1
	v_cndmask_b32_e32 v57, v59, v57, vcc_lo
	v_and_b32_e32 v10, 7, v10
	v_lshl_add_u32 v57, v57, 23, 0x3b800000
	v_cndmask_b32_e32 v10, v11, v10, vcc_lo
	v_and_b32_e32 v11, 0x80000000, v58
	v_lshlrev_b32_e32 v10, 20, v10
	v_or3_b32 v10, v11, v57, v10
.LBB4_6104:                             ;   in Loop: Header=BB4_5740 Depth=2
	s_or_b32 exec_lo, exec_lo, s29
	v_mul_f32_e32 v10, s28, v10
	v_mov_b32_e32 v57, 0x8000
	s_mov_b32 s29, exec_lo
	v_and_b32_e32 v11, 0x7f800000, v10
	v_cmpx_ne_u32_e32 0x7f800000, v11
	s_cbranch_execz .LBB4_6112
; %bb.6105:                             ;   in Loop: Header=BB4_5740 Depth=2
	v_mov_b32_e32 v57, 0
	s_mov_b32 s40, exec_lo
	v_cmpx_ne_u32_e32 0, v10
	s_cbranch_execz .LBB4_6111
; %bb.6106:                             ;   in Loop: Header=BB4_5740 Depth=2
	v_bfe_u32 v11, v10, 23, 8
	v_and_b32_e32 v57, 0x7fffff, v10
	v_sub_nc_u32_e32 v58, 0x78, v11
	v_cmp_gt_u32_e32 vcc_lo, 0x79, v11
	v_or_b32_e32 v59, 0x800000, v57
	v_cndmask_b32_e32 v58, 0, v58, vcc_lo
	v_cmp_eq_u32_e32 vcc_lo, 0, v11
	v_add_nc_u32_e32 v11, 0xffffff89, v11
	v_cndmask_b32_e64 v58, v58, 0x77, vcc_lo
	v_cndmask_b32_e32 v57, v59, v57, vcc_lo
	v_cndmask_b32_e64 v11, v11, 0xffffff8a, vcc_lo
	v_lshl_add_u32 v59, 0x100000, v58, -1
	v_lshrrev_b32_e32 v60, v58, v57
	v_lshlrev_b32_e64 v62, v58, 0x80000
	v_add_nc_u32_e32 v58, v58, v11
	v_and_b32_e32 v57, v59, v57
	v_bfe_u32 v61, v60, 20, 1
	v_cmp_eq_u32_e64 s13, v57, v62
	v_add_nc_u32_e32 v59, -1, v61
	v_cndmask_b32_e64 v57, 0, v59, s13
	v_lshrrev_b32_e32 v59, 23, v60
	s_mov_b32 s13, exec_lo
	v_add_nc_u32_e32 v57, v57, v60
	v_xor_b32_e32 v59, 1, v59
	v_and_b32_e32 v11, 0xfffff, v57
	v_add_nc_u32_e32 v57, v11, v60
                                        ; implicit-def: $vgpr11
	v_cmpx_ne_u32_e64 v58, v59
	s_xor_b32 s13, exec_lo, s13
; %bb.6107:                             ;   in Loop: Header=BB4_5740 Depth=2
	v_cmp_lt_u32_e32 vcc_lo, 0xffffff, v57
	v_sub_nc_u32_e32 v11, v58, v59
	v_cndmask_b32_e64 v58, 0, 1, vcc_lo
	v_add_co_ci_u32_e64 v11, null, 0, v11, vcc_lo
	v_lshrrev_b32_e32 v57, v58, v57
; %bb.6108:                             ;   in Loop: Header=BB4_5740 Depth=2
	s_andn2_saveexec_b32 s13, s13
; %bb.6109:                             ;   in Loop: Header=BB4_5740 Depth=2
	v_bfe_u32 v11, v57, 23, 1
; %bb.6110:                             ;   in Loop: Header=BB4_5740 Depth=2
	s_or_b32 exec_lo, exec_lo, s13
	v_lshrrev_b32_e32 v57, 20, v57
	v_min_i32_e32 v58, 15, v11
	v_cmp_gt_i32_e32 vcc_lo, 16, v11
	v_and_b32_sdwa v10, v10, v82 dst_sel:DWORD dst_unused:UNUSED_PAD src0_sel:BYTE_3 src1_sel:DWORD
	v_lshlrev_b32_e32 v58, 3, v58
	v_cndmask_b32_e32 v57, 7, v57, vcc_lo
	v_and_b32_e32 v58, 0xf8, v58
	v_and_b32_e32 v59, 7, v57
	v_or_b32_e32 v11, v11, v57
	v_or3_b32 v10, v10, v58, v59
	v_cmp_ne_u32_e32 vcc_lo, 0, v11
	v_lshlrev_b32_e32 v10, 8, v10
	v_cndmask_b32_e32 v57, 0, v10, vcc_lo
.LBB4_6111:                             ;   in Loop: Header=BB4_5740 Depth=2
	s_or_b32 exec_lo, exec_lo, s40
.LBB4_6112:                             ;   in Loop: Header=BB4_5740 Depth=2
	s_or_b32 exec_lo, exec_lo, s29
	v_and_b32_sdwa v11, v12, v85 dst_sel:DWORD dst_unused:UNUSED_PAD src0_sel:WORD_1 src1_sel:DWORD
	s_mov_b32 s13, 0
	s_mov_b32 s29, exec_lo
	v_cmpx_lt_i16_e32 0x7f, v11
	s_xor_b32 s29, exec_lo, s29
	s_cbranch_execz .LBB4_6694
; %bb.6113:                             ;   in Loop: Header=BB4_5740 Depth=2
	s_mov_b32 s13, -1
	s_mov_b32 s40, exec_lo
	v_cmpx_eq_u16_e32 0x80, v11
; %bb.6114:                             ;   in Loop: Header=BB4_5740 Depth=2
	s_xor_b32 s13, exec_lo, -1
; %bb.6115:                             ;   in Loop: Header=BB4_5740 Depth=2
	s_or_b32 exec_lo, exec_lo, s40
	s_and_b32 s13, s13, exec_lo
                                        ; implicit-def: $vgpr11
	s_or_saveexec_b32 s29, s29
	v_mov_b32_e32 v10, 0x7f800001
	s_xor_b32 exec_lo, exec_lo, s29
	s_cbranch_execnz .LBB4_6695
.LBB4_6116:                             ;   in Loop: Header=BB4_5740 Depth=2
	s_or_b32 exec_lo, exec_lo, s29
	s_and_saveexec_b32 s29, s13
	s_cbranch_execz .LBB4_6118
.LBB4_6117:                             ;   in Loop: Header=BB4_5740 Depth=2
	v_bfe_u32 v10, v12, 16, 3
	v_bfe_u32 v59, v12, 19, 4
	v_lshlrev_b32_e32 v60, 8, v12
	v_ffbh_u32_e32 v11, v10
	v_cmp_eq_u32_e32 vcc_lo, 0, v59
	v_min_u32_e32 v11, 32, v11
	v_subrev_nc_u32_e32 v58, 28, v11
	v_sub_nc_u32_e32 v11, 29, v11
	v_lshlrev_b32_sdwa v58, v58, v12 dst_sel:DWORD dst_unused:UNUSED_PAD src0_sel:DWORD src1_sel:WORD_1
	v_cndmask_b32_e32 v11, v59, v11, vcc_lo
	v_and_b32_e32 v58, 7, v58
	v_lshl_add_u32 v11, v11, 23, 0x3b800000
	v_cndmask_b32_e32 v10, v10, v58, vcc_lo
	v_and_b32_e32 v58, 0x80000000, v60
	v_lshlrev_b32_e32 v10, 20, v10
	v_or3_b32 v10, v58, v11, v10
.LBB4_6118:                             ;   in Loop: Header=BB4_5740 Depth=2
	s_or_b32 exec_lo, exec_lo, s29
	v_mul_f32_e32 v10, s28, v10
	v_mov_b32_e32 v58, 0x80
	s_mov_b32 s29, exec_lo
	v_and_b32_e32 v11, 0x7f800000, v10
	v_cmpx_ne_u32_e32 0x7f800000, v11
	s_cbranch_execz .LBB4_6126
; %bb.6119:                             ;   in Loop: Header=BB4_5740 Depth=2
	v_mov_b32_e32 v58, 0
	s_mov_b32 s40, exec_lo
	v_cmpx_ne_u32_e32 0, v10
	s_cbranch_execz .LBB4_6125
; %bb.6120:                             ;   in Loop: Header=BB4_5740 Depth=2
	v_bfe_u32 v11, v10, 23, 8
	v_and_b32_e32 v58, 0x7fffff, v10
	v_sub_nc_u32_e32 v59, 0x78, v11
	v_cmp_gt_u32_e32 vcc_lo, 0x79, v11
	v_or_b32_e32 v60, 0x800000, v58
	v_cndmask_b32_e32 v59, 0, v59, vcc_lo
	v_cmp_eq_u32_e32 vcc_lo, 0, v11
	v_add_nc_u32_e32 v11, 0xffffff89, v11
	v_cndmask_b32_e64 v59, v59, 0x77, vcc_lo
	v_cndmask_b32_e32 v58, v60, v58, vcc_lo
	v_cndmask_b32_e64 v11, v11, 0xffffff8a, vcc_lo
	v_lshl_add_u32 v60, 0x100000, v59, -1
	v_lshrrev_b32_e32 v61, v59, v58
	v_lshlrev_b32_e64 v63, v59, 0x80000
	v_add_nc_u32_e32 v59, v59, v11
	v_and_b32_e32 v58, v60, v58
	v_bfe_u32 v62, v61, 20, 1
	v_cmp_eq_u32_e64 s13, v58, v63
	v_add_nc_u32_e32 v60, -1, v62
	v_cndmask_b32_e64 v58, 0, v60, s13
	v_lshrrev_b32_e32 v60, 23, v61
	s_mov_b32 s13, exec_lo
	v_add_nc_u32_e32 v58, v58, v61
	v_xor_b32_e32 v60, 1, v60
	v_and_b32_e32 v11, 0xfffff, v58
	v_add_nc_u32_e32 v58, v11, v61
                                        ; implicit-def: $vgpr11
	v_cmpx_ne_u32_e64 v59, v60
	s_xor_b32 s13, exec_lo, s13
; %bb.6121:                             ;   in Loop: Header=BB4_5740 Depth=2
	v_cmp_lt_u32_e32 vcc_lo, 0xffffff, v58
	v_sub_nc_u32_e32 v11, v59, v60
	v_cndmask_b32_e64 v59, 0, 1, vcc_lo
	v_add_co_ci_u32_e64 v11, null, 0, v11, vcc_lo
	v_lshrrev_b32_e32 v58, v59, v58
; %bb.6122:                             ;   in Loop: Header=BB4_5740 Depth=2
	s_andn2_saveexec_b32 s13, s13
; %bb.6123:                             ;   in Loop: Header=BB4_5740 Depth=2
	v_bfe_u32 v11, v58, 23, 1
; %bb.6124:                             ;   in Loop: Header=BB4_5740 Depth=2
	s_or_b32 exec_lo, exec_lo, s13
	v_lshrrev_b32_e32 v58, 20, v58
	v_min_i32_e32 v59, 15, v11
	v_cmp_gt_i32_e32 vcc_lo, 16, v11
	v_and_b32_sdwa v10, v10, v82 dst_sel:DWORD dst_unused:UNUSED_PAD src0_sel:BYTE_3 src1_sel:DWORD
	v_lshlrev_b32_e32 v59, 3, v59
	v_cndmask_b32_e32 v58, 7, v58, vcc_lo
	v_and_b32_e32 v59, 0xf8, v59
	v_and_b32_e32 v60, 7, v58
	v_or_b32_e32 v11, v11, v58
	v_or3_b32 v10, v59, v10, v60
	v_cmp_ne_u32_e32 vcc_lo, 0, v11
	v_cndmask_b32_e32 v58, 0, v10, vcc_lo
.LBB4_6125:                             ;   in Loop: Header=BB4_5740 Depth=2
	s_or_b32 exec_lo, exec_lo, s40
.LBB4_6126:                             ;   in Loop: Header=BB4_5740 Depth=2
	s_or_b32 exec_lo, exec_lo, s29
	v_cmp_gt_i16_sdwa s29, v12, v81 src0_sel:BYTE_3 src1_sel:DWORD
	s_mov_b32 s13, 0
	s_and_saveexec_b32 s40, s29
	s_xor_b32 s29, exec_lo, s40
	s_cbranch_execz .LBB4_6696
; %bb.6127:                             ;   in Loop: Header=BB4_5740 Depth=2
	v_cmp_eq_u16_sdwa s41, v12, v82 src0_sel:BYTE_3 src1_sel:DWORD
	s_mov_b32 s13, -1
	s_and_saveexec_b32 s40, s41
; %bb.6128:                             ;   in Loop: Header=BB4_5740 Depth=2
	s_xor_b32 s13, exec_lo, -1
; %bb.6129:                             ;   in Loop: Header=BB4_5740 Depth=2
	s_or_b32 exec_lo, exec_lo, s40
	s_and_b32 s13, s13, exec_lo
	s_or_saveexec_b32 s29, s29
	v_mov_b32_e32 v10, 0x7f800001
	s_xor_b32 exec_lo, exec_lo, s29
	s_cbranch_execnz .LBB4_6697
.LBB4_6130:                             ;   in Loop: Header=BB4_5740 Depth=2
	s_or_b32 exec_lo, exec_lo, s29
	s_and_saveexec_b32 s29, s13
	s_cbranch_execz .LBB4_6132
.LBB4_6131:                             ;   in Loop: Header=BB4_5740 Depth=2
	v_bfe_u32 v10, v12, 24, 3
	v_bfe_u32 v60, v12, 27, 4
	v_ffbh_u32_e32 v11, v10
	v_cmp_eq_u32_e32 vcc_lo, 0, v60
	v_min_u32_e32 v11, 32, v11
	v_subrev_nc_u32_e32 v59, 28, v11
	v_sub_nc_u32_e32 v11, 29, v11
	v_lshlrev_b32_sdwa v59, v59, v12 dst_sel:DWORD dst_unused:UNUSED_PAD src0_sel:DWORD src1_sel:BYTE_3
	v_cndmask_b32_e32 v11, v60, v11, vcc_lo
	v_and_b32_e32 v12, 0x80000000, v12
	v_and_b32_e32 v59, 7, v59
	v_lshl_add_u32 v11, v11, 23, 0x3b800000
	v_cndmask_b32_e32 v10, v10, v59, vcc_lo
	v_lshlrev_b32_e32 v10, 20, v10
	v_or3_b32 v10, v12, v11, v10
.LBB4_6132:                             ;   in Loop: Header=BB4_5740 Depth=2
	s_or_b32 exec_lo, exec_lo, s29
	v_mul_f32_e32 v10, s28, v10
	v_mov_b32_e32 v59, 0x8000
	s_mov_b32 s29, exec_lo
	v_and_b32_e32 v11, 0x7f800000, v10
	v_cmpx_ne_u32_e32 0x7f800000, v11
	s_cbranch_execz .LBB4_6140
; %bb.6133:                             ;   in Loop: Header=BB4_5740 Depth=2
	v_mov_b32_e32 v59, 0
	s_mov_b32 s40, exec_lo
	v_cmpx_ne_u32_e32 0, v10
	s_cbranch_execz .LBB4_6139
; %bb.6134:                             ;   in Loop: Header=BB4_5740 Depth=2
	v_bfe_u32 v11, v10, 23, 8
	v_and_b32_e32 v12, 0x7fffff, v10
	v_sub_nc_u32_e32 v59, 0x78, v11
	v_cmp_gt_u32_e32 vcc_lo, 0x79, v11
	v_or_b32_e32 v60, 0x800000, v12
	v_cndmask_b32_e32 v59, 0, v59, vcc_lo
	v_cmp_eq_u32_e32 vcc_lo, 0, v11
	v_add_nc_u32_e32 v11, 0xffffff89, v11
	v_cndmask_b32_e64 v59, v59, 0x77, vcc_lo
	v_cndmask_b32_e32 v12, v60, v12, vcc_lo
	v_cndmask_b32_e64 v11, v11, 0xffffff8a, vcc_lo
	v_lshl_add_u32 v60, 0x100000, v59, -1
	v_lshrrev_b32_e32 v61, v59, v12
	v_lshlrev_b32_e64 v63, v59, 0x80000
	v_add_nc_u32_e32 v59, v59, v11
	v_and_b32_e32 v12, v60, v12
	v_bfe_u32 v62, v61, 20, 1
	v_cmp_eq_u32_e64 s13, v12, v63
	v_add_nc_u32_e32 v60, -1, v62
	v_cndmask_b32_e64 v12, 0, v60, s13
	v_lshrrev_b32_e32 v60, 23, v61
	s_mov_b32 s13, exec_lo
	v_add_nc_u32_e32 v12, v12, v61
	v_xor_b32_e32 v60, 1, v60
	v_and_b32_e32 v11, 0xfffff, v12
	v_add_nc_u32_e32 v12, v11, v61
                                        ; implicit-def: $vgpr11
	v_cmpx_ne_u32_e64 v59, v60
	s_xor_b32 s13, exec_lo, s13
; %bb.6135:                             ;   in Loop: Header=BB4_5740 Depth=2
	v_cmp_lt_u32_e32 vcc_lo, 0xffffff, v12
	v_sub_nc_u32_e32 v11, v59, v60
	v_cndmask_b32_e64 v59, 0, 1, vcc_lo
	v_add_co_ci_u32_e64 v11, null, 0, v11, vcc_lo
	v_lshrrev_b32_e32 v12, v59, v12
; %bb.6136:                             ;   in Loop: Header=BB4_5740 Depth=2
	s_andn2_saveexec_b32 s13, s13
; %bb.6137:                             ;   in Loop: Header=BB4_5740 Depth=2
	v_bfe_u32 v11, v12, 23, 1
; %bb.6138:                             ;   in Loop: Header=BB4_5740 Depth=2
	s_or_b32 exec_lo, exec_lo, s13
	v_lshrrev_b32_e32 v12, 20, v12
	v_min_i32_e32 v59, 15, v11
	v_cmp_gt_i32_e32 vcc_lo, 16, v11
	v_and_b32_sdwa v10, v10, v82 dst_sel:DWORD dst_unused:UNUSED_PAD src0_sel:BYTE_3 src1_sel:DWORD
	v_lshlrev_b32_e32 v59, 3, v59
	v_cndmask_b32_e32 v12, 7, v12, vcc_lo
	v_and_b32_e32 v59, 0xf8, v59
	v_and_b32_e32 v60, 7, v12
	v_or_b32_e32 v11, v11, v12
	v_or3_b32 v10, v10, v59, v60
	v_cmp_ne_u32_e32 vcc_lo, 0, v11
	v_lshlrev_b32_e32 v10, 8, v10
	v_cndmask_b32_e32 v59, 0, v10, vcc_lo
.LBB4_6139:                             ;   in Loop: Header=BB4_5740 Depth=2
	s_or_b32 exec_lo, exec_lo, s40
.LBB4_6140:                             ;   in Loop: Header=BB4_5740 Depth=2
	s_or_b32 exec_lo, exec_lo, s29
	v_cmp_gt_i16_sdwa s29, v13, v81 src0_sel:BYTE_0 src1_sel:DWORD
	s_mov_b32 s13, 0
	s_and_saveexec_b32 s40, s29
	s_xor_b32 s29, exec_lo, s40
	s_cbranch_execz .LBB4_6698
; %bb.6141:                             ;   in Loop: Header=BB4_5740 Depth=2
	v_cmp_eq_u16_sdwa s41, v13, v82 src0_sel:BYTE_0 src1_sel:DWORD
	s_mov_b32 s13, -1
	s_and_saveexec_b32 s40, s41
; %bb.6142:                             ;   in Loop: Header=BB4_5740 Depth=2
	s_xor_b32 s13, exec_lo, -1
; %bb.6143:                             ;   in Loop: Header=BB4_5740 Depth=2
	s_or_b32 exec_lo, exec_lo, s40
	s_and_b32 s13, s13, exec_lo
	s_or_saveexec_b32 s29, s29
	v_mov_b32_e32 v10, 0x7f800001
	s_xor_b32 exec_lo, exec_lo, s29
	s_cbranch_execnz .LBB4_6699
.LBB4_6144:                             ;   in Loop: Header=BB4_5740 Depth=2
	s_or_b32 exec_lo, exec_lo, s29
	s_and_saveexec_b32 s29, s13
	s_cbranch_execz .LBB4_6146
.LBB4_6145:                             ;   in Loop: Header=BB4_5740 Depth=2
	v_and_b32_e32 v10, 7, v13
	v_bfe_u32 v60, v13, 3, 4
	v_lshlrev_b32_e32 v61, 24, v13
	v_ffbh_u32_e32 v11, v10
	v_cmp_eq_u32_e32 vcc_lo, 0, v60
	v_min_u32_e32 v11, 32, v11
	v_subrev_nc_u32_e32 v12, 28, v11
	v_sub_nc_u32_e32 v11, 29, v11
	v_lshlrev_b32_e32 v12, v12, v13
	v_cndmask_b32_e32 v11, v60, v11, vcc_lo
	v_and_b32_e32 v12, 7, v12
	v_lshl_add_u32 v11, v11, 23, 0x3b800000
	v_cndmask_b32_e32 v10, v10, v12, vcc_lo
	v_and_b32_e32 v12, 0x80000000, v61
	v_lshlrev_b32_e32 v10, 20, v10
	v_or3_b32 v10, v12, v11, v10
.LBB4_6146:                             ;   in Loop: Header=BB4_5740 Depth=2
	s_or_b32 exec_lo, exec_lo, s29
	v_mul_f32_e32 v10, s28, v10
	v_mov_b32_e32 v60, 0x80
	s_mov_b32 s29, exec_lo
	v_and_b32_e32 v11, 0x7f800000, v10
	v_cmpx_ne_u32_e32 0x7f800000, v11
	s_cbranch_execz .LBB4_6154
; %bb.6147:                             ;   in Loop: Header=BB4_5740 Depth=2
	v_mov_b32_e32 v60, 0
	s_mov_b32 s40, exec_lo
	v_cmpx_ne_u32_e32 0, v10
	s_cbranch_execz .LBB4_6153
; %bb.6148:                             ;   in Loop: Header=BB4_5740 Depth=2
	v_bfe_u32 v11, v10, 23, 8
	v_and_b32_e32 v12, 0x7fffff, v10
	v_sub_nc_u32_e32 v60, 0x78, v11
	v_cmp_gt_u32_e32 vcc_lo, 0x79, v11
	v_or_b32_e32 v61, 0x800000, v12
	v_cndmask_b32_e32 v60, 0, v60, vcc_lo
	v_cmp_eq_u32_e32 vcc_lo, 0, v11
	v_add_nc_u32_e32 v11, 0xffffff89, v11
	v_cndmask_b32_e64 v60, v60, 0x77, vcc_lo
	v_cndmask_b32_e32 v12, v61, v12, vcc_lo
	v_cndmask_b32_e64 v11, v11, 0xffffff8a, vcc_lo
	v_lshl_add_u32 v61, 0x100000, v60, -1
	v_lshrrev_b32_e32 v62, v60, v12
	v_lshlrev_b32_e64 v72, v60, 0x80000
	v_add_nc_u32_e32 v60, v60, v11
	v_and_b32_e32 v12, v61, v12
	v_bfe_u32 v63, v62, 20, 1
	v_cmp_eq_u32_e64 s13, v12, v72
	v_add_nc_u32_e32 v61, -1, v63
	v_cndmask_b32_e64 v12, 0, v61, s13
	v_lshrrev_b32_e32 v61, 23, v62
	s_mov_b32 s13, exec_lo
	v_add_nc_u32_e32 v12, v12, v62
	v_xor_b32_e32 v61, 1, v61
	v_and_b32_e32 v11, 0xfffff, v12
	v_add_nc_u32_e32 v12, v11, v62
                                        ; implicit-def: $vgpr11
	v_cmpx_ne_u32_e64 v60, v61
	s_xor_b32 s13, exec_lo, s13
; %bb.6149:                             ;   in Loop: Header=BB4_5740 Depth=2
	v_cmp_lt_u32_e32 vcc_lo, 0xffffff, v12
	v_sub_nc_u32_e32 v11, v60, v61
	v_cndmask_b32_e64 v60, 0, 1, vcc_lo
	v_add_co_ci_u32_e64 v11, null, 0, v11, vcc_lo
	v_lshrrev_b32_e32 v12, v60, v12
; %bb.6150:                             ;   in Loop: Header=BB4_5740 Depth=2
	s_andn2_saveexec_b32 s13, s13
; %bb.6151:                             ;   in Loop: Header=BB4_5740 Depth=2
	v_bfe_u32 v11, v12, 23, 1
; %bb.6152:                             ;   in Loop: Header=BB4_5740 Depth=2
	s_or_b32 exec_lo, exec_lo, s13
	v_lshrrev_b32_e32 v12, 20, v12
	v_min_i32_e32 v60, 15, v11
	v_cmp_gt_i32_e32 vcc_lo, 16, v11
	v_and_b32_sdwa v10, v10, v82 dst_sel:DWORD dst_unused:UNUSED_PAD src0_sel:BYTE_3 src1_sel:DWORD
	v_lshlrev_b32_e32 v60, 3, v60
	v_cndmask_b32_e32 v12, 7, v12, vcc_lo
	v_and_b32_e32 v60, 0xf8, v60
	v_and_b32_e32 v61, 7, v12
	v_or_b32_e32 v11, v11, v12
	v_or3_b32 v10, v60, v10, v61
	v_cmp_ne_u32_e32 vcc_lo, 0, v11
	v_cndmask_b32_e32 v60, 0, v10, vcc_lo
.LBB4_6153:                             ;   in Loop: Header=BB4_5740 Depth=2
	s_or_b32 exec_lo, exec_lo, s40
.LBB4_6154:                             ;   in Loop: Header=BB4_5740 Depth=2
	s_or_b32 exec_lo, exec_lo, s29
	v_cmp_gt_i16_sdwa s29, v13, v81 src0_sel:BYTE_1 src1_sel:DWORD
	s_mov_b32 s13, 0
	s_and_saveexec_b32 s40, s29
	s_xor_b32 s29, exec_lo, s40
	s_cbranch_execz .LBB4_6700
; %bb.6155:                             ;   in Loop: Header=BB4_5740 Depth=2
	v_cmp_eq_u16_sdwa s41, v13, v82 src0_sel:BYTE_1 src1_sel:DWORD
	s_mov_b32 s13, -1
	s_and_saveexec_b32 s40, s41
; %bb.6156:                             ;   in Loop: Header=BB4_5740 Depth=2
	s_xor_b32 s13, exec_lo, -1
; %bb.6157:                             ;   in Loop: Header=BB4_5740 Depth=2
	s_or_b32 exec_lo, exec_lo, s40
	s_and_b32 s13, s13, exec_lo
	s_or_saveexec_b32 s29, s29
	v_mov_b32_e32 v10, 0x7f800001
	s_xor_b32 exec_lo, exec_lo, s29
	s_cbranch_execnz .LBB4_6701
.LBB4_6158:                             ;   in Loop: Header=BB4_5740 Depth=2
	s_or_b32 exec_lo, exec_lo, s29
	s_and_saveexec_b32 s29, s13
	s_cbranch_execz .LBB4_6160
.LBB4_6159:                             ;   in Loop: Header=BB4_5740 Depth=2
	v_and_b32_sdwa v10, v83, v13 dst_sel:DWORD dst_unused:UNUSED_PAD src0_sel:DWORD src1_sel:BYTE_1
	v_and_b32_e32 v11, 7, v10
	v_bfe_u32 v62, v10, 3, 4
	v_ffbh_u32_e32 v12, v11
	v_cmp_eq_u32_e32 vcc_lo, 0, v62
	v_min_u32_e32 v12, 32, v12
	v_subrev_nc_u32_e32 v61, 28, v12
	v_sub_nc_u32_e32 v12, 29, v12
	v_lshlrev_b32_e32 v10, v61, v10
	v_lshlrev_b32_sdwa v61, v84, v13 dst_sel:DWORD dst_unused:UNUSED_PAD src0_sel:DWORD src1_sel:BYTE_1
	v_cndmask_b32_e32 v12, v62, v12, vcc_lo
	v_and_b32_e32 v10, 7, v10
	v_lshl_add_u32 v12, v12, 23, 0x3b800000
	v_cndmask_b32_e32 v10, v11, v10, vcc_lo
	v_and_b32_e32 v11, 0x80000000, v61
	v_lshlrev_b32_e32 v10, 20, v10
	v_or3_b32 v10, v11, v12, v10
.LBB4_6160:                             ;   in Loop: Header=BB4_5740 Depth=2
	s_or_b32 exec_lo, exec_lo, s29
	v_mul_f32_e32 v10, s28, v10
	v_mov_b32_e32 v61, 0x8000
	s_mov_b32 s29, exec_lo
	v_and_b32_e32 v11, 0x7f800000, v10
	v_cmpx_ne_u32_e32 0x7f800000, v11
	s_cbranch_execz .LBB4_6168
; %bb.6161:                             ;   in Loop: Header=BB4_5740 Depth=2
	v_mov_b32_e32 v61, 0
	s_mov_b32 s40, exec_lo
	v_cmpx_ne_u32_e32 0, v10
	s_cbranch_execz .LBB4_6167
; %bb.6162:                             ;   in Loop: Header=BB4_5740 Depth=2
	v_bfe_u32 v11, v10, 23, 8
	v_and_b32_e32 v12, 0x7fffff, v10
	v_sub_nc_u32_e32 v61, 0x78, v11
	v_cmp_gt_u32_e32 vcc_lo, 0x79, v11
	v_or_b32_e32 v62, 0x800000, v12
	v_cndmask_b32_e32 v61, 0, v61, vcc_lo
	v_cmp_eq_u32_e32 vcc_lo, 0, v11
	v_add_nc_u32_e32 v11, 0xffffff89, v11
	v_cndmask_b32_e64 v61, v61, 0x77, vcc_lo
	v_cndmask_b32_e32 v12, v62, v12, vcc_lo
	v_cndmask_b32_e64 v11, v11, 0xffffff8a, vcc_lo
	v_lshl_add_u32 v62, 0x100000, v61, -1
	v_lshrrev_b32_e32 v63, v61, v12
	v_lshlrev_b32_e64 v73, v61, 0x80000
	v_add_nc_u32_e32 v61, v61, v11
	v_and_b32_e32 v12, v62, v12
	v_bfe_u32 v72, v63, 20, 1
	v_cmp_eq_u32_e64 s13, v12, v73
	v_add_nc_u32_e32 v62, -1, v72
	v_cndmask_b32_e64 v12, 0, v62, s13
	v_lshrrev_b32_e32 v62, 23, v63
	s_mov_b32 s13, exec_lo
	v_add_nc_u32_e32 v12, v12, v63
	v_xor_b32_e32 v62, 1, v62
	v_and_b32_e32 v11, 0xfffff, v12
	v_add_nc_u32_e32 v12, v11, v63
                                        ; implicit-def: $vgpr11
	v_cmpx_ne_u32_e64 v61, v62
	s_xor_b32 s13, exec_lo, s13
; %bb.6163:                             ;   in Loop: Header=BB4_5740 Depth=2
	v_cmp_lt_u32_e32 vcc_lo, 0xffffff, v12
	v_sub_nc_u32_e32 v11, v61, v62
	v_cndmask_b32_e64 v61, 0, 1, vcc_lo
	v_add_co_ci_u32_e64 v11, null, 0, v11, vcc_lo
	v_lshrrev_b32_e32 v12, v61, v12
; %bb.6164:                             ;   in Loop: Header=BB4_5740 Depth=2
	s_andn2_saveexec_b32 s13, s13
; %bb.6165:                             ;   in Loop: Header=BB4_5740 Depth=2
	v_bfe_u32 v11, v12, 23, 1
; %bb.6166:                             ;   in Loop: Header=BB4_5740 Depth=2
	s_or_b32 exec_lo, exec_lo, s13
	v_lshrrev_b32_e32 v12, 20, v12
	v_min_i32_e32 v61, 15, v11
	v_cmp_gt_i32_e32 vcc_lo, 16, v11
	v_and_b32_sdwa v10, v10, v82 dst_sel:DWORD dst_unused:UNUSED_PAD src0_sel:BYTE_3 src1_sel:DWORD
	v_lshlrev_b32_e32 v61, 3, v61
	v_cndmask_b32_e32 v12, 7, v12, vcc_lo
	v_and_b32_e32 v61, 0xf8, v61
	v_and_b32_e32 v62, 7, v12
	v_or_b32_e32 v11, v11, v12
	v_or3_b32 v10, v10, v61, v62
	v_cmp_ne_u32_e32 vcc_lo, 0, v11
	v_lshlrev_b32_e32 v10, 8, v10
	v_cndmask_b32_e32 v61, 0, v10, vcc_lo
.LBB4_6167:                             ;   in Loop: Header=BB4_5740 Depth=2
	s_or_b32 exec_lo, exec_lo, s40
.LBB4_6168:                             ;   in Loop: Header=BB4_5740 Depth=2
	s_or_b32 exec_lo, exec_lo, s29
	v_and_b32_sdwa v11, v13, v85 dst_sel:DWORD dst_unused:UNUSED_PAD src0_sel:WORD_1 src1_sel:DWORD
	s_mov_b32 s13, 0
	s_mov_b32 s29, exec_lo
	v_cmpx_lt_i16_e32 0x7f, v11
	s_xor_b32 s29, exec_lo, s29
	s_cbranch_execz .LBB4_6702
; %bb.6169:                             ;   in Loop: Header=BB4_5740 Depth=2
	s_mov_b32 s13, -1
	s_mov_b32 s40, exec_lo
	v_cmpx_eq_u16_e32 0x80, v11
; %bb.6170:                             ;   in Loop: Header=BB4_5740 Depth=2
	s_xor_b32 s13, exec_lo, -1
; %bb.6171:                             ;   in Loop: Header=BB4_5740 Depth=2
	s_or_b32 exec_lo, exec_lo, s40
	s_and_b32 s13, s13, exec_lo
                                        ; implicit-def: $vgpr11
	s_or_saveexec_b32 s29, s29
	v_mov_b32_e32 v10, 0x7f800001
	s_xor_b32 exec_lo, exec_lo, s29
	s_cbranch_execnz .LBB4_6703
.LBB4_6172:                             ;   in Loop: Header=BB4_5740 Depth=2
	s_or_b32 exec_lo, exec_lo, s29
	s_and_saveexec_b32 s29, s13
	s_cbranch_execz .LBB4_6174
.LBB4_6173:                             ;   in Loop: Header=BB4_5740 Depth=2
	v_bfe_u32 v10, v13, 16, 3
	v_bfe_u32 v62, v13, 19, 4
	v_lshlrev_b32_e32 v63, 8, v13
	v_ffbh_u32_e32 v11, v10
	v_cmp_eq_u32_e32 vcc_lo, 0, v62
	v_min_u32_e32 v11, 32, v11
	v_subrev_nc_u32_e32 v12, 28, v11
	v_sub_nc_u32_e32 v11, 29, v11
	v_lshlrev_b32_sdwa v12, v12, v13 dst_sel:DWORD dst_unused:UNUSED_PAD src0_sel:DWORD src1_sel:WORD_1
	v_cndmask_b32_e32 v11, v62, v11, vcc_lo
	v_and_b32_e32 v12, 7, v12
	v_lshl_add_u32 v11, v11, 23, 0x3b800000
	v_cndmask_b32_e32 v10, v10, v12, vcc_lo
	v_and_b32_e32 v12, 0x80000000, v63
	v_lshlrev_b32_e32 v10, 20, v10
	v_or3_b32 v10, v12, v11, v10
.LBB4_6174:                             ;   in Loop: Header=BB4_5740 Depth=2
	s_or_b32 exec_lo, exec_lo, s29
	v_mul_f32_e32 v10, s28, v10
	v_mov_b32_e32 v62, 0x80
	s_mov_b32 s29, exec_lo
	v_and_b32_e32 v11, 0x7f800000, v10
	v_cmpx_ne_u32_e32 0x7f800000, v11
	s_cbranch_execz .LBB4_6182
; %bb.6175:                             ;   in Loop: Header=BB4_5740 Depth=2
	v_mov_b32_e32 v62, 0
	s_mov_b32 s40, exec_lo
	v_cmpx_ne_u32_e32 0, v10
	s_cbranch_execz .LBB4_6181
; %bb.6176:                             ;   in Loop: Header=BB4_5740 Depth=2
	v_bfe_u32 v11, v10, 23, 8
	v_and_b32_e32 v12, 0x7fffff, v10
	v_sub_nc_u32_e32 v62, 0x78, v11
	v_cmp_gt_u32_e32 vcc_lo, 0x79, v11
	v_or_b32_e32 v63, 0x800000, v12
	v_cndmask_b32_e32 v62, 0, v62, vcc_lo
	v_cmp_eq_u32_e32 vcc_lo, 0, v11
	v_add_nc_u32_e32 v11, 0xffffff89, v11
	v_cndmask_b32_e64 v62, v62, 0x77, vcc_lo
	v_cndmask_b32_e32 v12, v63, v12, vcc_lo
	v_cndmask_b32_e64 v11, v11, 0xffffff8a, vcc_lo
	v_lshl_add_u32 v63, 0x100000, v62, -1
	v_lshrrev_b32_e32 v72, v62, v12
	v_lshlrev_b32_e64 v74, v62, 0x80000
	v_add_nc_u32_e32 v62, v62, v11
	v_and_b32_e32 v12, v63, v12
	v_bfe_u32 v73, v72, 20, 1
	v_cmp_eq_u32_e64 s13, v12, v74
	v_add_nc_u32_e32 v63, -1, v73
	v_cndmask_b32_e64 v12, 0, v63, s13
	v_lshrrev_b32_e32 v63, 23, v72
	s_mov_b32 s13, exec_lo
	v_add_nc_u32_e32 v12, v12, v72
	v_xor_b32_e32 v63, 1, v63
	v_and_b32_e32 v11, 0xfffff, v12
	v_add_nc_u32_e32 v12, v11, v72
                                        ; implicit-def: $vgpr11
	v_cmpx_ne_u32_e64 v62, v63
	s_xor_b32 s13, exec_lo, s13
; %bb.6177:                             ;   in Loop: Header=BB4_5740 Depth=2
	v_cmp_lt_u32_e32 vcc_lo, 0xffffff, v12
	v_sub_nc_u32_e32 v11, v62, v63
	v_cndmask_b32_e64 v62, 0, 1, vcc_lo
	v_add_co_ci_u32_e64 v11, null, 0, v11, vcc_lo
	v_lshrrev_b32_e32 v12, v62, v12
; %bb.6178:                             ;   in Loop: Header=BB4_5740 Depth=2
	s_andn2_saveexec_b32 s13, s13
; %bb.6179:                             ;   in Loop: Header=BB4_5740 Depth=2
	v_bfe_u32 v11, v12, 23, 1
; %bb.6180:                             ;   in Loop: Header=BB4_5740 Depth=2
	s_or_b32 exec_lo, exec_lo, s13
	v_lshrrev_b32_e32 v12, 20, v12
	v_min_i32_e32 v62, 15, v11
	v_cmp_gt_i32_e32 vcc_lo, 16, v11
	v_and_b32_sdwa v10, v10, v82 dst_sel:DWORD dst_unused:UNUSED_PAD src0_sel:BYTE_3 src1_sel:DWORD
	v_lshlrev_b32_e32 v62, 3, v62
	v_cndmask_b32_e32 v12, 7, v12, vcc_lo
	v_and_b32_e32 v62, 0xf8, v62
	v_and_b32_e32 v63, 7, v12
	v_or_b32_e32 v11, v11, v12
	v_or3_b32 v10, v62, v10, v63
	v_cmp_ne_u32_e32 vcc_lo, 0, v11
	v_cndmask_b32_e32 v62, 0, v10, vcc_lo
.LBB4_6181:                             ;   in Loop: Header=BB4_5740 Depth=2
	s_or_b32 exec_lo, exec_lo, s40
.LBB4_6182:                             ;   in Loop: Header=BB4_5740 Depth=2
	s_or_b32 exec_lo, exec_lo, s29
	v_cmp_gt_i16_sdwa s29, v13, v81 src0_sel:BYTE_3 src1_sel:DWORD
	s_mov_b32 s13, 0
	s_and_saveexec_b32 s40, s29
	s_xor_b32 s29, exec_lo, s40
	s_cbranch_execz .LBB4_6704
; %bb.6183:                             ;   in Loop: Header=BB4_5740 Depth=2
	v_cmp_eq_u16_sdwa s41, v13, v82 src0_sel:BYTE_3 src1_sel:DWORD
	s_mov_b32 s13, -1
	s_and_saveexec_b32 s40, s41
; %bb.6184:                             ;   in Loop: Header=BB4_5740 Depth=2
	s_xor_b32 s13, exec_lo, -1
; %bb.6185:                             ;   in Loop: Header=BB4_5740 Depth=2
	s_or_b32 exec_lo, exec_lo, s40
	s_and_b32 s13, s13, exec_lo
	s_or_saveexec_b32 s29, s29
	v_mov_b32_e32 v10, 0x7f800001
	s_xor_b32 exec_lo, exec_lo, s29
	s_cbranch_execnz .LBB4_6705
.LBB4_6186:                             ;   in Loop: Header=BB4_5740 Depth=2
	s_or_b32 exec_lo, exec_lo, s29
	s_and_saveexec_b32 s29, s13
	s_cbranch_execz .LBB4_6188
.LBB4_6187:                             ;   in Loop: Header=BB4_5740 Depth=2
	v_bfe_u32 v10, v13, 24, 3
	v_bfe_u32 v63, v13, 27, 4
	v_ffbh_u32_e32 v11, v10
	v_cmp_eq_u32_e32 vcc_lo, 0, v63
	v_min_u32_e32 v11, 32, v11
	v_subrev_nc_u32_e32 v12, 28, v11
	v_sub_nc_u32_e32 v11, 29, v11
	v_lshlrev_b32_sdwa v12, v12, v13 dst_sel:DWORD dst_unused:UNUSED_PAD src0_sel:DWORD src1_sel:BYTE_3
	v_cndmask_b32_e32 v11, v63, v11, vcc_lo
	v_and_b32_e32 v12, 7, v12
	v_lshl_add_u32 v11, v11, 23, 0x3b800000
	v_cndmask_b32_e32 v10, v10, v12, vcc_lo
	v_and_b32_e32 v12, 0x80000000, v13
	v_lshlrev_b32_e32 v10, 20, v10
	v_or3_b32 v10, v12, v11, v10
.LBB4_6188:                             ;   in Loop: Header=BB4_5740 Depth=2
	s_or_b32 exec_lo, exec_lo, s29
	v_mul_f32_e32 v10, s28, v10
	v_mov_b32_e32 v63, 0x8000
	s_mov_b32 s29, exec_lo
	v_and_b32_e32 v11, 0x7f800000, v10
	v_cmpx_ne_u32_e32 0x7f800000, v11
	s_cbranch_execz .LBB4_6196
; %bb.6189:                             ;   in Loop: Header=BB4_5740 Depth=2
	v_mov_b32_e32 v63, 0
	s_mov_b32 s40, exec_lo
	v_cmpx_ne_u32_e32 0, v10
	s_cbranch_execz .LBB4_6195
; %bb.6190:                             ;   in Loop: Header=BB4_5740 Depth=2
	v_bfe_u32 v11, v10, 23, 8
	v_and_b32_e32 v12, 0x7fffff, v10
	v_sub_nc_u32_e32 v13, 0x78, v11
	v_cmp_gt_u32_e32 vcc_lo, 0x79, v11
	v_or_b32_e32 v63, 0x800000, v12
	v_cndmask_b32_e32 v13, 0, v13, vcc_lo
	v_cmp_eq_u32_e32 vcc_lo, 0, v11
	v_add_nc_u32_e32 v11, 0xffffff89, v11
	v_cndmask_b32_e64 v13, v13, 0x77, vcc_lo
	v_cndmask_b32_e32 v12, v63, v12, vcc_lo
	v_cndmask_b32_e64 v11, v11, 0xffffff8a, vcc_lo
	v_lshl_add_u32 v63, 0x100000, v13, -1
	v_lshrrev_b32_e32 v72, v13, v12
	v_lshlrev_b32_e64 v74, v13, 0x80000
	v_add_nc_u32_e32 v13, v13, v11
	v_and_b32_e32 v12, v63, v12
	v_bfe_u32 v73, v72, 20, 1
	v_cmp_eq_u32_e64 s13, v12, v74
	v_add_nc_u32_e32 v63, -1, v73
	v_cndmask_b32_e64 v12, 0, v63, s13
	v_lshrrev_b32_e32 v63, 23, v72
	s_mov_b32 s13, exec_lo
	v_add_nc_u32_e32 v12, v12, v72
	v_xor_b32_e32 v63, 1, v63
	v_and_b32_e32 v11, 0xfffff, v12
	v_add_nc_u32_e32 v12, v11, v72
                                        ; implicit-def: $vgpr11
	v_cmpx_ne_u32_e64 v13, v63
	s_xor_b32 s13, exec_lo, s13
; %bb.6191:                             ;   in Loop: Header=BB4_5740 Depth=2
	v_cmp_lt_u32_e32 vcc_lo, 0xffffff, v12
	v_sub_nc_u32_e32 v11, v13, v63
	v_cndmask_b32_e64 v13, 0, 1, vcc_lo
	v_add_co_ci_u32_e64 v11, null, 0, v11, vcc_lo
	v_lshrrev_b32_e32 v12, v13, v12
; %bb.6192:                             ;   in Loop: Header=BB4_5740 Depth=2
	s_andn2_saveexec_b32 s13, s13
; %bb.6193:                             ;   in Loop: Header=BB4_5740 Depth=2
	v_bfe_u32 v11, v12, 23, 1
; %bb.6194:                             ;   in Loop: Header=BB4_5740 Depth=2
	s_or_b32 exec_lo, exec_lo, s13
	v_lshrrev_b32_e32 v12, 20, v12
	v_min_i32_e32 v13, 15, v11
	v_cmp_gt_i32_e32 vcc_lo, 16, v11
	v_and_b32_sdwa v10, v10, v82 dst_sel:DWORD dst_unused:UNUSED_PAD src0_sel:BYTE_3 src1_sel:DWORD
	v_lshlrev_b32_e32 v13, 3, v13
	v_cndmask_b32_e32 v12, 7, v12, vcc_lo
	v_and_b32_e32 v13, 0xf8, v13
	v_and_b32_e32 v63, 7, v12
	v_or_b32_e32 v11, v11, v12
	v_or3_b32 v10, v10, v13, v63
	v_cmp_ne_u32_e32 vcc_lo, 0, v11
	v_lshlrev_b32_e32 v10, 8, v10
	v_cndmask_b32_e32 v63, 0, v10, vcc_lo
.LBB4_6195:                             ;   in Loop: Header=BB4_5740 Depth=2
	s_or_b32 exec_lo, exec_lo, s40
.LBB4_6196:                             ;   in Loop: Header=BB4_5740 Depth=2
	s_or_b32 exec_lo, exec_lo, s29
	global_load_dwordx4 v[10:13], v[54:55], off offset:1024 slc
	s_mov_b32 s13, 0
	s_waitcnt vmcnt(0)
	v_cmp_gt_i16_sdwa s29, v10, v81 src0_sel:BYTE_0 src1_sel:DWORD
	s_and_saveexec_b32 s40, s29
	s_xor_b32 s29, exec_lo, s40
	s_cbranch_execz .LBB4_6706
; %bb.6197:                             ;   in Loop: Header=BB4_5740 Depth=2
	v_cmp_eq_u16_sdwa s41, v10, v82 src0_sel:BYTE_0 src1_sel:DWORD
	s_mov_b32 s13, -1
	s_and_saveexec_b32 s40, s41
; %bb.6198:                             ;   in Loop: Header=BB4_5740 Depth=2
	s_xor_b32 s13, exec_lo, -1
; %bb.6199:                             ;   in Loop: Header=BB4_5740 Depth=2
	s_or_b32 exec_lo, exec_lo, s40
	s_and_b32 s13, s13, exec_lo
	s_or_saveexec_b32 s29, s29
	v_mov_b32_e32 v72, 0x7f800001
	s_xor_b32 exec_lo, exec_lo, s29
	s_cbranch_execnz .LBB4_6707
.LBB4_6200:                             ;   in Loop: Header=BB4_5740 Depth=2
	s_or_b32 exec_lo, exec_lo, s29
	s_and_saveexec_b32 s29, s13
	s_cbranch_execz .LBB4_6202
.LBB4_6201:                             ;   in Loop: Header=BB4_5740 Depth=2
	v_and_b32_e32 v72, 7, v10
	v_bfe_u32 v75, v10, 3, 4
	v_lshlrev_b32_e32 v76, 24, v10
	v_ffbh_u32_e32 v73, v72
	v_cmp_eq_u32_e32 vcc_lo, 0, v75
	v_min_u32_e32 v73, 32, v73
	v_subrev_nc_u32_e32 v74, 28, v73
	v_sub_nc_u32_e32 v73, 29, v73
	v_lshlrev_b32_e32 v74, v74, v10
	v_cndmask_b32_e32 v73, v75, v73, vcc_lo
	v_and_b32_e32 v74, 7, v74
	v_lshl_add_u32 v73, v73, 23, 0x3b800000
	v_cndmask_b32_e32 v72, v72, v74, vcc_lo
	v_and_b32_e32 v74, 0x80000000, v76
	v_lshlrev_b32_e32 v72, 20, v72
	v_or3_b32 v72, v74, v73, v72
.LBB4_6202:                             ;   in Loop: Header=BB4_5740 Depth=2
	s_or_b32 exec_lo, exec_lo, s29
	v_mul_f32_e32 v73, s28, v72
	v_and_b32_e32 v72, 0x7f800000, v73
	v_cmp_ne_u32_e32 vcc_lo, 0x7f800000, v72
	v_mov_b32_e32 v72, 0x80
	s_and_saveexec_b32 s29, vcc_lo
	s_cbranch_execz .LBB4_6210
; %bb.6203:                             ;   in Loop: Header=BB4_5740 Depth=2
	v_mov_b32_e32 v72, 0
	s_mov_b32 s40, exec_lo
	v_cmpx_ne_u32_e32 0, v73
	s_cbranch_execz .LBB4_6209
; %bb.6204:                             ;   in Loop: Header=BB4_5740 Depth=2
	v_bfe_u32 v72, v73, 23, 8
	v_and_b32_e32 v74, 0x7fffff, v73
	v_sub_nc_u32_e32 v75, 0x78, v72
	v_cmp_gt_u32_e32 vcc_lo, 0x79, v72
	v_or_b32_e32 v76, 0x800000, v74
	v_cndmask_b32_e32 v75, 0, v75, vcc_lo
	v_cmp_eq_u32_e32 vcc_lo, 0, v72
	v_add_nc_u32_e32 v72, 0xffffff89, v72
	v_cndmask_b32_e64 v75, v75, 0x77, vcc_lo
	v_cndmask_b32_e32 v74, v76, v74, vcc_lo
	v_cndmask_b32_e64 v72, v72, 0xffffff8a, vcc_lo
	v_lshl_add_u32 v76, 0x100000, v75, -1
	v_lshrrev_b32_e32 v77, v75, v74
	v_lshlrev_b32_e64 v79, v75, 0x80000
	v_add_nc_u32_e32 v75, v75, v72
	v_and_b32_e32 v74, v76, v74
	v_bfe_u32 v78, v77, 20, 1
	v_cmp_eq_u32_e64 s13, v74, v79
	v_add_nc_u32_e32 v76, -1, v78
	v_cndmask_b32_e64 v74, 0, v76, s13
	v_lshrrev_b32_e32 v76, 23, v77
	s_mov_b32 s13, exec_lo
	v_add_nc_u32_e32 v74, v74, v77
	v_xor_b32_e32 v76, 1, v76
	v_and_b32_e32 v72, 0xfffff, v74
	v_add_nc_u32_e32 v74, v72, v77
                                        ; implicit-def: $vgpr72
	v_cmpx_ne_u32_e64 v75, v76
	s_xor_b32 s13, exec_lo, s13
; %bb.6205:                             ;   in Loop: Header=BB4_5740 Depth=2
	v_cmp_lt_u32_e32 vcc_lo, 0xffffff, v74
	v_sub_nc_u32_e32 v72, v75, v76
	v_cndmask_b32_e64 v75, 0, 1, vcc_lo
	v_add_co_ci_u32_e64 v72, null, 0, v72, vcc_lo
	v_lshrrev_b32_e32 v74, v75, v74
; %bb.6206:                             ;   in Loop: Header=BB4_5740 Depth=2
	s_andn2_saveexec_b32 s13, s13
; %bb.6207:                             ;   in Loop: Header=BB4_5740 Depth=2
	v_bfe_u32 v72, v74, 23, 1
; %bb.6208:                             ;   in Loop: Header=BB4_5740 Depth=2
	s_or_b32 exec_lo, exec_lo, s13
	v_lshrrev_b32_e32 v74, 20, v74
	v_min_i32_e32 v75, 15, v72
	v_cmp_gt_i32_e32 vcc_lo, 16, v72
	v_and_b32_sdwa v73, v73, v82 dst_sel:DWORD dst_unused:UNUSED_PAD src0_sel:BYTE_3 src1_sel:DWORD
	v_lshlrev_b32_e32 v75, 3, v75
	v_cndmask_b32_e32 v74, 7, v74, vcc_lo
	v_and_b32_e32 v75, 0xf8, v75
	v_and_b32_e32 v76, 7, v74
	v_or_b32_e32 v72, v72, v74
	v_or3_b32 v73, v75, v73, v76
	v_cmp_ne_u32_e32 vcc_lo, 0, v72
	v_cndmask_b32_e32 v72, 0, v73, vcc_lo
.LBB4_6209:                             ;   in Loop: Header=BB4_5740 Depth=2
	s_or_b32 exec_lo, exec_lo, s40
.LBB4_6210:                             ;   in Loop: Header=BB4_5740 Depth=2
	s_or_b32 exec_lo, exec_lo, s29
	v_cmp_gt_i16_sdwa s29, v10, v81 src0_sel:BYTE_1 src1_sel:DWORD
	s_mov_b32 s13, 0
	s_and_saveexec_b32 s40, s29
	s_xor_b32 s29, exec_lo, s40
	s_cbranch_execz .LBB4_6708
; %bb.6211:                             ;   in Loop: Header=BB4_5740 Depth=2
	v_cmp_eq_u16_sdwa s41, v10, v82 src0_sel:BYTE_1 src1_sel:DWORD
	s_mov_b32 s13, -1
	s_and_saveexec_b32 s40, s41
; %bb.6212:                             ;   in Loop: Header=BB4_5740 Depth=2
	s_xor_b32 s13, exec_lo, -1
; %bb.6213:                             ;   in Loop: Header=BB4_5740 Depth=2
	s_or_b32 exec_lo, exec_lo, s40
	s_and_b32 s13, s13, exec_lo
	s_or_saveexec_b32 s29, s29
	v_mov_b32_e32 v73, 0x7f800001
	s_xor_b32 exec_lo, exec_lo, s29
	s_cbranch_execnz .LBB4_6709
.LBB4_6214:                             ;   in Loop: Header=BB4_5740 Depth=2
	s_or_b32 exec_lo, exec_lo, s29
	s_and_saveexec_b32 s29, s13
	s_cbranch_execz .LBB4_6216
.LBB4_6215:                             ;   in Loop: Header=BB4_5740 Depth=2
	v_and_b32_sdwa v73, v83, v10 dst_sel:DWORD dst_unused:UNUSED_PAD src0_sel:DWORD src1_sel:BYTE_1
	v_and_b32_e32 v74, 7, v73
	v_bfe_u32 v77, v73, 3, 4
	v_ffbh_u32_e32 v75, v74
	v_cmp_eq_u32_e32 vcc_lo, 0, v77
	v_min_u32_e32 v75, 32, v75
	v_subrev_nc_u32_e32 v76, 28, v75
	v_sub_nc_u32_e32 v75, 29, v75
	v_lshlrev_b32_e32 v73, v76, v73
	v_lshlrev_b32_sdwa v76, v84, v10 dst_sel:DWORD dst_unused:UNUSED_PAD src0_sel:DWORD src1_sel:BYTE_1
	v_cndmask_b32_e32 v75, v77, v75, vcc_lo
	v_and_b32_e32 v73, 7, v73
	v_lshl_add_u32 v75, v75, 23, 0x3b800000
	v_cndmask_b32_e32 v73, v74, v73, vcc_lo
	v_and_b32_e32 v74, 0x80000000, v76
	v_lshlrev_b32_e32 v73, 20, v73
	v_or3_b32 v73, v74, v75, v73
.LBB4_6216:                             ;   in Loop: Header=BB4_5740 Depth=2
	s_or_b32 exec_lo, exec_lo, s29
	v_mul_f32_e32 v74, s28, v73
	v_and_b32_e32 v73, 0x7f800000, v74
	v_cmp_ne_u32_e32 vcc_lo, 0x7f800000, v73
	v_mov_b32_e32 v73, 0x8000
	s_and_saveexec_b32 s29, vcc_lo
	s_cbranch_execz .LBB4_6224
; %bb.6217:                             ;   in Loop: Header=BB4_5740 Depth=2
	v_mov_b32_e32 v73, 0
	s_mov_b32 s40, exec_lo
	v_cmpx_ne_u32_e32 0, v74
	s_cbranch_execz .LBB4_6223
; %bb.6218:                             ;   in Loop: Header=BB4_5740 Depth=2
	v_bfe_u32 v73, v74, 23, 8
	v_and_b32_e32 v75, 0x7fffff, v74
	v_sub_nc_u32_e32 v76, 0x78, v73
	v_cmp_gt_u32_e32 vcc_lo, 0x79, v73
	v_or_b32_e32 v77, 0x800000, v75
	v_cndmask_b32_e32 v76, 0, v76, vcc_lo
	v_cmp_eq_u32_e32 vcc_lo, 0, v73
	v_add_nc_u32_e32 v73, 0xffffff89, v73
	v_cndmask_b32_e64 v76, v76, 0x77, vcc_lo
	v_cndmask_b32_e32 v75, v77, v75, vcc_lo
	v_cndmask_b32_e64 v73, v73, 0xffffff8a, vcc_lo
	v_lshl_add_u32 v77, 0x100000, v76, -1
	v_lshrrev_b32_e32 v78, v76, v75
	v_lshlrev_b32_e64 v88, v76, 0x80000
	v_add_nc_u32_e32 v76, v76, v73
	v_and_b32_e32 v75, v77, v75
	v_bfe_u32 v79, v78, 20, 1
	v_cmp_eq_u32_e64 s13, v75, v88
	v_add_nc_u32_e32 v77, -1, v79
	v_cndmask_b32_e64 v75, 0, v77, s13
	v_lshrrev_b32_e32 v77, 23, v78
	s_mov_b32 s13, exec_lo
	v_add_nc_u32_e32 v75, v75, v78
	v_xor_b32_e32 v77, 1, v77
	v_and_b32_e32 v73, 0xfffff, v75
	v_add_nc_u32_e32 v75, v73, v78
                                        ; implicit-def: $vgpr73
	v_cmpx_ne_u32_e64 v76, v77
	s_xor_b32 s13, exec_lo, s13
; %bb.6219:                             ;   in Loop: Header=BB4_5740 Depth=2
	v_cmp_lt_u32_e32 vcc_lo, 0xffffff, v75
	v_sub_nc_u32_e32 v73, v76, v77
	v_cndmask_b32_e64 v76, 0, 1, vcc_lo
	v_add_co_ci_u32_e64 v73, null, 0, v73, vcc_lo
	v_lshrrev_b32_e32 v75, v76, v75
; %bb.6220:                             ;   in Loop: Header=BB4_5740 Depth=2
	s_andn2_saveexec_b32 s13, s13
; %bb.6221:                             ;   in Loop: Header=BB4_5740 Depth=2
	v_bfe_u32 v73, v75, 23, 1
; %bb.6222:                             ;   in Loop: Header=BB4_5740 Depth=2
	s_or_b32 exec_lo, exec_lo, s13
	v_lshrrev_b32_e32 v75, 20, v75
	v_min_i32_e32 v76, 15, v73
	v_cmp_gt_i32_e32 vcc_lo, 16, v73
	v_and_b32_sdwa v74, v74, v82 dst_sel:DWORD dst_unused:UNUSED_PAD src0_sel:BYTE_3 src1_sel:DWORD
	v_lshlrev_b32_e32 v76, 3, v76
	v_cndmask_b32_e32 v75, 7, v75, vcc_lo
	v_and_b32_e32 v76, 0xf8, v76
	v_and_b32_e32 v77, 7, v75
	v_or_b32_e32 v73, v73, v75
	v_or3_b32 v74, v74, v76, v77
	v_cmp_ne_u32_e32 vcc_lo, 0, v73
	v_lshlrev_b32_e32 v74, 8, v74
	v_cndmask_b32_e32 v73, 0, v74, vcc_lo
.LBB4_6223:                             ;   in Loop: Header=BB4_5740 Depth=2
	s_or_b32 exec_lo, exec_lo, s40
.LBB4_6224:                             ;   in Loop: Header=BB4_5740 Depth=2
	s_or_b32 exec_lo, exec_lo, s29
	v_and_b32_sdwa v75, v10, v85 dst_sel:DWORD dst_unused:UNUSED_PAD src0_sel:WORD_1 src1_sel:DWORD
	s_mov_b32 s13, 0
	s_mov_b32 s29, exec_lo
	v_cmpx_lt_i16_e32 0x7f, v75
	s_xor_b32 s29, exec_lo, s29
	s_cbranch_execz .LBB4_6710
; %bb.6225:                             ;   in Loop: Header=BB4_5740 Depth=2
	s_mov_b32 s13, -1
	s_mov_b32 s40, exec_lo
	v_cmpx_eq_u16_e32 0x80, v75
; %bb.6226:                             ;   in Loop: Header=BB4_5740 Depth=2
	s_xor_b32 s13, exec_lo, -1
; %bb.6227:                             ;   in Loop: Header=BB4_5740 Depth=2
	s_or_b32 exec_lo, exec_lo, s40
	s_and_b32 s13, s13, exec_lo
                                        ; implicit-def: $vgpr75
	s_or_saveexec_b32 s29, s29
	v_mov_b32_e32 v74, 0x7f800001
	s_xor_b32 exec_lo, exec_lo, s29
	s_cbranch_execnz .LBB4_6711
.LBB4_6228:                             ;   in Loop: Header=BB4_5740 Depth=2
	s_or_b32 exec_lo, exec_lo, s29
	s_and_saveexec_b32 s29, s13
	s_cbranch_execz .LBB4_6230
.LBB4_6229:                             ;   in Loop: Header=BB4_5740 Depth=2
	v_bfe_u32 v74, v10, 16, 3
	v_bfe_u32 v77, v10, 19, 4
	v_lshlrev_b32_e32 v78, 8, v10
	v_ffbh_u32_e32 v75, v74
	v_cmp_eq_u32_e32 vcc_lo, 0, v77
	v_min_u32_e32 v75, 32, v75
	v_subrev_nc_u32_e32 v76, 28, v75
	v_sub_nc_u32_e32 v75, 29, v75
	v_lshlrev_b32_sdwa v76, v76, v10 dst_sel:DWORD dst_unused:UNUSED_PAD src0_sel:DWORD src1_sel:WORD_1
	v_cndmask_b32_e32 v75, v77, v75, vcc_lo
	v_and_b32_e32 v76, 7, v76
	v_lshl_add_u32 v75, v75, 23, 0x3b800000
	v_cndmask_b32_e32 v74, v74, v76, vcc_lo
	v_and_b32_e32 v76, 0x80000000, v78
	v_lshlrev_b32_e32 v74, 20, v74
	v_or3_b32 v74, v76, v75, v74
.LBB4_6230:                             ;   in Loop: Header=BB4_5740 Depth=2
	s_or_b32 exec_lo, exec_lo, s29
	v_mul_f32_e32 v75, s28, v74
	v_and_b32_e32 v74, 0x7f800000, v75
	v_cmp_ne_u32_e32 vcc_lo, 0x7f800000, v74
	v_mov_b32_e32 v74, 0x80
	s_and_saveexec_b32 s29, vcc_lo
	s_cbranch_execz .LBB4_6238
; %bb.6231:                             ;   in Loop: Header=BB4_5740 Depth=2
	v_mov_b32_e32 v74, 0
	s_mov_b32 s40, exec_lo
	v_cmpx_ne_u32_e32 0, v75
	s_cbranch_execz .LBB4_6237
; %bb.6232:                             ;   in Loop: Header=BB4_5740 Depth=2
	v_bfe_u32 v74, v75, 23, 8
	v_and_b32_e32 v76, 0x7fffff, v75
	v_sub_nc_u32_e32 v77, 0x78, v74
	v_cmp_gt_u32_e32 vcc_lo, 0x79, v74
	v_or_b32_e32 v78, 0x800000, v76
	v_cndmask_b32_e32 v77, 0, v77, vcc_lo
	v_cmp_eq_u32_e32 vcc_lo, 0, v74
	v_add_nc_u32_e32 v74, 0xffffff89, v74
	v_cndmask_b32_e64 v77, v77, 0x77, vcc_lo
	v_cndmask_b32_e32 v76, v78, v76, vcc_lo
	v_cndmask_b32_e64 v74, v74, 0xffffff8a, vcc_lo
	v_lshl_add_u32 v78, 0x100000, v77, -1
	v_lshrrev_b32_e32 v79, v77, v76
	v_lshlrev_b32_e64 v89, v77, 0x80000
	v_add_nc_u32_e32 v77, v77, v74
	v_and_b32_e32 v76, v78, v76
	v_bfe_u32 v88, v79, 20, 1
	v_cmp_eq_u32_e64 s13, v76, v89
	v_add_nc_u32_e32 v78, -1, v88
	v_cndmask_b32_e64 v76, 0, v78, s13
	v_lshrrev_b32_e32 v78, 23, v79
	s_mov_b32 s13, exec_lo
	v_add_nc_u32_e32 v76, v76, v79
	v_xor_b32_e32 v78, 1, v78
	v_and_b32_e32 v74, 0xfffff, v76
	v_add_nc_u32_e32 v76, v74, v79
                                        ; implicit-def: $vgpr74
	v_cmpx_ne_u32_e64 v77, v78
	s_xor_b32 s13, exec_lo, s13
; %bb.6233:                             ;   in Loop: Header=BB4_5740 Depth=2
	v_cmp_lt_u32_e32 vcc_lo, 0xffffff, v76
	v_sub_nc_u32_e32 v74, v77, v78
	v_cndmask_b32_e64 v77, 0, 1, vcc_lo
	v_add_co_ci_u32_e64 v74, null, 0, v74, vcc_lo
	v_lshrrev_b32_e32 v76, v77, v76
; %bb.6234:                             ;   in Loop: Header=BB4_5740 Depth=2
	s_andn2_saveexec_b32 s13, s13
; %bb.6235:                             ;   in Loop: Header=BB4_5740 Depth=2
	v_bfe_u32 v74, v76, 23, 1
; %bb.6236:                             ;   in Loop: Header=BB4_5740 Depth=2
	s_or_b32 exec_lo, exec_lo, s13
	v_lshrrev_b32_e32 v76, 20, v76
	v_min_i32_e32 v77, 15, v74
	v_cmp_gt_i32_e32 vcc_lo, 16, v74
	v_and_b32_sdwa v75, v75, v82 dst_sel:DWORD dst_unused:UNUSED_PAD src0_sel:BYTE_3 src1_sel:DWORD
	v_lshlrev_b32_e32 v77, 3, v77
	v_cndmask_b32_e32 v76, 7, v76, vcc_lo
	v_and_b32_e32 v77, 0xf8, v77
	v_and_b32_e32 v78, 7, v76
	v_or_b32_e32 v74, v74, v76
	v_or3_b32 v75, v77, v75, v78
	v_cmp_ne_u32_e32 vcc_lo, 0, v74
	v_cndmask_b32_e32 v74, 0, v75, vcc_lo
.LBB4_6237:                             ;   in Loop: Header=BB4_5740 Depth=2
	s_or_b32 exec_lo, exec_lo, s40
.LBB4_6238:                             ;   in Loop: Header=BB4_5740 Depth=2
	s_or_b32 exec_lo, exec_lo, s29
	v_cmp_gt_i16_sdwa s29, v10, v81 src0_sel:BYTE_3 src1_sel:DWORD
	s_mov_b32 s13, 0
	s_and_saveexec_b32 s40, s29
	s_xor_b32 s29, exec_lo, s40
	s_cbranch_execz .LBB4_6712
; %bb.6239:                             ;   in Loop: Header=BB4_5740 Depth=2
	v_cmp_eq_u16_sdwa s41, v10, v82 src0_sel:BYTE_3 src1_sel:DWORD
	s_mov_b32 s13, -1
	s_and_saveexec_b32 s40, s41
; %bb.6240:                             ;   in Loop: Header=BB4_5740 Depth=2
	s_xor_b32 s13, exec_lo, -1
; %bb.6241:                             ;   in Loop: Header=BB4_5740 Depth=2
	s_or_b32 exec_lo, exec_lo, s40
	s_and_b32 s13, s13, exec_lo
	s_or_saveexec_b32 s29, s29
	v_mov_b32_e32 v75, 0x7f800001
	s_xor_b32 exec_lo, exec_lo, s29
	s_cbranch_execnz .LBB4_6713
.LBB4_6242:                             ;   in Loop: Header=BB4_5740 Depth=2
	s_or_b32 exec_lo, exec_lo, s29
	s_and_saveexec_b32 s29, s13
	s_cbranch_execz .LBB4_6244
.LBB4_6243:                             ;   in Loop: Header=BB4_5740 Depth=2
	v_bfe_u32 v75, v10, 24, 3
	v_bfe_u32 v78, v10, 27, 4
	v_ffbh_u32_e32 v76, v75
	v_cmp_eq_u32_e32 vcc_lo, 0, v78
	v_min_u32_e32 v76, 32, v76
	v_subrev_nc_u32_e32 v77, 28, v76
	v_sub_nc_u32_e32 v76, 29, v76
	v_lshlrev_b32_sdwa v77, v77, v10 dst_sel:DWORD dst_unused:UNUSED_PAD src0_sel:DWORD src1_sel:BYTE_3
	v_cndmask_b32_e32 v76, v78, v76, vcc_lo
	v_and_b32_e32 v10, 0x80000000, v10
	v_and_b32_e32 v77, 7, v77
	v_lshl_add_u32 v76, v76, 23, 0x3b800000
	v_cndmask_b32_e32 v75, v75, v77, vcc_lo
	v_lshlrev_b32_e32 v75, 20, v75
	v_or3_b32 v75, v10, v76, v75
.LBB4_6244:                             ;   in Loop: Header=BB4_5740 Depth=2
	s_or_b32 exec_lo, exec_lo, s29
	v_mul_f32_e32 v10, s28, v75
	v_and_b32_e32 v75, 0x7f800000, v10
	v_cmp_ne_u32_e32 vcc_lo, 0x7f800000, v75
	v_mov_b32_e32 v75, 0x8000
	s_and_saveexec_b32 s29, vcc_lo
	s_cbranch_execz .LBB4_6252
; %bb.6245:                             ;   in Loop: Header=BB4_5740 Depth=2
	v_mov_b32_e32 v75, 0
	s_mov_b32 s40, exec_lo
	v_cmpx_ne_u32_e32 0, v10
	s_cbranch_execz .LBB4_6251
; %bb.6246:                             ;   in Loop: Header=BB4_5740 Depth=2
	v_bfe_u32 v75, v10, 23, 8
	v_and_b32_e32 v76, 0x7fffff, v10
	v_sub_nc_u32_e32 v77, 0x78, v75
	v_cmp_gt_u32_e32 vcc_lo, 0x79, v75
	v_or_b32_e32 v78, 0x800000, v76
	v_cndmask_b32_e32 v77, 0, v77, vcc_lo
	v_cmp_eq_u32_e32 vcc_lo, 0, v75
	v_add_nc_u32_e32 v75, 0xffffff89, v75
	v_cndmask_b32_e64 v77, v77, 0x77, vcc_lo
	v_cndmask_b32_e32 v76, v78, v76, vcc_lo
	v_cndmask_b32_e64 v75, v75, 0xffffff8a, vcc_lo
	v_lshl_add_u32 v78, 0x100000, v77, -1
	v_lshrrev_b32_e32 v79, v77, v76
	v_lshlrev_b32_e64 v89, v77, 0x80000
	v_add_nc_u32_e32 v77, v77, v75
	v_and_b32_e32 v76, v78, v76
	v_bfe_u32 v88, v79, 20, 1
	v_cmp_eq_u32_e64 s13, v76, v89
	v_add_nc_u32_e32 v78, -1, v88
	v_cndmask_b32_e64 v76, 0, v78, s13
	v_lshrrev_b32_e32 v78, 23, v79
	s_mov_b32 s13, exec_lo
	v_add_nc_u32_e32 v76, v76, v79
	v_xor_b32_e32 v78, 1, v78
	v_and_b32_e32 v75, 0xfffff, v76
	v_add_nc_u32_e32 v76, v75, v79
                                        ; implicit-def: $vgpr75
	v_cmpx_ne_u32_e64 v77, v78
	s_xor_b32 s13, exec_lo, s13
; %bb.6247:                             ;   in Loop: Header=BB4_5740 Depth=2
	v_cmp_lt_u32_e32 vcc_lo, 0xffffff, v76
	v_sub_nc_u32_e32 v75, v77, v78
	v_cndmask_b32_e64 v77, 0, 1, vcc_lo
	v_add_co_ci_u32_e64 v75, null, 0, v75, vcc_lo
	v_lshrrev_b32_e32 v76, v77, v76
; %bb.6248:                             ;   in Loop: Header=BB4_5740 Depth=2
	s_andn2_saveexec_b32 s13, s13
; %bb.6249:                             ;   in Loop: Header=BB4_5740 Depth=2
	v_bfe_u32 v75, v76, 23, 1
; %bb.6250:                             ;   in Loop: Header=BB4_5740 Depth=2
	s_or_b32 exec_lo, exec_lo, s13
	v_lshrrev_b32_e32 v76, 20, v76
	v_min_i32_e32 v77, 15, v75
	v_cmp_gt_i32_e32 vcc_lo, 16, v75
	v_and_b32_sdwa v10, v10, v82 dst_sel:DWORD dst_unused:UNUSED_PAD src0_sel:BYTE_3 src1_sel:DWORD
	v_lshlrev_b32_e32 v77, 3, v77
	v_cndmask_b32_e32 v76, 7, v76, vcc_lo
	v_and_b32_e32 v77, 0xf8, v77
	v_and_b32_e32 v78, 7, v76
	v_or_b32_e32 v75, v75, v76
	v_or3_b32 v10, v10, v77, v78
	v_cmp_ne_u32_e32 vcc_lo, 0, v75
	v_lshlrev_b32_e32 v10, 8, v10
	v_cndmask_b32_e32 v75, 0, v10, vcc_lo
.LBB4_6251:                             ;   in Loop: Header=BB4_5740 Depth=2
	s_or_b32 exec_lo, exec_lo, s40
.LBB4_6252:                             ;   in Loop: Header=BB4_5740 Depth=2
	s_or_b32 exec_lo, exec_lo, s29
	v_cmp_gt_i16_sdwa s29, v11, v81 src0_sel:BYTE_0 src1_sel:DWORD
	s_mov_b32 s13, 0
	s_and_saveexec_b32 s40, s29
	s_xor_b32 s29, exec_lo, s40
	s_cbranch_execz .LBB4_6714
; %bb.6253:                             ;   in Loop: Header=BB4_5740 Depth=2
	v_cmp_eq_u16_sdwa s41, v11, v82 src0_sel:BYTE_0 src1_sel:DWORD
	s_mov_b32 s13, -1
	s_and_saveexec_b32 s40, s41
; %bb.6254:                             ;   in Loop: Header=BB4_5740 Depth=2
	s_xor_b32 s13, exec_lo, -1
; %bb.6255:                             ;   in Loop: Header=BB4_5740 Depth=2
	s_or_b32 exec_lo, exec_lo, s40
	s_and_b32 s13, s13, exec_lo
	s_or_saveexec_b32 s29, s29
	v_mov_b32_e32 v10, 0x7f800001
	s_xor_b32 exec_lo, exec_lo, s29
	s_cbranch_execnz .LBB4_6715
.LBB4_6256:                             ;   in Loop: Header=BB4_5740 Depth=2
	s_or_b32 exec_lo, exec_lo, s29
	s_and_saveexec_b32 s29, s13
	s_cbranch_execz .LBB4_6258
.LBB4_6257:                             ;   in Loop: Header=BB4_5740 Depth=2
	v_and_b32_e32 v10, 7, v11
	v_bfe_u32 v78, v11, 3, 4
	v_lshlrev_b32_e32 v79, 24, v11
	v_ffbh_u32_e32 v76, v10
	v_cmp_eq_u32_e32 vcc_lo, 0, v78
	v_min_u32_e32 v76, 32, v76
	v_subrev_nc_u32_e32 v77, 28, v76
	v_sub_nc_u32_e32 v76, 29, v76
	v_lshlrev_b32_e32 v77, v77, v11
	v_cndmask_b32_e32 v76, v78, v76, vcc_lo
	v_and_b32_e32 v77, 7, v77
	v_lshl_add_u32 v76, v76, 23, 0x3b800000
	v_cndmask_b32_e32 v10, v10, v77, vcc_lo
	v_and_b32_e32 v77, 0x80000000, v79
	v_lshlrev_b32_e32 v10, 20, v10
	v_or3_b32 v10, v77, v76, v10
.LBB4_6258:                             ;   in Loop: Header=BB4_5740 Depth=2
	s_or_b32 exec_lo, exec_lo, s29
	v_mul_f32_e32 v10, s28, v10
	v_and_b32_e32 v76, 0x7f800000, v10
	v_cmp_ne_u32_e32 vcc_lo, 0x7f800000, v76
	v_mov_b32_e32 v76, 0x80
	s_and_saveexec_b32 s29, vcc_lo
	s_cbranch_execz .LBB4_6266
; %bb.6259:                             ;   in Loop: Header=BB4_5740 Depth=2
	v_mov_b32_e32 v76, 0
	s_mov_b32 s40, exec_lo
	v_cmpx_ne_u32_e32 0, v10
	s_cbranch_execz .LBB4_6265
; %bb.6260:                             ;   in Loop: Header=BB4_5740 Depth=2
	v_bfe_u32 v76, v10, 23, 8
	v_and_b32_e32 v77, 0x7fffff, v10
	v_sub_nc_u32_e32 v78, 0x78, v76
	v_cmp_gt_u32_e32 vcc_lo, 0x79, v76
	v_or_b32_e32 v79, 0x800000, v77
	v_cndmask_b32_e32 v78, 0, v78, vcc_lo
	v_cmp_eq_u32_e32 vcc_lo, 0, v76
	v_add_nc_u32_e32 v76, 0xffffff89, v76
	v_cndmask_b32_e64 v78, v78, 0x77, vcc_lo
	v_cndmask_b32_e32 v77, v79, v77, vcc_lo
	v_cndmask_b32_e64 v76, v76, 0xffffff8a, vcc_lo
	v_lshl_add_u32 v79, 0x100000, v78, -1
	v_lshrrev_b32_e32 v88, v78, v77
	v_lshlrev_b32_e64 v90, v78, 0x80000
	v_add_nc_u32_e32 v78, v78, v76
	v_and_b32_e32 v77, v79, v77
	v_bfe_u32 v89, v88, 20, 1
	v_cmp_eq_u32_e64 s13, v77, v90
	v_add_nc_u32_e32 v79, -1, v89
	v_cndmask_b32_e64 v77, 0, v79, s13
	v_lshrrev_b32_e32 v79, 23, v88
	s_mov_b32 s13, exec_lo
	v_add_nc_u32_e32 v77, v77, v88
	v_xor_b32_e32 v79, 1, v79
	v_and_b32_e32 v76, 0xfffff, v77
	v_add_nc_u32_e32 v77, v76, v88
                                        ; implicit-def: $vgpr76
	v_cmpx_ne_u32_e64 v78, v79
	s_xor_b32 s13, exec_lo, s13
; %bb.6261:                             ;   in Loop: Header=BB4_5740 Depth=2
	v_cmp_lt_u32_e32 vcc_lo, 0xffffff, v77
	v_sub_nc_u32_e32 v76, v78, v79
	v_cndmask_b32_e64 v78, 0, 1, vcc_lo
	v_add_co_ci_u32_e64 v76, null, 0, v76, vcc_lo
	v_lshrrev_b32_e32 v77, v78, v77
; %bb.6262:                             ;   in Loop: Header=BB4_5740 Depth=2
	s_andn2_saveexec_b32 s13, s13
; %bb.6263:                             ;   in Loop: Header=BB4_5740 Depth=2
	v_bfe_u32 v76, v77, 23, 1
; %bb.6264:                             ;   in Loop: Header=BB4_5740 Depth=2
	s_or_b32 exec_lo, exec_lo, s13
	v_lshrrev_b32_e32 v77, 20, v77
	v_min_i32_e32 v78, 15, v76
	v_cmp_gt_i32_e32 vcc_lo, 16, v76
	v_and_b32_sdwa v10, v10, v82 dst_sel:DWORD dst_unused:UNUSED_PAD src0_sel:BYTE_3 src1_sel:DWORD
	v_lshlrev_b32_e32 v78, 3, v78
	v_cndmask_b32_e32 v77, 7, v77, vcc_lo
	v_and_b32_e32 v78, 0xf8, v78
	v_and_b32_e32 v79, 7, v77
	v_or_b32_e32 v76, v76, v77
	v_or3_b32 v10, v78, v10, v79
	v_cmp_ne_u32_e32 vcc_lo, 0, v76
	v_cndmask_b32_e32 v76, 0, v10, vcc_lo
.LBB4_6265:                             ;   in Loop: Header=BB4_5740 Depth=2
	s_or_b32 exec_lo, exec_lo, s40
.LBB4_6266:                             ;   in Loop: Header=BB4_5740 Depth=2
	s_or_b32 exec_lo, exec_lo, s29
	v_cmp_gt_i16_sdwa s29, v11, v81 src0_sel:BYTE_1 src1_sel:DWORD
	s_mov_b32 s13, 0
	s_and_saveexec_b32 s40, s29
	s_xor_b32 s29, exec_lo, s40
	s_cbranch_execz .LBB4_6716
; %bb.6267:                             ;   in Loop: Header=BB4_5740 Depth=2
	v_cmp_eq_u16_sdwa s41, v11, v82 src0_sel:BYTE_1 src1_sel:DWORD
	s_mov_b32 s13, -1
	s_and_saveexec_b32 s40, s41
; %bb.6268:                             ;   in Loop: Header=BB4_5740 Depth=2
	s_xor_b32 s13, exec_lo, -1
; %bb.6269:                             ;   in Loop: Header=BB4_5740 Depth=2
	s_or_b32 exec_lo, exec_lo, s40
	s_and_b32 s13, s13, exec_lo
	s_or_saveexec_b32 s29, s29
	v_mov_b32_e32 v10, 0x7f800001
	s_xor_b32 exec_lo, exec_lo, s29
	s_cbranch_execnz .LBB4_6717
.LBB4_6270:                             ;   in Loop: Header=BB4_5740 Depth=2
	s_or_b32 exec_lo, exec_lo, s29
	s_and_saveexec_b32 s29, s13
	s_cbranch_execz .LBB4_6272
.LBB4_6271:                             ;   in Loop: Header=BB4_5740 Depth=2
	v_and_b32_sdwa v10, v83, v11 dst_sel:DWORD dst_unused:UNUSED_PAD src0_sel:DWORD src1_sel:BYTE_1
	v_and_b32_e32 v77, 7, v10
	v_bfe_u32 v88, v10, 3, 4
	v_ffbh_u32_e32 v78, v77
	v_cmp_eq_u32_e32 vcc_lo, 0, v88
	v_min_u32_e32 v78, 32, v78
	v_subrev_nc_u32_e32 v79, 28, v78
	v_sub_nc_u32_e32 v78, 29, v78
	v_lshlrev_b32_e32 v10, v79, v10
	v_lshlrev_b32_sdwa v79, v84, v11 dst_sel:DWORD dst_unused:UNUSED_PAD src0_sel:DWORD src1_sel:BYTE_1
	v_cndmask_b32_e32 v78, v88, v78, vcc_lo
	v_and_b32_e32 v10, 7, v10
	v_lshl_add_u32 v78, v78, 23, 0x3b800000
	v_cndmask_b32_e32 v10, v77, v10, vcc_lo
	v_and_b32_e32 v77, 0x80000000, v79
	v_lshlrev_b32_e32 v10, 20, v10
	v_or3_b32 v10, v77, v78, v10
.LBB4_6272:                             ;   in Loop: Header=BB4_5740 Depth=2
	s_or_b32 exec_lo, exec_lo, s29
	v_mul_f32_e32 v10, s28, v10
	v_and_b32_e32 v77, 0x7f800000, v10
	v_cmp_ne_u32_e32 vcc_lo, 0x7f800000, v77
	v_mov_b32_e32 v77, 0x8000
	s_and_saveexec_b32 s29, vcc_lo
	s_cbranch_execz .LBB4_6280
; %bb.6273:                             ;   in Loop: Header=BB4_5740 Depth=2
	v_mov_b32_e32 v77, 0
	s_mov_b32 s40, exec_lo
	v_cmpx_ne_u32_e32 0, v10
	s_cbranch_execz .LBB4_6279
; %bb.6274:                             ;   in Loop: Header=BB4_5740 Depth=2
	v_bfe_u32 v77, v10, 23, 8
	v_and_b32_e32 v78, 0x7fffff, v10
	v_sub_nc_u32_e32 v79, 0x78, v77
	v_cmp_gt_u32_e32 vcc_lo, 0x79, v77
	v_or_b32_e32 v88, 0x800000, v78
	v_cndmask_b32_e32 v79, 0, v79, vcc_lo
	v_cmp_eq_u32_e32 vcc_lo, 0, v77
	v_add_nc_u32_e32 v77, 0xffffff89, v77
	v_cndmask_b32_e64 v79, v79, 0x77, vcc_lo
	v_cndmask_b32_e32 v78, v88, v78, vcc_lo
	v_cndmask_b32_e64 v77, v77, 0xffffff8a, vcc_lo
	v_lshl_add_u32 v88, 0x100000, v79, -1
	v_lshrrev_b32_e32 v89, v79, v78
	v_lshlrev_b32_e64 v91, v79, 0x80000
	v_add_nc_u32_e32 v79, v79, v77
	v_and_b32_e32 v78, v88, v78
	v_bfe_u32 v90, v89, 20, 1
	v_cmp_eq_u32_e64 s13, v78, v91
	v_add_nc_u32_e32 v88, -1, v90
	v_cndmask_b32_e64 v78, 0, v88, s13
	v_lshrrev_b32_e32 v88, 23, v89
	s_mov_b32 s13, exec_lo
	v_add_nc_u32_e32 v78, v78, v89
	v_xor_b32_e32 v88, 1, v88
	v_and_b32_e32 v77, 0xfffff, v78
	v_add_nc_u32_e32 v78, v77, v89
                                        ; implicit-def: $vgpr77
	v_cmpx_ne_u32_e64 v79, v88
	s_xor_b32 s13, exec_lo, s13
; %bb.6275:                             ;   in Loop: Header=BB4_5740 Depth=2
	v_cmp_lt_u32_e32 vcc_lo, 0xffffff, v78
	v_sub_nc_u32_e32 v77, v79, v88
	v_cndmask_b32_e64 v79, 0, 1, vcc_lo
	v_add_co_ci_u32_e64 v77, null, 0, v77, vcc_lo
	v_lshrrev_b32_e32 v78, v79, v78
; %bb.6276:                             ;   in Loop: Header=BB4_5740 Depth=2
	s_andn2_saveexec_b32 s13, s13
; %bb.6277:                             ;   in Loop: Header=BB4_5740 Depth=2
	v_bfe_u32 v77, v78, 23, 1
; %bb.6278:                             ;   in Loop: Header=BB4_5740 Depth=2
	s_or_b32 exec_lo, exec_lo, s13
	v_lshrrev_b32_e32 v78, 20, v78
	v_min_i32_e32 v79, 15, v77
	v_cmp_gt_i32_e32 vcc_lo, 16, v77
	v_and_b32_sdwa v10, v10, v82 dst_sel:DWORD dst_unused:UNUSED_PAD src0_sel:BYTE_3 src1_sel:DWORD
	v_lshlrev_b32_e32 v79, 3, v79
	v_cndmask_b32_e32 v78, 7, v78, vcc_lo
	v_and_b32_e32 v79, 0xf8, v79
	v_and_b32_e32 v88, 7, v78
	v_or_b32_e32 v77, v77, v78
	v_or3_b32 v10, v10, v79, v88
	v_cmp_ne_u32_e32 vcc_lo, 0, v77
	v_lshlrev_b32_e32 v10, 8, v10
	v_cndmask_b32_e32 v77, 0, v10, vcc_lo
.LBB4_6279:                             ;   in Loop: Header=BB4_5740 Depth=2
	s_or_b32 exec_lo, exec_lo, s40
.LBB4_6280:                             ;   in Loop: Header=BB4_5740 Depth=2
	s_or_b32 exec_lo, exec_lo, s29
	v_and_b32_sdwa v78, v11, v85 dst_sel:DWORD dst_unused:UNUSED_PAD src0_sel:WORD_1 src1_sel:DWORD
	s_mov_b32 s13, 0
	s_mov_b32 s29, exec_lo
	v_cmpx_lt_i16_e32 0x7f, v78
	s_xor_b32 s29, exec_lo, s29
	s_cbranch_execz .LBB4_6718
; %bb.6281:                             ;   in Loop: Header=BB4_5740 Depth=2
	s_mov_b32 s13, -1
	s_mov_b32 s40, exec_lo
	v_cmpx_eq_u16_e32 0x80, v78
; %bb.6282:                             ;   in Loop: Header=BB4_5740 Depth=2
	s_xor_b32 s13, exec_lo, -1
; %bb.6283:                             ;   in Loop: Header=BB4_5740 Depth=2
	s_or_b32 exec_lo, exec_lo, s40
	s_and_b32 s13, s13, exec_lo
                                        ; implicit-def: $vgpr78
	s_or_saveexec_b32 s29, s29
	v_mov_b32_e32 v10, 0x7f800001
	s_xor_b32 exec_lo, exec_lo, s29
	s_cbranch_execnz .LBB4_6719
.LBB4_6284:                             ;   in Loop: Header=BB4_5740 Depth=2
	s_or_b32 exec_lo, exec_lo, s29
	s_and_saveexec_b32 s29, s13
	s_cbranch_execz .LBB4_6286
.LBB4_6285:                             ;   in Loop: Header=BB4_5740 Depth=2
	v_bfe_u32 v10, v11, 16, 3
	v_bfe_u32 v88, v11, 19, 4
	v_lshlrev_b32_e32 v89, 8, v11
	v_ffbh_u32_e32 v78, v10
	v_cmp_eq_u32_e32 vcc_lo, 0, v88
	v_min_u32_e32 v78, 32, v78
	v_subrev_nc_u32_e32 v79, 28, v78
	v_sub_nc_u32_e32 v78, 29, v78
	v_lshlrev_b32_sdwa v79, v79, v11 dst_sel:DWORD dst_unused:UNUSED_PAD src0_sel:DWORD src1_sel:WORD_1
	v_cndmask_b32_e32 v78, v88, v78, vcc_lo
	v_and_b32_e32 v79, 7, v79
	v_lshl_add_u32 v78, v78, 23, 0x3b800000
	v_cndmask_b32_e32 v10, v10, v79, vcc_lo
	v_and_b32_e32 v79, 0x80000000, v89
	v_lshlrev_b32_e32 v10, 20, v10
	v_or3_b32 v10, v79, v78, v10
.LBB4_6286:                             ;   in Loop: Header=BB4_5740 Depth=2
	s_or_b32 exec_lo, exec_lo, s29
	v_mul_f32_e32 v10, s28, v10
	v_and_b32_e32 v78, 0x7f800000, v10
	v_cmp_ne_u32_e32 vcc_lo, 0x7f800000, v78
	v_mov_b32_e32 v78, 0x80
	s_and_saveexec_b32 s29, vcc_lo
	s_cbranch_execz .LBB4_6294
; %bb.6287:                             ;   in Loop: Header=BB4_5740 Depth=2
	v_mov_b32_e32 v78, 0
	s_mov_b32 s40, exec_lo
	v_cmpx_ne_u32_e32 0, v10
	s_cbranch_execz .LBB4_6293
; %bb.6288:                             ;   in Loop: Header=BB4_5740 Depth=2
	v_bfe_u32 v78, v10, 23, 8
	v_and_b32_e32 v79, 0x7fffff, v10
	v_sub_nc_u32_e32 v88, 0x78, v78
	v_cmp_gt_u32_e32 vcc_lo, 0x79, v78
	v_or_b32_e32 v89, 0x800000, v79
	v_cndmask_b32_e32 v88, 0, v88, vcc_lo
	v_cmp_eq_u32_e32 vcc_lo, 0, v78
	v_add_nc_u32_e32 v78, 0xffffff89, v78
	v_cndmask_b32_e64 v88, v88, 0x77, vcc_lo
	v_cndmask_b32_e32 v79, v89, v79, vcc_lo
	v_cndmask_b32_e64 v78, v78, 0xffffff8a, vcc_lo
	v_lshl_add_u32 v89, 0x100000, v88, -1
	v_lshrrev_b32_e32 v90, v88, v79
	v_lshlrev_b32_e64 v92, v88, 0x80000
	v_add_nc_u32_e32 v88, v88, v78
	v_and_b32_e32 v79, v89, v79
	v_bfe_u32 v91, v90, 20, 1
	v_cmp_eq_u32_e64 s13, v79, v92
	v_add_nc_u32_e32 v89, -1, v91
	v_cndmask_b32_e64 v79, 0, v89, s13
	v_lshrrev_b32_e32 v89, 23, v90
	s_mov_b32 s13, exec_lo
	v_add_nc_u32_e32 v79, v79, v90
	v_xor_b32_e32 v89, 1, v89
	v_and_b32_e32 v78, 0xfffff, v79
	v_add_nc_u32_e32 v79, v78, v90
                                        ; implicit-def: $vgpr78
	v_cmpx_ne_u32_e64 v88, v89
	s_xor_b32 s13, exec_lo, s13
; %bb.6289:                             ;   in Loop: Header=BB4_5740 Depth=2
	v_cmp_lt_u32_e32 vcc_lo, 0xffffff, v79
	v_sub_nc_u32_e32 v78, v88, v89
	v_cndmask_b32_e64 v88, 0, 1, vcc_lo
	v_add_co_ci_u32_e64 v78, null, 0, v78, vcc_lo
	v_lshrrev_b32_e32 v79, v88, v79
; %bb.6290:                             ;   in Loop: Header=BB4_5740 Depth=2
	s_andn2_saveexec_b32 s13, s13
; %bb.6291:                             ;   in Loop: Header=BB4_5740 Depth=2
	v_bfe_u32 v78, v79, 23, 1
; %bb.6292:                             ;   in Loop: Header=BB4_5740 Depth=2
	s_or_b32 exec_lo, exec_lo, s13
	v_lshrrev_b32_e32 v79, 20, v79
	v_min_i32_e32 v88, 15, v78
	v_cmp_gt_i32_e32 vcc_lo, 16, v78
	v_and_b32_sdwa v10, v10, v82 dst_sel:DWORD dst_unused:UNUSED_PAD src0_sel:BYTE_3 src1_sel:DWORD
	v_lshlrev_b32_e32 v88, 3, v88
	v_cndmask_b32_e32 v79, 7, v79, vcc_lo
	v_and_b32_e32 v88, 0xf8, v88
	v_and_b32_e32 v89, 7, v79
	v_or_b32_e32 v78, v78, v79
	v_or3_b32 v10, v88, v10, v89
	v_cmp_ne_u32_e32 vcc_lo, 0, v78
	v_cndmask_b32_e32 v78, 0, v10, vcc_lo
.LBB4_6293:                             ;   in Loop: Header=BB4_5740 Depth=2
	s_or_b32 exec_lo, exec_lo, s40
.LBB4_6294:                             ;   in Loop: Header=BB4_5740 Depth=2
	s_or_b32 exec_lo, exec_lo, s29
	v_cmp_gt_i16_sdwa s29, v11, v81 src0_sel:BYTE_3 src1_sel:DWORD
	s_mov_b32 s13, 0
	s_and_saveexec_b32 s40, s29
	s_xor_b32 s29, exec_lo, s40
	s_cbranch_execz .LBB4_6720
; %bb.6295:                             ;   in Loop: Header=BB4_5740 Depth=2
	v_cmp_eq_u16_sdwa s41, v11, v82 src0_sel:BYTE_3 src1_sel:DWORD
	s_mov_b32 s13, -1
	s_and_saveexec_b32 s40, s41
; %bb.6296:                             ;   in Loop: Header=BB4_5740 Depth=2
	s_xor_b32 s13, exec_lo, -1
; %bb.6297:                             ;   in Loop: Header=BB4_5740 Depth=2
	s_or_b32 exec_lo, exec_lo, s40
	s_and_b32 s13, s13, exec_lo
	s_or_saveexec_b32 s29, s29
	v_mov_b32_e32 v10, 0x7f800001
	s_xor_b32 exec_lo, exec_lo, s29
	s_cbranch_execnz .LBB4_6721
.LBB4_6298:                             ;   in Loop: Header=BB4_5740 Depth=2
	s_or_b32 exec_lo, exec_lo, s29
	s_and_saveexec_b32 s29, s13
	s_cbranch_execz .LBB4_6300
.LBB4_6299:                             ;   in Loop: Header=BB4_5740 Depth=2
	v_bfe_u32 v10, v11, 24, 3
	v_bfe_u32 v89, v11, 27, 4
	v_ffbh_u32_e32 v79, v10
	v_cmp_eq_u32_e32 vcc_lo, 0, v89
	v_min_u32_e32 v79, 32, v79
	v_subrev_nc_u32_e32 v88, 28, v79
	v_sub_nc_u32_e32 v79, 29, v79
	v_lshlrev_b32_sdwa v88, v88, v11 dst_sel:DWORD dst_unused:UNUSED_PAD src0_sel:DWORD src1_sel:BYTE_3
	v_cndmask_b32_e32 v79, v89, v79, vcc_lo
	v_and_b32_e32 v11, 0x80000000, v11
	v_and_b32_e32 v88, 7, v88
	v_lshl_add_u32 v79, v79, 23, 0x3b800000
	v_cndmask_b32_e32 v10, v10, v88, vcc_lo
	v_lshlrev_b32_e32 v10, 20, v10
	v_or3_b32 v10, v11, v79, v10
.LBB4_6300:                             ;   in Loop: Header=BB4_5740 Depth=2
	s_or_b32 exec_lo, exec_lo, s29
	v_mul_f32_e32 v10, s28, v10
	v_mov_b32_e32 v79, 0x8000
	s_mov_b32 s29, exec_lo
	v_and_b32_e32 v11, 0x7f800000, v10
	v_cmpx_ne_u32_e32 0x7f800000, v11
	s_cbranch_execz .LBB4_6308
; %bb.6301:                             ;   in Loop: Header=BB4_5740 Depth=2
	v_mov_b32_e32 v79, 0
	s_mov_b32 s40, exec_lo
	v_cmpx_ne_u32_e32 0, v10
	s_cbranch_execz .LBB4_6307
; %bb.6302:                             ;   in Loop: Header=BB4_5740 Depth=2
	v_bfe_u32 v11, v10, 23, 8
	v_and_b32_e32 v79, 0x7fffff, v10
	v_sub_nc_u32_e32 v88, 0x78, v11
	v_cmp_gt_u32_e32 vcc_lo, 0x79, v11
	v_or_b32_e32 v89, 0x800000, v79
	v_cndmask_b32_e32 v88, 0, v88, vcc_lo
	v_cmp_eq_u32_e32 vcc_lo, 0, v11
	v_add_nc_u32_e32 v11, 0xffffff89, v11
	v_cndmask_b32_e64 v88, v88, 0x77, vcc_lo
	v_cndmask_b32_e32 v79, v89, v79, vcc_lo
	v_cndmask_b32_e64 v11, v11, 0xffffff8a, vcc_lo
	v_lshl_add_u32 v89, 0x100000, v88, -1
	v_lshrrev_b32_e32 v90, v88, v79
	v_lshlrev_b32_e64 v92, v88, 0x80000
	v_add_nc_u32_e32 v88, v88, v11
	v_and_b32_e32 v79, v89, v79
	v_bfe_u32 v91, v90, 20, 1
	v_cmp_eq_u32_e64 s13, v79, v92
	v_add_nc_u32_e32 v89, -1, v91
	v_cndmask_b32_e64 v79, 0, v89, s13
	v_lshrrev_b32_e32 v89, 23, v90
	s_mov_b32 s13, exec_lo
	v_add_nc_u32_e32 v79, v79, v90
	v_xor_b32_e32 v89, 1, v89
	v_and_b32_e32 v11, 0xfffff, v79
	v_add_nc_u32_e32 v79, v11, v90
                                        ; implicit-def: $vgpr11
	v_cmpx_ne_u32_e64 v88, v89
	s_xor_b32 s13, exec_lo, s13
; %bb.6303:                             ;   in Loop: Header=BB4_5740 Depth=2
	v_cmp_lt_u32_e32 vcc_lo, 0xffffff, v79
	v_sub_nc_u32_e32 v11, v88, v89
	v_cndmask_b32_e64 v88, 0, 1, vcc_lo
	v_add_co_ci_u32_e64 v11, null, 0, v11, vcc_lo
	v_lshrrev_b32_e32 v79, v88, v79
; %bb.6304:                             ;   in Loop: Header=BB4_5740 Depth=2
	s_andn2_saveexec_b32 s13, s13
; %bb.6305:                             ;   in Loop: Header=BB4_5740 Depth=2
	v_bfe_u32 v11, v79, 23, 1
; %bb.6306:                             ;   in Loop: Header=BB4_5740 Depth=2
	s_or_b32 exec_lo, exec_lo, s13
	v_lshrrev_b32_e32 v79, 20, v79
	v_min_i32_e32 v88, 15, v11
	v_cmp_gt_i32_e32 vcc_lo, 16, v11
	v_and_b32_sdwa v10, v10, v82 dst_sel:DWORD dst_unused:UNUSED_PAD src0_sel:BYTE_3 src1_sel:DWORD
	v_lshlrev_b32_e32 v88, 3, v88
	v_cndmask_b32_e32 v79, 7, v79, vcc_lo
	v_and_b32_e32 v88, 0xf8, v88
	v_and_b32_e32 v89, 7, v79
	v_or_b32_e32 v11, v11, v79
	v_or3_b32 v10, v10, v88, v89
	v_cmp_ne_u32_e32 vcc_lo, 0, v11
	v_lshlrev_b32_e32 v10, 8, v10
	v_cndmask_b32_e32 v79, 0, v10, vcc_lo
.LBB4_6307:                             ;   in Loop: Header=BB4_5740 Depth=2
	s_or_b32 exec_lo, exec_lo, s40
.LBB4_6308:                             ;   in Loop: Header=BB4_5740 Depth=2
	s_or_b32 exec_lo, exec_lo, s29
	v_cmp_gt_i16_sdwa s29, v12, v81 src0_sel:BYTE_0 src1_sel:DWORD
	s_mov_b32 s13, 0
	s_and_saveexec_b32 s40, s29
	s_xor_b32 s29, exec_lo, s40
	s_cbranch_execz .LBB4_6722
; %bb.6309:                             ;   in Loop: Header=BB4_5740 Depth=2
	v_cmp_eq_u16_sdwa s41, v12, v82 src0_sel:BYTE_0 src1_sel:DWORD
	s_mov_b32 s13, -1
	s_and_saveexec_b32 s40, s41
; %bb.6310:                             ;   in Loop: Header=BB4_5740 Depth=2
	s_xor_b32 s13, exec_lo, -1
; %bb.6311:                             ;   in Loop: Header=BB4_5740 Depth=2
	s_or_b32 exec_lo, exec_lo, s40
	s_and_b32 s13, s13, exec_lo
	s_or_saveexec_b32 s29, s29
	v_mov_b32_e32 v10, 0x7f800001
	s_xor_b32 exec_lo, exec_lo, s29
	s_cbranch_execnz .LBB4_6723
.LBB4_6312:                             ;   in Loop: Header=BB4_5740 Depth=2
	s_or_b32 exec_lo, exec_lo, s29
	s_and_saveexec_b32 s29, s13
	s_cbranch_execz .LBB4_6314
.LBB4_6313:                             ;   in Loop: Header=BB4_5740 Depth=2
	v_and_b32_e32 v10, 7, v12
	v_bfe_u32 v89, v12, 3, 4
	v_lshlrev_b32_e32 v90, 24, v12
	v_ffbh_u32_e32 v11, v10
	v_cmp_eq_u32_e32 vcc_lo, 0, v89
	v_min_u32_e32 v11, 32, v11
	v_subrev_nc_u32_e32 v88, 28, v11
	v_sub_nc_u32_e32 v11, 29, v11
	v_lshlrev_b32_e32 v88, v88, v12
	v_cndmask_b32_e32 v11, v89, v11, vcc_lo
	v_and_b32_e32 v88, 7, v88
	v_lshl_add_u32 v11, v11, 23, 0x3b800000
	v_cndmask_b32_e32 v10, v10, v88, vcc_lo
	v_and_b32_e32 v88, 0x80000000, v90
	v_lshlrev_b32_e32 v10, 20, v10
	v_or3_b32 v10, v88, v11, v10
.LBB4_6314:                             ;   in Loop: Header=BB4_5740 Depth=2
	s_or_b32 exec_lo, exec_lo, s29
	v_mul_f32_e32 v10, s28, v10
	v_mov_b32_e32 v88, 0x80
	s_mov_b32 s29, exec_lo
	v_and_b32_e32 v11, 0x7f800000, v10
	v_cmpx_ne_u32_e32 0x7f800000, v11
	s_cbranch_execz .LBB4_6322
; %bb.6315:                             ;   in Loop: Header=BB4_5740 Depth=2
	v_mov_b32_e32 v88, 0
	s_mov_b32 s40, exec_lo
	v_cmpx_ne_u32_e32 0, v10
	s_cbranch_execz .LBB4_6321
; %bb.6316:                             ;   in Loop: Header=BB4_5740 Depth=2
	v_bfe_u32 v11, v10, 23, 8
	v_and_b32_e32 v88, 0x7fffff, v10
	v_sub_nc_u32_e32 v89, 0x78, v11
	v_cmp_gt_u32_e32 vcc_lo, 0x79, v11
	v_or_b32_e32 v90, 0x800000, v88
	v_cndmask_b32_e32 v89, 0, v89, vcc_lo
	v_cmp_eq_u32_e32 vcc_lo, 0, v11
	v_add_nc_u32_e32 v11, 0xffffff89, v11
	v_cndmask_b32_e64 v89, v89, 0x77, vcc_lo
	v_cndmask_b32_e32 v88, v90, v88, vcc_lo
	v_cndmask_b32_e64 v11, v11, 0xffffff8a, vcc_lo
	v_lshl_add_u32 v90, 0x100000, v89, -1
	v_lshrrev_b32_e32 v91, v89, v88
	v_lshlrev_b32_e64 v93, v89, 0x80000
	v_add_nc_u32_e32 v89, v89, v11
	v_and_b32_e32 v88, v90, v88
	v_bfe_u32 v92, v91, 20, 1
	v_cmp_eq_u32_e64 s13, v88, v93
	v_add_nc_u32_e32 v90, -1, v92
	v_cndmask_b32_e64 v88, 0, v90, s13
	v_lshrrev_b32_e32 v90, 23, v91
	s_mov_b32 s13, exec_lo
	v_add_nc_u32_e32 v88, v88, v91
	v_xor_b32_e32 v90, 1, v90
	v_and_b32_e32 v11, 0xfffff, v88
	v_add_nc_u32_e32 v88, v11, v91
                                        ; implicit-def: $vgpr11
	v_cmpx_ne_u32_e64 v89, v90
	s_xor_b32 s13, exec_lo, s13
; %bb.6317:                             ;   in Loop: Header=BB4_5740 Depth=2
	v_cmp_lt_u32_e32 vcc_lo, 0xffffff, v88
	v_sub_nc_u32_e32 v11, v89, v90
	v_cndmask_b32_e64 v89, 0, 1, vcc_lo
	v_add_co_ci_u32_e64 v11, null, 0, v11, vcc_lo
	v_lshrrev_b32_e32 v88, v89, v88
; %bb.6318:                             ;   in Loop: Header=BB4_5740 Depth=2
	s_andn2_saveexec_b32 s13, s13
; %bb.6319:                             ;   in Loop: Header=BB4_5740 Depth=2
	v_bfe_u32 v11, v88, 23, 1
; %bb.6320:                             ;   in Loop: Header=BB4_5740 Depth=2
	s_or_b32 exec_lo, exec_lo, s13
	v_lshrrev_b32_e32 v88, 20, v88
	v_min_i32_e32 v89, 15, v11
	v_cmp_gt_i32_e32 vcc_lo, 16, v11
	v_and_b32_sdwa v10, v10, v82 dst_sel:DWORD dst_unused:UNUSED_PAD src0_sel:BYTE_3 src1_sel:DWORD
	v_lshlrev_b32_e32 v89, 3, v89
	v_cndmask_b32_e32 v88, 7, v88, vcc_lo
	v_and_b32_e32 v89, 0xf8, v89
	v_and_b32_e32 v90, 7, v88
	v_or_b32_e32 v11, v11, v88
	v_or3_b32 v10, v89, v10, v90
	v_cmp_ne_u32_e32 vcc_lo, 0, v11
	v_cndmask_b32_e32 v88, 0, v10, vcc_lo
.LBB4_6321:                             ;   in Loop: Header=BB4_5740 Depth=2
	s_or_b32 exec_lo, exec_lo, s40
.LBB4_6322:                             ;   in Loop: Header=BB4_5740 Depth=2
	s_or_b32 exec_lo, exec_lo, s29
	v_cmp_gt_i16_sdwa s29, v12, v81 src0_sel:BYTE_1 src1_sel:DWORD
	s_mov_b32 s13, 0
	s_and_saveexec_b32 s40, s29
	s_xor_b32 s29, exec_lo, s40
	s_cbranch_execz .LBB4_6724
; %bb.6323:                             ;   in Loop: Header=BB4_5740 Depth=2
	v_cmp_eq_u16_sdwa s41, v12, v82 src0_sel:BYTE_1 src1_sel:DWORD
	s_mov_b32 s13, -1
	s_and_saveexec_b32 s40, s41
; %bb.6324:                             ;   in Loop: Header=BB4_5740 Depth=2
	s_xor_b32 s13, exec_lo, -1
; %bb.6325:                             ;   in Loop: Header=BB4_5740 Depth=2
	s_or_b32 exec_lo, exec_lo, s40
	s_and_b32 s13, s13, exec_lo
	s_or_saveexec_b32 s29, s29
	v_mov_b32_e32 v10, 0x7f800001
	s_xor_b32 exec_lo, exec_lo, s29
	s_cbranch_execnz .LBB4_6725
.LBB4_6326:                             ;   in Loop: Header=BB4_5740 Depth=2
	s_or_b32 exec_lo, exec_lo, s29
	s_and_saveexec_b32 s29, s13
	s_cbranch_execz .LBB4_6328
.LBB4_6327:                             ;   in Loop: Header=BB4_5740 Depth=2
	v_and_b32_sdwa v10, v83, v12 dst_sel:DWORD dst_unused:UNUSED_PAD src0_sel:DWORD src1_sel:BYTE_1
	v_and_b32_e32 v11, 7, v10
	v_bfe_u32 v91, v10, 3, 4
	v_ffbh_u32_e32 v89, v11
	v_cmp_eq_u32_e32 vcc_lo, 0, v91
	v_min_u32_e32 v89, 32, v89
	v_subrev_nc_u32_e32 v90, 28, v89
	v_sub_nc_u32_e32 v89, 29, v89
	v_lshlrev_b32_e32 v10, v90, v10
	v_lshlrev_b32_sdwa v90, v84, v12 dst_sel:DWORD dst_unused:UNUSED_PAD src0_sel:DWORD src1_sel:BYTE_1
	v_cndmask_b32_e32 v89, v91, v89, vcc_lo
	v_and_b32_e32 v10, 7, v10
	v_lshl_add_u32 v89, v89, 23, 0x3b800000
	v_cndmask_b32_e32 v10, v11, v10, vcc_lo
	v_and_b32_e32 v11, 0x80000000, v90
	v_lshlrev_b32_e32 v10, 20, v10
	v_or3_b32 v10, v11, v89, v10
.LBB4_6328:                             ;   in Loop: Header=BB4_5740 Depth=2
	s_or_b32 exec_lo, exec_lo, s29
	v_mul_f32_e32 v10, s28, v10
	v_mov_b32_e32 v89, 0x8000
	s_mov_b32 s29, exec_lo
	v_and_b32_e32 v11, 0x7f800000, v10
	v_cmpx_ne_u32_e32 0x7f800000, v11
	s_cbranch_execz .LBB4_6336
; %bb.6329:                             ;   in Loop: Header=BB4_5740 Depth=2
	v_mov_b32_e32 v89, 0
	s_mov_b32 s40, exec_lo
	v_cmpx_ne_u32_e32 0, v10
	s_cbranch_execz .LBB4_6335
; %bb.6330:                             ;   in Loop: Header=BB4_5740 Depth=2
	v_bfe_u32 v11, v10, 23, 8
	v_and_b32_e32 v89, 0x7fffff, v10
	v_sub_nc_u32_e32 v90, 0x78, v11
	v_cmp_gt_u32_e32 vcc_lo, 0x79, v11
	v_or_b32_e32 v91, 0x800000, v89
	v_cndmask_b32_e32 v90, 0, v90, vcc_lo
	v_cmp_eq_u32_e32 vcc_lo, 0, v11
	v_add_nc_u32_e32 v11, 0xffffff89, v11
	v_cndmask_b32_e64 v90, v90, 0x77, vcc_lo
	v_cndmask_b32_e32 v89, v91, v89, vcc_lo
	v_cndmask_b32_e64 v11, v11, 0xffffff8a, vcc_lo
	v_lshl_add_u32 v91, 0x100000, v90, -1
	v_lshrrev_b32_e32 v92, v90, v89
	v_lshlrev_b32_e64 v94, v90, 0x80000
	v_add_nc_u32_e32 v90, v90, v11
	v_and_b32_e32 v89, v91, v89
	v_bfe_u32 v93, v92, 20, 1
	v_cmp_eq_u32_e64 s13, v89, v94
	v_add_nc_u32_e32 v91, -1, v93
	v_cndmask_b32_e64 v89, 0, v91, s13
	v_lshrrev_b32_e32 v91, 23, v92
	s_mov_b32 s13, exec_lo
	v_add_nc_u32_e32 v89, v89, v92
	v_xor_b32_e32 v91, 1, v91
	v_and_b32_e32 v11, 0xfffff, v89
	v_add_nc_u32_e32 v89, v11, v92
                                        ; implicit-def: $vgpr11
	v_cmpx_ne_u32_e64 v90, v91
	s_xor_b32 s13, exec_lo, s13
; %bb.6331:                             ;   in Loop: Header=BB4_5740 Depth=2
	v_cmp_lt_u32_e32 vcc_lo, 0xffffff, v89
	v_sub_nc_u32_e32 v11, v90, v91
	v_cndmask_b32_e64 v90, 0, 1, vcc_lo
	v_add_co_ci_u32_e64 v11, null, 0, v11, vcc_lo
	v_lshrrev_b32_e32 v89, v90, v89
; %bb.6332:                             ;   in Loop: Header=BB4_5740 Depth=2
	s_andn2_saveexec_b32 s13, s13
; %bb.6333:                             ;   in Loop: Header=BB4_5740 Depth=2
	v_bfe_u32 v11, v89, 23, 1
; %bb.6334:                             ;   in Loop: Header=BB4_5740 Depth=2
	s_or_b32 exec_lo, exec_lo, s13
	v_lshrrev_b32_e32 v89, 20, v89
	v_min_i32_e32 v90, 15, v11
	v_cmp_gt_i32_e32 vcc_lo, 16, v11
	v_and_b32_sdwa v10, v10, v82 dst_sel:DWORD dst_unused:UNUSED_PAD src0_sel:BYTE_3 src1_sel:DWORD
	v_lshlrev_b32_e32 v90, 3, v90
	v_cndmask_b32_e32 v89, 7, v89, vcc_lo
	v_and_b32_e32 v90, 0xf8, v90
	v_and_b32_e32 v91, 7, v89
	v_or_b32_e32 v11, v11, v89
	v_or3_b32 v10, v10, v90, v91
	v_cmp_ne_u32_e32 vcc_lo, 0, v11
	v_lshlrev_b32_e32 v10, 8, v10
	v_cndmask_b32_e32 v89, 0, v10, vcc_lo
.LBB4_6335:                             ;   in Loop: Header=BB4_5740 Depth=2
	s_or_b32 exec_lo, exec_lo, s40
.LBB4_6336:                             ;   in Loop: Header=BB4_5740 Depth=2
	s_or_b32 exec_lo, exec_lo, s29
	v_and_b32_sdwa v11, v12, v85 dst_sel:DWORD dst_unused:UNUSED_PAD src0_sel:WORD_1 src1_sel:DWORD
	s_mov_b32 s13, 0
	s_mov_b32 s29, exec_lo
	v_cmpx_lt_i16_e32 0x7f, v11
	s_xor_b32 s29, exec_lo, s29
	s_cbranch_execz .LBB4_6726
; %bb.6337:                             ;   in Loop: Header=BB4_5740 Depth=2
	s_mov_b32 s13, -1
	s_mov_b32 s40, exec_lo
	v_cmpx_eq_u16_e32 0x80, v11
; %bb.6338:                             ;   in Loop: Header=BB4_5740 Depth=2
	s_xor_b32 s13, exec_lo, -1
; %bb.6339:                             ;   in Loop: Header=BB4_5740 Depth=2
	s_or_b32 exec_lo, exec_lo, s40
	s_and_b32 s13, s13, exec_lo
                                        ; implicit-def: $vgpr11
	s_or_saveexec_b32 s29, s29
	v_mov_b32_e32 v10, 0x7f800001
	s_xor_b32 exec_lo, exec_lo, s29
	s_cbranch_execnz .LBB4_6727
.LBB4_6340:                             ;   in Loop: Header=BB4_5740 Depth=2
	s_or_b32 exec_lo, exec_lo, s29
	s_and_saveexec_b32 s29, s13
	s_cbranch_execz .LBB4_6342
.LBB4_6341:                             ;   in Loop: Header=BB4_5740 Depth=2
	v_bfe_u32 v10, v12, 16, 3
	v_bfe_u32 v91, v12, 19, 4
	v_lshlrev_b32_e32 v92, 8, v12
	v_ffbh_u32_e32 v11, v10
	v_cmp_eq_u32_e32 vcc_lo, 0, v91
	v_min_u32_e32 v11, 32, v11
	v_subrev_nc_u32_e32 v90, 28, v11
	v_sub_nc_u32_e32 v11, 29, v11
	v_lshlrev_b32_sdwa v90, v90, v12 dst_sel:DWORD dst_unused:UNUSED_PAD src0_sel:DWORD src1_sel:WORD_1
	v_cndmask_b32_e32 v11, v91, v11, vcc_lo
	v_and_b32_e32 v90, 7, v90
	v_lshl_add_u32 v11, v11, 23, 0x3b800000
	v_cndmask_b32_e32 v10, v10, v90, vcc_lo
	v_and_b32_e32 v90, 0x80000000, v92
	v_lshlrev_b32_e32 v10, 20, v10
	v_or3_b32 v10, v90, v11, v10
.LBB4_6342:                             ;   in Loop: Header=BB4_5740 Depth=2
	s_or_b32 exec_lo, exec_lo, s29
	v_mul_f32_e32 v10, s28, v10
	v_mov_b32_e32 v90, 0x80
	s_mov_b32 s29, exec_lo
	v_and_b32_e32 v11, 0x7f800000, v10
	v_cmpx_ne_u32_e32 0x7f800000, v11
	s_cbranch_execz .LBB4_6350
; %bb.6343:                             ;   in Loop: Header=BB4_5740 Depth=2
	v_mov_b32_e32 v90, 0
	s_mov_b32 s40, exec_lo
	v_cmpx_ne_u32_e32 0, v10
	s_cbranch_execz .LBB4_6349
; %bb.6344:                             ;   in Loop: Header=BB4_5740 Depth=2
	v_bfe_u32 v11, v10, 23, 8
	v_and_b32_e32 v90, 0x7fffff, v10
	v_sub_nc_u32_e32 v91, 0x78, v11
	v_cmp_gt_u32_e32 vcc_lo, 0x79, v11
	v_or_b32_e32 v92, 0x800000, v90
	v_cndmask_b32_e32 v91, 0, v91, vcc_lo
	v_cmp_eq_u32_e32 vcc_lo, 0, v11
	v_add_nc_u32_e32 v11, 0xffffff89, v11
	v_cndmask_b32_e64 v91, v91, 0x77, vcc_lo
	v_cndmask_b32_e32 v90, v92, v90, vcc_lo
	v_cndmask_b32_e64 v11, v11, 0xffffff8a, vcc_lo
	v_lshl_add_u32 v92, 0x100000, v91, -1
	v_lshrrev_b32_e32 v93, v91, v90
	v_lshlrev_b32_e64 v95, v91, 0x80000
	v_add_nc_u32_e32 v91, v91, v11
	v_and_b32_e32 v90, v92, v90
	v_bfe_u32 v94, v93, 20, 1
	v_cmp_eq_u32_e64 s13, v90, v95
	v_add_nc_u32_e32 v92, -1, v94
	v_cndmask_b32_e64 v90, 0, v92, s13
	v_lshrrev_b32_e32 v92, 23, v93
	s_mov_b32 s13, exec_lo
	v_add_nc_u32_e32 v90, v90, v93
	v_xor_b32_e32 v92, 1, v92
	v_and_b32_e32 v11, 0xfffff, v90
	v_add_nc_u32_e32 v90, v11, v93
                                        ; implicit-def: $vgpr11
	v_cmpx_ne_u32_e64 v91, v92
	s_xor_b32 s13, exec_lo, s13
; %bb.6345:                             ;   in Loop: Header=BB4_5740 Depth=2
	v_cmp_lt_u32_e32 vcc_lo, 0xffffff, v90
	v_sub_nc_u32_e32 v11, v91, v92
	v_cndmask_b32_e64 v91, 0, 1, vcc_lo
	v_add_co_ci_u32_e64 v11, null, 0, v11, vcc_lo
	v_lshrrev_b32_e32 v90, v91, v90
; %bb.6346:                             ;   in Loop: Header=BB4_5740 Depth=2
	s_andn2_saveexec_b32 s13, s13
; %bb.6347:                             ;   in Loop: Header=BB4_5740 Depth=2
	v_bfe_u32 v11, v90, 23, 1
; %bb.6348:                             ;   in Loop: Header=BB4_5740 Depth=2
	s_or_b32 exec_lo, exec_lo, s13
	v_lshrrev_b32_e32 v90, 20, v90
	v_min_i32_e32 v91, 15, v11
	v_cmp_gt_i32_e32 vcc_lo, 16, v11
	v_and_b32_sdwa v10, v10, v82 dst_sel:DWORD dst_unused:UNUSED_PAD src0_sel:BYTE_3 src1_sel:DWORD
	v_lshlrev_b32_e32 v91, 3, v91
	v_cndmask_b32_e32 v90, 7, v90, vcc_lo
	v_and_b32_e32 v91, 0xf8, v91
	v_and_b32_e32 v92, 7, v90
	v_or_b32_e32 v11, v11, v90
	v_or3_b32 v10, v91, v10, v92
	v_cmp_ne_u32_e32 vcc_lo, 0, v11
	v_cndmask_b32_e32 v90, 0, v10, vcc_lo
.LBB4_6349:                             ;   in Loop: Header=BB4_5740 Depth=2
	s_or_b32 exec_lo, exec_lo, s40
.LBB4_6350:                             ;   in Loop: Header=BB4_5740 Depth=2
	s_or_b32 exec_lo, exec_lo, s29
	v_cmp_gt_i16_sdwa s29, v12, v81 src0_sel:BYTE_3 src1_sel:DWORD
	s_mov_b32 s13, 0
	s_and_saveexec_b32 s40, s29
	s_xor_b32 s29, exec_lo, s40
	s_cbranch_execz .LBB4_6728
; %bb.6351:                             ;   in Loop: Header=BB4_5740 Depth=2
	v_cmp_eq_u16_sdwa s41, v12, v82 src0_sel:BYTE_3 src1_sel:DWORD
	s_mov_b32 s13, -1
	s_and_saveexec_b32 s40, s41
; %bb.6352:                             ;   in Loop: Header=BB4_5740 Depth=2
	s_xor_b32 s13, exec_lo, -1
; %bb.6353:                             ;   in Loop: Header=BB4_5740 Depth=2
	s_or_b32 exec_lo, exec_lo, s40
	s_and_b32 s13, s13, exec_lo
	s_or_saveexec_b32 s29, s29
	v_mov_b32_e32 v10, 0x7f800001
	s_xor_b32 exec_lo, exec_lo, s29
	s_cbranch_execnz .LBB4_6729
.LBB4_6354:                             ;   in Loop: Header=BB4_5740 Depth=2
	s_or_b32 exec_lo, exec_lo, s29
	s_and_saveexec_b32 s29, s13
	s_cbranch_execz .LBB4_6356
.LBB4_6355:                             ;   in Loop: Header=BB4_5740 Depth=2
	v_bfe_u32 v10, v12, 24, 3
	v_bfe_u32 v92, v12, 27, 4
	v_ffbh_u32_e32 v11, v10
	v_cmp_eq_u32_e32 vcc_lo, 0, v92
	v_min_u32_e32 v11, 32, v11
	v_subrev_nc_u32_e32 v91, 28, v11
	v_sub_nc_u32_e32 v11, 29, v11
	v_lshlrev_b32_sdwa v91, v91, v12 dst_sel:DWORD dst_unused:UNUSED_PAD src0_sel:DWORD src1_sel:BYTE_3
	v_cndmask_b32_e32 v11, v92, v11, vcc_lo
	v_and_b32_e32 v12, 0x80000000, v12
	v_and_b32_e32 v91, 7, v91
	v_lshl_add_u32 v11, v11, 23, 0x3b800000
	v_cndmask_b32_e32 v10, v10, v91, vcc_lo
	v_lshlrev_b32_e32 v10, 20, v10
	v_or3_b32 v10, v12, v11, v10
.LBB4_6356:                             ;   in Loop: Header=BB4_5740 Depth=2
	s_or_b32 exec_lo, exec_lo, s29
	v_mul_f32_e32 v10, s28, v10
	v_mov_b32_e32 v91, 0x8000
	s_mov_b32 s29, exec_lo
	v_and_b32_e32 v11, 0x7f800000, v10
	v_cmpx_ne_u32_e32 0x7f800000, v11
	s_cbranch_execz .LBB4_6364
; %bb.6357:                             ;   in Loop: Header=BB4_5740 Depth=2
	v_mov_b32_e32 v91, 0
	s_mov_b32 s40, exec_lo
	v_cmpx_ne_u32_e32 0, v10
	s_cbranch_execz .LBB4_6363
; %bb.6358:                             ;   in Loop: Header=BB4_5740 Depth=2
	v_bfe_u32 v11, v10, 23, 8
	v_and_b32_e32 v12, 0x7fffff, v10
	v_sub_nc_u32_e32 v91, 0x78, v11
	v_cmp_gt_u32_e32 vcc_lo, 0x79, v11
	v_or_b32_e32 v92, 0x800000, v12
	v_cndmask_b32_e32 v91, 0, v91, vcc_lo
	v_cmp_eq_u32_e32 vcc_lo, 0, v11
	v_add_nc_u32_e32 v11, 0xffffff89, v11
	v_cndmask_b32_e64 v91, v91, 0x77, vcc_lo
	v_cndmask_b32_e32 v12, v92, v12, vcc_lo
	v_cndmask_b32_e64 v11, v11, 0xffffff8a, vcc_lo
	v_lshl_add_u32 v92, 0x100000, v91, -1
	v_lshrrev_b32_e32 v93, v91, v12
	v_lshlrev_b32_e64 v95, v91, 0x80000
	v_add_nc_u32_e32 v91, v91, v11
	v_and_b32_e32 v12, v92, v12
	v_bfe_u32 v94, v93, 20, 1
	v_cmp_eq_u32_e64 s13, v12, v95
	v_add_nc_u32_e32 v92, -1, v94
	v_cndmask_b32_e64 v12, 0, v92, s13
	v_lshrrev_b32_e32 v92, 23, v93
	s_mov_b32 s13, exec_lo
	v_add_nc_u32_e32 v12, v12, v93
	v_xor_b32_e32 v92, 1, v92
	v_and_b32_e32 v11, 0xfffff, v12
	v_add_nc_u32_e32 v12, v11, v93
                                        ; implicit-def: $vgpr11
	v_cmpx_ne_u32_e64 v91, v92
	s_xor_b32 s13, exec_lo, s13
; %bb.6359:                             ;   in Loop: Header=BB4_5740 Depth=2
	v_cmp_lt_u32_e32 vcc_lo, 0xffffff, v12
	v_sub_nc_u32_e32 v11, v91, v92
	v_cndmask_b32_e64 v91, 0, 1, vcc_lo
	v_add_co_ci_u32_e64 v11, null, 0, v11, vcc_lo
	v_lshrrev_b32_e32 v12, v91, v12
; %bb.6360:                             ;   in Loop: Header=BB4_5740 Depth=2
	s_andn2_saveexec_b32 s13, s13
; %bb.6361:                             ;   in Loop: Header=BB4_5740 Depth=2
	v_bfe_u32 v11, v12, 23, 1
; %bb.6362:                             ;   in Loop: Header=BB4_5740 Depth=2
	s_or_b32 exec_lo, exec_lo, s13
	v_lshrrev_b32_e32 v12, 20, v12
	v_min_i32_e32 v91, 15, v11
	v_cmp_gt_i32_e32 vcc_lo, 16, v11
	v_and_b32_sdwa v10, v10, v82 dst_sel:DWORD dst_unused:UNUSED_PAD src0_sel:BYTE_3 src1_sel:DWORD
	v_lshlrev_b32_e32 v91, 3, v91
	v_cndmask_b32_e32 v12, 7, v12, vcc_lo
	v_and_b32_e32 v91, 0xf8, v91
	v_and_b32_e32 v92, 7, v12
	v_or_b32_e32 v11, v11, v12
	v_or3_b32 v10, v10, v91, v92
	v_cmp_ne_u32_e32 vcc_lo, 0, v11
	v_lshlrev_b32_e32 v10, 8, v10
	v_cndmask_b32_e32 v91, 0, v10, vcc_lo
.LBB4_6363:                             ;   in Loop: Header=BB4_5740 Depth=2
	s_or_b32 exec_lo, exec_lo, s40
.LBB4_6364:                             ;   in Loop: Header=BB4_5740 Depth=2
	s_or_b32 exec_lo, exec_lo, s29
	v_cmp_gt_i16_sdwa s29, v13, v81 src0_sel:BYTE_0 src1_sel:DWORD
	s_mov_b32 s13, 0
	s_and_saveexec_b32 s40, s29
	s_xor_b32 s29, exec_lo, s40
	s_cbranch_execz .LBB4_6730
; %bb.6365:                             ;   in Loop: Header=BB4_5740 Depth=2
	v_cmp_eq_u16_sdwa s41, v13, v82 src0_sel:BYTE_0 src1_sel:DWORD
	s_mov_b32 s13, -1
	s_and_saveexec_b32 s40, s41
; %bb.6366:                             ;   in Loop: Header=BB4_5740 Depth=2
	s_xor_b32 s13, exec_lo, -1
; %bb.6367:                             ;   in Loop: Header=BB4_5740 Depth=2
	s_or_b32 exec_lo, exec_lo, s40
	s_and_b32 s13, s13, exec_lo
	s_or_saveexec_b32 s29, s29
	v_mov_b32_e32 v10, 0x7f800001
	s_xor_b32 exec_lo, exec_lo, s29
	s_cbranch_execnz .LBB4_6731
.LBB4_6368:                             ;   in Loop: Header=BB4_5740 Depth=2
	s_or_b32 exec_lo, exec_lo, s29
	s_and_saveexec_b32 s29, s13
	s_cbranch_execz .LBB4_6370
.LBB4_6369:                             ;   in Loop: Header=BB4_5740 Depth=2
	v_and_b32_e32 v10, 7, v13
	v_bfe_u32 v92, v13, 3, 4
	v_lshlrev_b32_e32 v93, 24, v13
	v_ffbh_u32_e32 v11, v10
	v_cmp_eq_u32_e32 vcc_lo, 0, v92
	v_min_u32_e32 v11, 32, v11
	v_subrev_nc_u32_e32 v12, 28, v11
	v_sub_nc_u32_e32 v11, 29, v11
	v_lshlrev_b32_e32 v12, v12, v13
	v_cndmask_b32_e32 v11, v92, v11, vcc_lo
	v_and_b32_e32 v12, 7, v12
	v_lshl_add_u32 v11, v11, 23, 0x3b800000
	v_cndmask_b32_e32 v10, v10, v12, vcc_lo
	v_and_b32_e32 v12, 0x80000000, v93
	v_lshlrev_b32_e32 v10, 20, v10
	v_or3_b32 v10, v12, v11, v10
.LBB4_6370:                             ;   in Loop: Header=BB4_5740 Depth=2
	s_or_b32 exec_lo, exec_lo, s29
	v_mul_f32_e32 v10, s28, v10
	v_mov_b32_e32 v92, 0x80
	s_mov_b32 s29, exec_lo
	v_and_b32_e32 v11, 0x7f800000, v10
	v_cmpx_ne_u32_e32 0x7f800000, v11
	s_cbranch_execz .LBB4_6378
; %bb.6371:                             ;   in Loop: Header=BB4_5740 Depth=2
	v_mov_b32_e32 v92, 0
	s_mov_b32 s40, exec_lo
	v_cmpx_ne_u32_e32 0, v10
	s_cbranch_execz .LBB4_6377
; %bb.6372:                             ;   in Loop: Header=BB4_5740 Depth=2
	v_bfe_u32 v11, v10, 23, 8
	v_and_b32_e32 v12, 0x7fffff, v10
	v_sub_nc_u32_e32 v92, 0x78, v11
	v_cmp_gt_u32_e32 vcc_lo, 0x79, v11
	v_or_b32_e32 v93, 0x800000, v12
	v_cndmask_b32_e32 v92, 0, v92, vcc_lo
	v_cmp_eq_u32_e32 vcc_lo, 0, v11
	v_add_nc_u32_e32 v11, 0xffffff89, v11
	v_cndmask_b32_e64 v92, v92, 0x77, vcc_lo
	v_cndmask_b32_e32 v12, v93, v12, vcc_lo
	v_cndmask_b32_e64 v11, v11, 0xffffff8a, vcc_lo
	v_lshl_add_u32 v93, 0x100000, v92, -1
	v_lshrrev_b32_e32 v94, v92, v12
	v_lshlrev_b32_e64 v104, v92, 0x80000
	v_add_nc_u32_e32 v92, v92, v11
	v_and_b32_e32 v12, v93, v12
	v_bfe_u32 v95, v94, 20, 1
	v_cmp_eq_u32_e64 s13, v12, v104
	v_add_nc_u32_e32 v93, -1, v95
	v_cndmask_b32_e64 v12, 0, v93, s13
	v_lshrrev_b32_e32 v93, 23, v94
	s_mov_b32 s13, exec_lo
	v_add_nc_u32_e32 v12, v12, v94
	v_xor_b32_e32 v93, 1, v93
	v_and_b32_e32 v11, 0xfffff, v12
	v_add_nc_u32_e32 v12, v11, v94
                                        ; implicit-def: $vgpr11
	v_cmpx_ne_u32_e64 v92, v93
	s_xor_b32 s13, exec_lo, s13
; %bb.6373:                             ;   in Loop: Header=BB4_5740 Depth=2
	v_cmp_lt_u32_e32 vcc_lo, 0xffffff, v12
	v_sub_nc_u32_e32 v11, v92, v93
	v_cndmask_b32_e64 v92, 0, 1, vcc_lo
	v_add_co_ci_u32_e64 v11, null, 0, v11, vcc_lo
	v_lshrrev_b32_e32 v12, v92, v12
; %bb.6374:                             ;   in Loop: Header=BB4_5740 Depth=2
	s_andn2_saveexec_b32 s13, s13
; %bb.6375:                             ;   in Loop: Header=BB4_5740 Depth=2
	v_bfe_u32 v11, v12, 23, 1
; %bb.6376:                             ;   in Loop: Header=BB4_5740 Depth=2
	s_or_b32 exec_lo, exec_lo, s13
	v_lshrrev_b32_e32 v12, 20, v12
	v_min_i32_e32 v92, 15, v11
	v_cmp_gt_i32_e32 vcc_lo, 16, v11
	v_and_b32_sdwa v10, v10, v82 dst_sel:DWORD dst_unused:UNUSED_PAD src0_sel:BYTE_3 src1_sel:DWORD
	v_lshlrev_b32_e32 v92, 3, v92
	v_cndmask_b32_e32 v12, 7, v12, vcc_lo
	v_and_b32_e32 v92, 0xf8, v92
	v_and_b32_e32 v93, 7, v12
	v_or_b32_e32 v11, v11, v12
	v_or3_b32 v10, v92, v10, v93
	v_cmp_ne_u32_e32 vcc_lo, 0, v11
	v_cndmask_b32_e32 v92, 0, v10, vcc_lo
.LBB4_6377:                             ;   in Loop: Header=BB4_5740 Depth=2
	s_or_b32 exec_lo, exec_lo, s40
.LBB4_6378:                             ;   in Loop: Header=BB4_5740 Depth=2
	s_or_b32 exec_lo, exec_lo, s29
	v_cmp_gt_i16_sdwa s29, v13, v81 src0_sel:BYTE_1 src1_sel:DWORD
	s_mov_b32 s13, 0
	s_and_saveexec_b32 s40, s29
	s_xor_b32 s29, exec_lo, s40
	s_cbranch_execz .LBB4_6732
; %bb.6379:                             ;   in Loop: Header=BB4_5740 Depth=2
	v_cmp_eq_u16_sdwa s41, v13, v82 src0_sel:BYTE_1 src1_sel:DWORD
	s_mov_b32 s13, -1
	s_and_saveexec_b32 s40, s41
; %bb.6380:                             ;   in Loop: Header=BB4_5740 Depth=2
	s_xor_b32 s13, exec_lo, -1
; %bb.6381:                             ;   in Loop: Header=BB4_5740 Depth=2
	s_or_b32 exec_lo, exec_lo, s40
	s_and_b32 s13, s13, exec_lo
	s_or_saveexec_b32 s29, s29
	v_mov_b32_e32 v10, 0x7f800001
	s_xor_b32 exec_lo, exec_lo, s29
	s_cbranch_execnz .LBB4_6733
.LBB4_6382:                             ;   in Loop: Header=BB4_5740 Depth=2
	s_or_b32 exec_lo, exec_lo, s29
	s_and_saveexec_b32 s29, s13
	s_cbranch_execz .LBB4_6384
.LBB4_6383:                             ;   in Loop: Header=BB4_5740 Depth=2
	v_and_b32_sdwa v10, v83, v13 dst_sel:DWORD dst_unused:UNUSED_PAD src0_sel:DWORD src1_sel:BYTE_1
	v_and_b32_e32 v11, 7, v10
	v_bfe_u32 v94, v10, 3, 4
	v_ffbh_u32_e32 v12, v11
	v_cmp_eq_u32_e32 vcc_lo, 0, v94
	v_min_u32_e32 v12, 32, v12
	v_subrev_nc_u32_e32 v93, 28, v12
	v_sub_nc_u32_e32 v12, 29, v12
	v_lshlrev_b32_e32 v10, v93, v10
	v_lshlrev_b32_sdwa v93, v84, v13 dst_sel:DWORD dst_unused:UNUSED_PAD src0_sel:DWORD src1_sel:BYTE_1
	v_cndmask_b32_e32 v12, v94, v12, vcc_lo
	v_and_b32_e32 v10, 7, v10
	v_lshl_add_u32 v12, v12, 23, 0x3b800000
	v_cndmask_b32_e32 v10, v11, v10, vcc_lo
	v_and_b32_e32 v11, 0x80000000, v93
	v_lshlrev_b32_e32 v10, 20, v10
	v_or3_b32 v10, v11, v12, v10
.LBB4_6384:                             ;   in Loop: Header=BB4_5740 Depth=2
	s_or_b32 exec_lo, exec_lo, s29
	v_mul_f32_e32 v10, s28, v10
	v_mov_b32_e32 v93, 0x8000
	s_mov_b32 s29, exec_lo
	v_and_b32_e32 v11, 0x7f800000, v10
	v_cmpx_ne_u32_e32 0x7f800000, v11
	s_cbranch_execz .LBB4_6392
; %bb.6385:                             ;   in Loop: Header=BB4_5740 Depth=2
	v_mov_b32_e32 v93, 0
	s_mov_b32 s40, exec_lo
	v_cmpx_ne_u32_e32 0, v10
	s_cbranch_execz .LBB4_6391
; %bb.6386:                             ;   in Loop: Header=BB4_5740 Depth=2
	v_bfe_u32 v11, v10, 23, 8
	v_and_b32_e32 v12, 0x7fffff, v10
	v_sub_nc_u32_e32 v93, 0x78, v11
	v_cmp_gt_u32_e32 vcc_lo, 0x79, v11
	v_or_b32_e32 v94, 0x800000, v12
	v_cndmask_b32_e32 v93, 0, v93, vcc_lo
	v_cmp_eq_u32_e32 vcc_lo, 0, v11
	v_add_nc_u32_e32 v11, 0xffffff89, v11
	v_cndmask_b32_e64 v93, v93, 0x77, vcc_lo
	v_cndmask_b32_e32 v12, v94, v12, vcc_lo
	v_cndmask_b32_e64 v11, v11, 0xffffff8a, vcc_lo
	v_lshl_add_u32 v94, 0x100000, v93, -1
	v_lshrrev_b32_e32 v95, v93, v12
	v_lshlrev_b32_e64 v105, v93, 0x80000
	v_add_nc_u32_e32 v93, v93, v11
	v_and_b32_e32 v12, v94, v12
	v_bfe_u32 v104, v95, 20, 1
	v_cmp_eq_u32_e64 s13, v12, v105
	v_add_nc_u32_e32 v94, -1, v104
	v_cndmask_b32_e64 v12, 0, v94, s13
	v_lshrrev_b32_e32 v94, 23, v95
	s_mov_b32 s13, exec_lo
	v_add_nc_u32_e32 v12, v12, v95
	v_xor_b32_e32 v94, 1, v94
	v_and_b32_e32 v11, 0xfffff, v12
	v_add_nc_u32_e32 v12, v11, v95
                                        ; implicit-def: $vgpr11
	v_cmpx_ne_u32_e64 v93, v94
	s_xor_b32 s13, exec_lo, s13
; %bb.6387:                             ;   in Loop: Header=BB4_5740 Depth=2
	v_cmp_lt_u32_e32 vcc_lo, 0xffffff, v12
	v_sub_nc_u32_e32 v11, v93, v94
	v_cndmask_b32_e64 v93, 0, 1, vcc_lo
	v_add_co_ci_u32_e64 v11, null, 0, v11, vcc_lo
	v_lshrrev_b32_e32 v12, v93, v12
; %bb.6388:                             ;   in Loop: Header=BB4_5740 Depth=2
	s_andn2_saveexec_b32 s13, s13
; %bb.6389:                             ;   in Loop: Header=BB4_5740 Depth=2
	v_bfe_u32 v11, v12, 23, 1
; %bb.6390:                             ;   in Loop: Header=BB4_5740 Depth=2
	s_or_b32 exec_lo, exec_lo, s13
	v_lshrrev_b32_e32 v12, 20, v12
	v_min_i32_e32 v93, 15, v11
	v_cmp_gt_i32_e32 vcc_lo, 16, v11
	v_and_b32_sdwa v10, v10, v82 dst_sel:DWORD dst_unused:UNUSED_PAD src0_sel:BYTE_3 src1_sel:DWORD
	v_lshlrev_b32_e32 v93, 3, v93
	v_cndmask_b32_e32 v12, 7, v12, vcc_lo
	v_and_b32_e32 v93, 0xf8, v93
	v_and_b32_e32 v94, 7, v12
	v_or_b32_e32 v11, v11, v12
	v_or3_b32 v10, v10, v93, v94
	v_cmp_ne_u32_e32 vcc_lo, 0, v11
	v_lshlrev_b32_e32 v10, 8, v10
	v_cndmask_b32_e32 v93, 0, v10, vcc_lo
.LBB4_6391:                             ;   in Loop: Header=BB4_5740 Depth=2
	s_or_b32 exec_lo, exec_lo, s40
.LBB4_6392:                             ;   in Loop: Header=BB4_5740 Depth=2
	s_or_b32 exec_lo, exec_lo, s29
	v_and_b32_sdwa v11, v13, v85 dst_sel:DWORD dst_unused:UNUSED_PAD src0_sel:WORD_1 src1_sel:DWORD
	s_mov_b32 s13, 0
	s_mov_b32 s29, exec_lo
	v_cmpx_lt_i16_e32 0x7f, v11
	s_xor_b32 s29, exec_lo, s29
	s_cbranch_execz .LBB4_6734
; %bb.6393:                             ;   in Loop: Header=BB4_5740 Depth=2
	s_mov_b32 s13, -1
	s_mov_b32 s40, exec_lo
	v_cmpx_eq_u16_e32 0x80, v11
; %bb.6394:                             ;   in Loop: Header=BB4_5740 Depth=2
	s_xor_b32 s13, exec_lo, -1
; %bb.6395:                             ;   in Loop: Header=BB4_5740 Depth=2
	s_or_b32 exec_lo, exec_lo, s40
	s_and_b32 s13, s13, exec_lo
                                        ; implicit-def: $vgpr11
	s_or_saveexec_b32 s29, s29
	v_mov_b32_e32 v10, 0x7f800001
	s_xor_b32 exec_lo, exec_lo, s29
	s_cbranch_execnz .LBB4_6735
.LBB4_6396:                             ;   in Loop: Header=BB4_5740 Depth=2
	s_or_b32 exec_lo, exec_lo, s29
	s_and_saveexec_b32 s29, s13
	s_cbranch_execz .LBB4_6398
.LBB4_6397:                             ;   in Loop: Header=BB4_5740 Depth=2
	v_bfe_u32 v10, v13, 16, 3
	v_bfe_u32 v94, v13, 19, 4
	v_lshlrev_b32_e32 v95, 8, v13
	v_ffbh_u32_e32 v11, v10
	v_cmp_eq_u32_e32 vcc_lo, 0, v94
	v_min_u32_e32 v11, 32, v11
	v_subrev_nc_u32_e32 v12, 28, v11
	v_sub_nc_u32_e32 v11, 29, v11
	v_lshlrev_b32_sdwa v12, v12, v13 dst_sel:DWORD dst_unused:UNUSED_PAD src0_sel:DWORD src1_sel:WORD_1
	v_cndmask_b32_e32 v11, v94, v11, vcc_lo
	v_and_b32_e32 v12, 7, v12
	v_lshl_add_u32 v11, v11, 23, 0x3b800000
	v_cndmask_b32_e32 v10, v10, v12, vcc_lo
	v_and_b32_e32 v12, 0x80000000, v95
	v_lshlrev_b32_e32 v10, 20, v10
	v_or3_b32 v10, v12, v11, v10
.LBB4_6398:                             ;   in Loop: Header=BB4_5740 Depth=2
	s_or_b32 exec_lo, exec_lo, s29
	v_mul_f32_e32 v10, s28, v10
	v_mov_b32_e32 v94, 0x80
	s_mov_b32 s29, exec_lo
	v_and_b32_e32 v11, 0x7f800000, v10
	v_cmpx_ne_u32_e32 0x7f800000, v11
	s_cbranch_execz .LBB4_6406
; %bb.6399:                             ;   in Loop: Header=BB4_5740 Depth=2
	v_mov_b32_e32 v94, 0
	s_mov_b32 s40, exec_lo
	v_cmpx_ne_u32_e32 0, v10
	s_cbranch_execz .LBB4_6405
; %bb.6400:                             ;   in Loop: Header=BB4_5740 Depth=2
	v_bfe_u32 v11, v10, 23, 8
	v_and_b32_e32 v12, 0x7fffff, v10
	v_sub_nc_u32_e32 v94, 0x78, v11
	v_cmp_gt_u32_e32 vcc_lo, 0x79, v11
	v_or_b32_e32 v95, 0x800000, v12
	v_cndmask_b32_e32 v94, 0, v94, vcc_lo
	v_cmp_eq_u32_e32 vcc_lo, 0, v11
	v_add_nc_u32_e32 v11, 0xffffff89, v11
	v_cndmask_b32_e64 v94, v94, 0x77, vcc_lo
	v_cndmask_b32_e32 v12, v95, v12, vcc_lo
	v_cndmask_b32_e64 v11, v11, 0xffffff8a, vcc_lo
	v_lshl_add_u32 v95, 0x100000, v94, -1
	v_lshrrev_b32_e32 v104, v94, v12
	v_lshlrev_b32_e64 v106, v94, 0x80000
	v_add_nc_u32_e32 v94, v94, v11
	v_and_b32_e32 v12, v95, v12
	v_bfe_u32 v105, v104, 20, 1
	v_cmp_eq_u32_e64 s13, v12, v106
	v_add_nc_u32_e32 v95, -1, v105
	v_cndmask_b32_e64 v12, 0, v95, s13
	v_lshrrev_b32_e32 v95, 23, v104
	s_mov_b32 s13, exec_lo
	v_add_nc_u32_e32 v12, v12, v104
	v_xor_b32_e32 v95, 1, v95
	v_and_b32_e32 v11, 0xfffff, v12
	v_add_nc_u32_e32 v12, v11, v104
                                        ; implicit-def: $vgpr11
	v_cmpx_ne_u32_e64 v94, v95
	s_xor_b32 s13, exec_lo, s13
; %bb.6401:                             ;   in Loop: Header=BB4_5740 Depth=2
	v_cmp_lt_u32_e32 vcc_lo, 0xffffff, v12
	v_sub_nc_u32_e32 v11, v94, v95
	v_cndmask_b32_e64 v94, 0, 1, vcc_lo
	v_add_co_ci_u32_e64 v11, null, 0, v11, vcc_lo
	v_lshrrev_b32_e32 v12, v94, v12
; %bb.6402:                             ;   in Loop: Header=BB4_5740 Depth=2
	s_andn2_saveexec_b32 s13, s13
; %bb.6403:                             ;   in Loop: Header=BB4_5740 Depth=2
	v_bfe_u32 v11, v12, 23, 1
; %bb.6404:                             ;   in Loop: Header=BB4_5740 Depth=2
	s_or_b32 exec_lo, exec_lo, s13
	v_lshrrev_b32_e32 v12, 20, v12
	v_min_i32_e32 v94, 15, v11
	v_cmp_gt_i32_e32 vcc_lo, 16, v11
	v_and_b32_sdwa v10, v10, v82 dst_sel:DWORD dst_unused:UNUSED_PAD src0_sel:BYTE_3 src1_sel:DWORD
	v_lshlrev_b32_e32 v94, 3, v94
	v_cndmask_b32_e32 v12, 7, v12, vcc_lo
	v_and_b32_e32 v94, 0xf8, v94
	v_and_b32_e32 v95, 7, v12
	v_or_b32_e32 v11, v11, v12
	v_or3_b32 v10, v94, v10, v95
	v_cmp_ne_u32_e32 vcc_lo, 0, v11
	v_cndmask_b32_e32 v94, 0, v10, vcc_lo
.LBB4_6405:                             ;   in Loop: Header=BB4_5740 Depth=2
	s_or_b32 exec_lo, exec_lo, s40
.LBB4_6406:                             ;   in Loop: Header=BB4_5740 Depth=2
	s_or_b32 exec_lo, exec_lo, s29
	v_cmp_gt_i16_sdwa s29, v13, v81 src0_sel:BYTE_3 src1_sel:DWORD
	s_mov_b32 s13, 0
	s_and_saveexec_b32 s40, s29
	s_xor_b32 s29, exec_lo, s40
	s_cbranch_execz .LBB4_6736
; %bb.6407:                             ;   in Loop: Header=BB4_5740 Depth=2
	v_cmp_eq_u16_sdwa s41, v13, v82 src0_sel:BYTE_3 src1_sel:DWORD
	s_mov_b32 s13, -1
	s_and_saveexec_b32 s40, s41
; %bb.6408:                             ;   in Loop: Header=BB4_5740 Depth=2
	s_xor_b32 s13, exec_lo, -1
; %bb.6409:                             ;   in Loop: Header=BB4_5740 Depth=2
	s_or_b32 exec_lo, exec_lo, s40
	s_and_b32 s13, s13, exec_lo
	s_or_saveexec_b32 s29, s29
	v_mov_b32_e32 v10, 0x7f800001
	s_xor_b32 exec_lo, exec_lo, s29
	s_cbranch_execnz .LBB4_6737
.LBB4_6410:                             ;   in Loop: Header=BB4_5740 Depth=2
	s_or_b32 exec_lo, exec_lo, s29
	s_and_saveexec_b32 s29, s13
	s_cbranch_execz .LBB4_6412
.LBB4_6411:                             ;   in Loop: Header=BB4_5740 Depth=2
	v_bfe_u32 v10, v13, 24, 3
	v_bfe_u32 v95, v13, 27, 4
	v_ffbh_u32_e32 v11, v10
	v_cmp_eq_u32_e32 vcc_lo, 0, v95
	v_min_u32_e32 v11, 32, v11
	v_subrev_nc_u32_e32 v12, 28, v11
	v_sub_nc_u32_e32 v11, 29, v11
	v_lshlrev_b32_sdwa v12, v12, v13 dst_sel:DWORD dst_unused:UNUSED_PAD src0_sel:DWORD src1_sel:BYTE_3
	v_cndmask_b32_e32 v11, v95, v11, vcc_lo
	v_and_b32_e32 v12, 7, v12
	v_lshl_add_u32 v11, v11, 23, 0x3b800000
	v_cndmask_b32_e32 v10, v10, v12, vcc_lo
	v_and_b32_e32 v12, 0x80000000, v13
	v_lshlrev_b32_e32 v10, 20, v10
	v_or3_b32 v10, v12, v11, v10
.LBB4_6412:                             ;   in Loop: Header=BB4_5740 Depth=2
	s_or_b32 exec_lo, exec_lo, s29
	v_mul_f32_e32 v10, s28, v10
	v_mov_b32_e32 v95, 0x8000
	s_mov_b32 s29, exec_lo
	v_and_b32_e32 v11, 0x7f800000, v10
	v_cmpx_ne_u32_e32 0x7f800000, v11
	s_cbranch_execz .LBB4_6420
; %bb.6413:                             ;   in Loop: Header=BB4_5740 Depth=2
	v_mov_b32_e32 v95, 0
	s_mov_b32 s40, exec_lo
	v_cmpx_ne_u32_e32 0, v10
	s_cbranch_execz .LBB4_6419
; %bb.6414:                             ;   in Loop: Header=BB4_5740 Depth=2
	v_bfe_u32 v11, v10, 23, 8
	v_and_b32_e32 v12, 0x7fffff, v10
	v_sub_nc_u32_e32 v13, 0x78, v11
	v_cmp_gt_u32_e32 vcc_lo, 0x79, v11
	v_or_b32_e32 v95, 0x800000, v12
	v_cndmask_b32_e32 v13, 0, v13, vcc_lo
	v_cmp_eq_u32_e32 vcc_lo, 0, v11
	v_add_nc_u32_e32 v11, 0xffffff89, v11
	v_cndmask_b32_e64 v13, v13, 0x77, vcc_lo
	v_cndmask_b32_e32 v12, v95, v12, vcc_lo
	v_cndmask_b32_e64 v11, v11, 0xffffff8a, vcc_lo
	v_lshl_add_u32 v95, 0x100000, v13, -1
	v_lshrrev_b32_e32 v104, v13, v12
	v_lshlrev_b32_e64 v106, v13, 0x80000
	v_add_nc_u32_e32 v13, v13, v11
	v_and_b32_e32 v12, v95, v12
	v_bfe_u32 v105, v104, 20, 1
	v_cmp_eq_u32_e64 s13, v12, v106
	v_add_nc_u32_e32 v95, -1, v105
	v_cndmask_b32_e64 v12, 0, v95, s13
	v_lshrrev_b32_e32 v95, 23, v104
	s_mov_b32 s13, exec_lo
	v_add_nc_u32_e32 v12, v12, v104
	v_xor_b32_e32 v95, 1, v95
	v_and_b32_e32 v11, 0xfffff, v12
	v_add_nc_u32_e32 v12, v11, v104
                                        ; implicit-def: $vgpr11
	v_cmpx_ne_u32_e64 v13, v95
	s_xor_b32 s13, exec_lo, s13
; %bb.6415:                             ;   in Loop: Header=BB4_5740 Depth=2
	v_cmp_lt_u32_e32 vcc_lo, 0xffffff, v12
	v_sub_nc_u32_e32 v11, v13, v95
	v_cndmask_b32_e64 v13, 0, 1, vcc_lo
	v_add_co_ci_u32_e64 v11, null, 0, v11, vcc_lo
	v_lshrrev_b32_e32 v12, v13, v12
; %bb.6416:                             ;   in Loop: Header=BB4_5740 Depth=2
	s_andn2_saveexec_b32 s13, s13
; %bb.6417:                             ;   in Loop: Header=BB4_5740 Depth=2
	v_bfe_u32 v11, v12, 23, 1
; %bb.6418:                             ;   in Loop: Header=BB4_5740 Depth=2
	s_or_b32 exec_lo, exec_lo, s13
	v_lshrrev_b32_e32 v12, 20, v12
	v_min_i32_e32 v13, 15, v11
	v_cmp_gt_i32_e32 vcc_lo, 16, v11
	v_and_b32_sdwa v10, v10, v82 dst_sel:DWORD dst_unused:UNUSED_PAD src0_sel:BYTE_3 src1_sel:DWORD
	v_lshlrev_b32_e32 v13, 3, v13
	v_cndmask_b32_e32 v12, 7, v12, vcc_lo
	v_and_b32_e32 v13, 0xf8, v13
	v_and_b32_e32 v95, 7, v12
	v_or_b32_e32 v11, v11, v12
	v_or3_b32 v10, v10, v13, v95
	v_cmp_ne_u32_e32 vcc_lo, 0, v11
	v_lshlrev_b32_e32 v10, 8, v10
	v_cndmask_b32_e32 v95, 0, v10, vcc_lo
.LBB4_6419:                             ;   in Loop: Header=BB4_5740 Depth=2
	s_or_b32 exec_lo, exec_lo, s40
.LBB4_6420:                             ;   in Loop: Header=BB4_5740 Depth=2
	s_or_b32 exec_lo, exec_lo, s29
	global_load_dwordx4 v[10:13], v[54:55], off offset:1536 slc
	s_mov_b32 s13, 0
	s_waitcnt vmcnt(0)
	v_cmp_gt_i16_sdwa s29, v10, v81 src0_sel:BYTE_0 src1_sel:DWORD
	s_and_saveexec_b32 s40, s29
	s_xor_b32 s29, exec_lo, s40
	s_cbranch_execz .LBB4_6738
; %bb.6421:                             ;   in Loop: Header=BB4_5740 Depth=2
	v_cmp_eq_u16_sdwa s41, v10, v82 src0_sel:BYTE_0 src1_sel:DWORD
	s_mov_b32 s13, -1
	s_and_saveexec_b32 s40, s41
; %bb.6422:                             ;   in Loop: Header=BB4_5740 Depth=2
	s_xor_b32 s13, exec_lo, -1
; %bb.6423:                             ;   in Loop: Header=BB4_5740 Depth=2
	s_or_b32 exec_lo, exec_lo, s40
	s_and_b32 s13, s13, exec_lo
	s_or_saveexec_b32 s29, s29
	v_mov_b32_e32 v54, 0x7f800001
	s_xor_b32 exec_lo, exec_lo, s29
	s_cbranch_execnz .LBB4_6739
.LBB4_6424:                             ;   in Loop: Header=BB4_5740 Depth=2
	s_or_b32 exec_lo, exec_lo, s29
	s_and_saveexec_b32 s29, s13
	s_cbranch_execz .LBB4_6426
.LBB4_6425:                             ;   in Loop: Header=BB4_5740 Depth=2
	v_and_b32_e32 v54, 7, v10
	v_bfe_u32 v105, v10, 3, 4
	v_lshlrev_b32_e32 v106, 24, v10
	v_ffbh_u32_e32 v55, v54
	v_cmp_eq_u32_e32 vcc_lo, 0, v105
	v_min_u32_e32 v55, 32, v55
	v_subrev_nc_u32_e32 v104, 28, v55
	v_sub_nc_u32_e32 v55, 29, v55
	v_lshlrev_b32_e32 v104, v104, v10
	v_cndmask_b32_e32 v55, v105, v55, vcc_lo
	v_and_b32_e32 v104, 7, v104
	v_lshl_add_u32 v55, v55, 23, 0x3b800000
	v_cndmask_b32_e32 v54, v54, v104, vcc_lo
	v_and_b32_e32 v104, 0x80000000, v106
	v_lshlrev_b32_e32 v54, 20, v54
	v_or3_b32 v54, v104, v55, v54
.LBB4_6426:                             ;   in Loop: Header=BB4_5740 Depth=2
	s_or_b32 exec_lo, exec_lo, s29
	v_mul_f32_e32 v55, s28, v54
	v_and_b32_e32 v54, 0x7f800000, v55
	v_cmp_ne_u32_e32 vcc_lo, 0x7f800000, v54
	v_mov_b32_e32 v54, 0x80
	s_and_saveexec_b32 s29, vcc_lo
	s_cbranch_execz .LBB4_6434
; %bb.6427:                             ;   in Loop: Header=BB4_5740 Depth=2
	v_mov_b32_e32 v54, 0
	s_mov_b32 s40, exec_lo
	v_cmpx_ne_u32_e32 0, v55
	s_cbranch_execz .LBB4_6433
; %bb.6428:                             ;   in Loop: Header=BB4_5740 Depth=2
	v_bfe_u32 v54, v55, 23, 8
	v_and_b32_e32 v104, 0x7fffff, v55
	v_sub_nc_u32_e32 v105, 0x78, v54
	v_cmp_gt_u32_e32 vcc_lo, 0x79, v54
	v_or_b32_e32 v106, 0x800000, v104
	v_cndmask_b32_e32 v105, 0, v105, vcc_lo
	v_cmp_eq_u32_e32 vcc_lo, 0, v54
	v_add_nc_u32_e32 v54, 0xffffff89, v54
	v_cndmask_b32_e64 v105, v105, 0x77, vcc_lo
	v_cndmask_b32_e32 v104, v106, v104, vcc_lo
	v_cndmask_b32_e64 v54, v54, 0xffffff8a, vcc_lo
	v_lshl_add_u32 v106, 0x100000, v105, -1
	v_lshrrev_b32_e32 v107, v105, v104
	v_lshlrev_b32_e64 v109, v105, 0x80000
	v_add_nc_u32_e32 v105, v105, v54
	v_and_b32_e32 v104, v106, v104
	v_bfe_u32 v108, v107, 20, 1
	v_cmp_eq_u32_e64 s13, v104, v109
	v_add_nc_u32_e32 v106, -1, v108
	v_cndmask_b32_e64 v104, 0, v106, s13
	v_lshrrev_b32_e32 v106, 23, v107
	s_mov_b32 s13, exec_lo
	v_add_nc_u32_e32 v104, v104, v107
	v_xor_b32_e32 v106, 1, v106
	v_and_b32_e32 v54, 0xfffff, v104
	v_add_nc_u32_e32 v104, v54, v107
                                        ; implicit-def: $vgpr54
	v_cmpx_ne_u32_e64 v105, v106
	s_xor_b32 s13, exec_lo, s13
; %bb.6429:                             ;   in Loop: Header=BB4_5740 Depth=2
	v_cmp_lt_u32_e32 vcc_lo, 0xffffff, v104
	v_sub_nc_u32_e32 v54, v105, v106
	v_cndmask_b32_e64 v105, 0, 1, vcc_lo
	v_add_co_ci_u32_e64 v54, null, 0, v54, vcc_lo
	v_lshrrev_b32_e32 v104, v105, v104
; %bb.6430:                             ;   in Loop: Header=BB4_5740 Depth=2
	s_andn2_saveexec_b32 s13, s13
; %bb.6431:                             ;   in Loop: Header=BB4_5740 Depth=2
	v_bfe_u32 v54, v104, 23, 1
; %bb.6432:                             ;   in Loop: Header=BB4_5740 Depth=2
	s_or_b32 exec_lo, exec_lo, s13
	v_lshrrev_b32_e32 v104, 20, v104
	v_min_i32_e32 v105, 15, v54
	v_cmp_gt_i32_e32 vcc_lo, 16, v54
	v_and_b32_sdwa v55, v55, v82 dst_sel:DWORD dst_unused:UNUSED_PAD src0_sel:BYTE_3 src1_sel:DWORD
	v_lshlrev_b32_e32 v105, 3, v105
	v_cndmask_b32_e32 v104, 7, v104, vcc_lo
	v_and_b32_e32 v105, 0xf8, v105
	v_and_b32_e32 v106, 7, v104
	v_or_b32_e32 v54, v54, v104
	v_or3_b32 v55, v105, v55, v106
	v_cmp_ne_u32_e32 vcc_lo, 0, v54
	v_cndmask_b32_e32 v54, 0, v55, vcc_lo
.LBB4_6433:                             ;   in Loop: Header=BB4_5740 Depth=2
	s_or_b32 exec_lo, exec_lo, s40
.LBB4_6434:                             ;   in Loop: Header=BB4_5740 Depth=2
	s_or_b32 exec_lo, exec_lo, s29
	v_cmp_gt_i16_sdwa s29, v10, v81 src0_sel:BYTE_1 src1_sel:DWORD
	s_mov_b32 s13, 0
	s_and_saveexec_b32 s40, s29
	s_xor_b32 s29, exec_lo, s40
	s_cbranch_execz .LBB4_6740
; %bb.6435:                             ;   in Loop: Header=BB4_5740 Depth=2
	v_cmp_eq_u16_sdwa s41, v10, v82 src0_sel:BYTE_1 src1_sel:DWORD
	s_mov_b32 s13, -1
	s_and_saveexec_b32 s40, s41
; %bb.6436:                             ;   in Loop: Header=BB4_5740 Depth=2
	s_xor_b32 s13, exec_lo, -1
; %bb.6437:                             ;   in Loop: Header=BB4_5740 Depth=2
	s_or_b32 exec_lo, exec_lo, s40
	s_and_b32 s13, s13, exec_lo
	s_or_saveexec_b32 s29, s29
	v_mov_b32_e32 v55, 0x7f800001
	s_xor_b32 exec_lo, exec_lo, s29
	s_cbranch_execnz .LBB4_6741
.LBB4_6438:                             ;   in Loop: Header=BB4_5740 Depth=2
	s_or_b32 exec_lo, exec_lo, s29
	s_and_saveexec_b32 s29, s13
	s_cbranch_execz .LBB4_6440
.LBB4_6439:                             ;   in Loop: Header=BB4_5740 Depth=2
	v_and_b32_sdwa v55, v83, v10 dst_sel:DWORD dst_unused:UNUSED_PAD src0_sel:DWORD src1_sel:BYTE_1
	v_and_b32_e32 v104, 7, v55
	v_bfe_u32 v107, v55, 3, 4
	v_ffbh_u32_e32 v105, v104
	v_cmp_eq_u32_e32 vcc_lo, 0, v107
	v_min_u32_e32 v105, 32, v105
	v_subrev_nc_u32_e32 v106, 28, v105
	v_sub_nc_u32_e32 v105, 29, v105
	v_lshlrev_b32_e32 v55, v106, v55
	v_lshlrev_b32_sdwa v106, v84, v10 dst_sel:DWORD dst_unused:UNUSED_PAD src0_sel:DWORD src1_sel:BYTE_1
	v_cndmask_b32_e32 v105, v107, v105, vcc_lo
	v_and_b32_e32 v55, 7, v55
	v_lshl_add_u32 v105, v105, 23, 0x3b800000
	v_cndmask_b32_e32 v55, v104, v55, vcc_lo
	v_and_b32_e32 v104, 0x80000000, v106
	v_lshlrev_b32_e32 v55, 20, v55
	v_or3_b32 v55, v104, v105, v55
.LBB4_6440:                             ;   in Loop: Header=BB4_5740 Depth=2
	s_or_b32 exec_lo, exec_lo, s29
	v_mul_f32_e32 v104, s28, v55
	v_and_b32_e32 v55, 0x7f800000, v104
	v_cmp_ne_u32_e32 vcc_lo, 0x7f800000, v55
	v_mov_b32_e32 v55, 0x8000
	s_and_saveexec_b32 s29, vcc_lo
	s_cbranch_execz .LBB4_6448
; %bb.6441:                             ;   in Loop: Header=BB4_5740 Depth=2
	v_mov_b32_e32 v55, 0
	s_mov_b32 s40, exec_lo
	v_cmpx_ne_u32_e32 0, v104
	s_cbranch_execz .LBB4_6447
; %bb.6442:                             ;   in Loop: Header=BB4_5740 Depth=2
	v_bfe_u32 v55, v104, 23, 8
	v_and_b32_e32 v105, 0x7fffff, v104
	v_sub_nc_u32_e32 v106, 0x78, v55
	v_cmp_gt_u32_e32 vcc_lo, 0x79, v55
	v_or_b32_e32 v107, 0x800000, v105
	v_cndmask_b32_e32 v106, 0, v106, vcc_lo
	v_cmp_eq_u32_e32 vcc_lo, 0, v55
	v_add_nc_u32_e32 v55, 0xffffff89, v55
	v_cndmask_b32_e64 v106, v106, 0x77, vcc_lo
	v_cndmask_b32_e32 v105, v107, v105, vcc_lo
	v_cndmask_b32_e64 v55, v55, 0xffffff8a, vcc_lo
	v_lshl_add_u32 v107, 0x100000, v106, -1
	v_lshrrev_b32_e32 v108, v106, v105
	v_lshlrev_b32_e64 v110, v106, 0x80000
	v_add_nc_u32_e32 v106, v106, v55
	v_and_b32_e32 v105, v107, v105
	v_bfe_u32 v109, v108, 20, 1
	v_cmp_eq_u32_e64 s13, v105, v110
	v_add_nc_u32_e32 v107, -1, v109
	v_cndmask_b32_e64 v105, 0, v107, s13
	v_lshrrev_b32_e32 v107, 23, v108
	s_mov_b32 s13, exec_lo
	v_add_nc_u32_e32 v105, v105, v108
	v_xor_b32_e32 v107, 1, v107
	v_and_b32_e32 v55, 0xfffff, v105
	v_add_nc_u32_e32 v105, v55, v108
                                        ; implicit-def: $vgpr55
	v_cmpx_ne_u32_e64 v106, v107
	s_xor_b32 s13, exec_lo, s13
; %bb.6443:                             ;   in Loop: Header=BB4_5740 Depth=2
	v_cmp_lt_u32_e32 vcc_lo, 0xffffff, v105
	v_sub_nc_u32_e32 v55, v106, v107
	v_cndmask_b32_e64 v106, 0, 1, vcc_lo
	v_add_co_ci_u32_e64 v55, null, 0, v55, vcc_lo
	v_lshrrev_b32_e32 v105, v106, v105
; %bb.6444:                             ;   in Loop: Header=BB4_5740 Depth=2
	s_andn2_saveexec_b32 s13, s13
; %bb.6445:                             ;   in Loop: Header=BB4_5740 Depth=2
	v_bfe_u32 v55, v105, 23, 1
; %bb.6446:                             ;   in Loop: Header=BB4_5740 Depth=2
	s_or_b32 exec_lo, exec_lo, s13
	v_lshrrev_b32_e32 v105, 20, v105
	v_min_i32_e32 v106, 15, v55
	v_cmp_gt_i32_e32 vcc_lo, 16, v55
	v_and_b32_sdwa v104, v104, v82 dst_sel:DWORD dst_unused:UNUSED_PAD src0_sel:BYTE_3 src1_sel:DWORD
	v_lshlrev_b32_e32 v106, 3, v106
	v_cndmask_b32_e32 v105, 7, v105, vcc_lo
	v_and_b32_e32 v106, 0xf8, v106
	v_and_b32_e32 v107, 7, v105
	v_or_b32_e32 v55, v55, v105
	v_or3_b32 v104, v104, v106, v107
	v_cmp_ne_u32_e32 vcc_lo, 0, v55
	v_lshlrev_b32_e32 v104, 8, v104
	v_cndmask_b32_e32 v55, 0, v104, vcc_lo
.LBB4_6447:                             ;   in Loop: Header=BB4_5740 Depth=2
	s_or_b32 exec_lo, exec_lo, s40
.LBB4_6448:                             ;   in Loop: Header=BB4_5740 Depth=2
	s_or_b32 exec_lo, exec_lo, s29
	v_and_b32_sdwa v105, v10, v85 dst_sel:DWORD dst_unused:UNUSED_PAD src0_sel:WORD_1 src1_sel:DWORD
	s_mov_b32 s13, 0
	s_mov_b32 s29, exec_lo
	v_cmpx_lt_i16_e32 0x7f, v105
	s_xor_b32 s29, exec_lo, s29
	s_cbranch_execz .LBB4_6742
; %bb.6449:                             ;   in Loop: Header=BB4_5740 Depth=2
	s_mov_b32 s13, -1
	s_mov_b32 s40, exec_lo
	v_cmpx_eq_u16_e32 0x80, v105
; %bb.6450:                             ;   in Loop: Header=BB4_5740 Depth=2
	s_xor_b32 s13, exec_lo, -1
; %bb.6451:                             ;   in Loop: Header=BB4_5740 Depth=2
	s_or_b32 exec_lo, exec_lo, s40
	s_and_b32 s13, s13, exec_lo
                                        ; implicit-def: $vgpr105
	s_or_saveexec_b32 s29, s29
	v_mov_b32_e32 v104, 0x7f800001
	s_xor_b32 exec_lo, exec_lo, s29
	s_cbranch_execnz .LBB4_6743
.LBB4_6452:                             ;   in Loop: Header=BB4_5740 Depth=2
	s_or_b32 exec_lo, exec_lo, s29
	s_and_saveexec_b32 s29, s13
	s_cbranch_execz .LBB4_6454
.LBB4_6453:                             ;   in Loop: Header=BB4_5740 Depth=2
	v_bfe_u32 v104, v10, 16, 3
	v_bfe_u32 v107, v10, 19, 4
	v_lshlrev_b32_e32 v108, 8, v10
	v_ffbh_u32_e32 v105, v104
	v_cmp_eq_u32_e32 vcc_lo, 0, v107
	v_min_u32_e32 v105, 32, v105
	v_subrev_nc_u32_e32 v106, 28, v105
	v_sub_nc_u32_e32 v105, 29, v105
	v_lshlrev_b32_sdwa v106, v106, v10 dst_sel:DWORD dst_unused:UNUSED_PAD src0_sel:DWORD src1_sel:WORD_1
	v_cndmask_b32_e32 v105, v107, v105, vcc_lo
	v_and_b32_e32 v106, 7, v106
	v_lshl_add_u32 v105, v105, 23, 0x3b800000
	v_cndmask_b32_e32 v104, v104, v106, vcc_lo
	v_and_b32_e32 v106, 0x80000000, v108
	v_lshlrev_b32_e32 v104, 20, v104
	v_or3_b32 v104, v106, v105, v104
.LBB4_6454:                             ;   in Loop: Header=BB4_5740 Depth=2
	s_or_b32 exec_lo, exec_lo, s29
	v_mul_f32_e32 v105, s28, v104
	v_and_b32_e32 v104, 0x7f800000, v105
	v_cmp_ne_u32_e32 vcc_lo, 0x7f800000, v104
	v_mov_b32_e32 v104, 0x80
	s_and_saveexec_b32 s29, vcc_lo
	s_cbranch_execz .LBB4_6462
; %bb.6455:                             ;   in Loop: Header=BB4_5740 Depth=2
	v_mov_b32_e32 v104, 0
	s_mov_b32 s40, exec_lo
	v_cmpx_ne_u32_e32 0, v105
	s_cbranch_execz .LBB4_6461
; %bb.6456:                             ;   in Loop: Header=BB4_5740 Depth=2
	v_bfe_u32 v104, v105, 23, 8
	v_and_b32_e32 v106, 0x7fffff, v105
	v_sub_nc_u32_e32 v107, 0x78, v104
	v_cmp_gt_u32_e32 vcc_lo, 0x79, v104
	v_or_b32_e32 v108, 0x800000, v106
	v_cndmask_b32_e32 v107, 0, v107, vcc_lo
	v_cmp_eq_u32_e32 vcc_lo, 0, v104
	v_add_nc_u32_e32 v104, 0xffffff89, v104
	v_cndmask_b32_e64 v107, v107, 0x77, vcc_lo
	v_cndmask_b32_e32 v106, v108, v106, vcc_lo
	v_cndmask_b32_e64 v104, v104, 0xffffff8a, vcc_lo
	v_lshl_add_u32 v108, 0x100000, v107, -1
	v_lshrrev_b32_e32 v109, v107, v106
	v_lshlrev_b32_e64 v111, v107, 0x80000
	v_add_nc_u32_e32 v107, v107, v104
	v_and_b32_e32 v106, v108, v106
	v_bfe_u32 v110, v109, 20, 1
	v_cmp_eq_u32_e64 s13, v106, v111
	v_add_nc_u32_e32 v108, -1, v110
	v_cndmask_b32_e64 v106, 0, v108, s13
	v_lshrrev_b32_e32 v108, 23, v109
	s_mov_b32 s13, exec_lo
	v_add_nc_u32_e32 v106, v106, v109
	v_xor_b32_e32 v108, 1, v108
	v_and_b32_e32 v104, 0xfffff, v106
	v_add_nc_u32_e32 v106, v104, v109
                                        ; implicit-def: $vgpr104
	v_cmpx_ne_u32_e64 v107, v108
	s_xor_b32 s13, exec_lo, s13
; %bb.6457:                             ;   in Loop: Header=BB4_5740 Depth=2
	v_cmp_lt_u32_e32 vcc_lo, 0xffffff, v106
	v_sub_nc_u32_e32 v104, v107, v108
	v_cndmask_b32_e64 v107, 0, 1, vcc_lo
	v_add_co_ci_u32_e64 v104, null, 0, v104, vcc_lo
	v_lshrrev_b32_e32 v106, v107, v106
; %bb.6458:                             ;   in Loop: Header=BB4_5740 Depth=2
	s_andn2_saveexec_b32 s13, s13
; %bb.6459:                             ;   in Loop: Header=BB4_5740 Depth=2
	v_bfe_u32 v104, v106, 23, 1
; %bb.6460:                             ;   in Loop: Header=BB4_5740 Depth=2
	s_or_b32 exec_lo, exec_lo, s13
	v_lshrrev_b32_e32 v106, 20, v106
	v_min_i32_e32 v107, 15, v104
	v_cmp_gt_i32_e32 vcc_lo, 16, v104
	v_and_b32_sdwa v105, v105, v82 dst_sel:DWORD dst_unused:UNUSED_PAD src0_sel:BYTE_3 src1_sel:DWORD
	v_lshlrev_b32_e32 v107, 3, v107
	v_cndmask_b32_e32 v106, 7, v106, vcc_lo
	v_and_b32_e32 v107, 0xf8, v107
	v_and_b32_e32 v108, 7, v106
	v_or_b32_e32 v104, v104, v106
	v_or3_b32 v105, v107, v105, v108
	v_cmp_ne_u32_e32 vcc_lo, 0, v104
	v_cndmask_b32_e32 v104, 0, v105, vcc_lo
.LBB4_6461:                             ;   in Loop: Header=BB4_5740 Depth=2
	s_or_b32 exec_lo, exec_lo, s40
.LBB4_6462:                             ;   in Loop: Header=BB4_5740 Depth=2
	s_or_b32 exec_lo, exec_lo, s29
	v_cmp_gt_i16_sdwa s29, v10, v81 src0_sel:BYTE_3 src1_sel:DWORD
	s_mov_b32 s13, 0
	s_and_saveexec_b32 s40, s29
	s_xor_b32 s29, exec_lo, s40
	s_cbranch_execz .LBB4_6744
; %bb.6463:                             ;   in Loop: Header=BB4_5740 Depth=2
	v_cmp_eq_u16_sdwa s41, v10, v82 src0_sel:BYTE_3 src1_sel:DWORD
	s_mov_b32 s13, -1
	s_and_saveexec_b32 s40, s41
; %bb.6464:                             ;   in Loop: Header=BB4_5740 Depth=2
	s_xor_b32 s13, exec_lo, -1
; %bb.6465:                             ;   in Loop: Header=BB4_5740 Depth=2
	s_or_b32 exec_lo, exec_lo, s40
	s_and_b32 s13, s13, exec_lo
	s_or_saveexec_b32 s29, s29
	v_mov_b32_e32 v105, 0x7f800001
	s_xor_b32 exec_lo, exec_lo, s29
	s_cbranch_execnz .LBB4_6745
.LBB4_6466:                             ;   in Loop: Header=BB4_5740 Depth=2
	s_or_b32 exec_lo, exec_lo, s29
	s_and_saveexec_b32 s29, s13
	s_cbranch_execz .LBB4_6468
.LBB4_6467:                             ;   in Loop: Header=BB4_5740 Depth=2
	v_bfe_u32 v105, v10, 24, 3
	v_bfe_u32 v108, v10, 27, 4
	v_ffbh_u32_e32 v106, v105
	v_cmp_eq_u32_e32 vcc_lo, 0, v108
	v_min_u32_e32 v106, 32, v106
	v_subrev_nc_u32_e32 v107, 28, v106
	v_sub_nc_u32_e32 v106, 29, v106
	v_lshlrev_b32_sdwa v107, v107, v10 dst_sel:DWORD dst_unused:UNUSED_PAD src0_sel:DWORD src1_sel:BYTE_3
	v_cndmask_b32_e32 v106, v108, v106, vcc_lo
	v_and_b32_e32 v10, 0x80000000, v10
	v_and_b32_e32 v107, 7, v107
	v_lshl_add_u32 v106, v106, 23, 0x3b800000
	v_cndmask_b32_e32 v105, v105, v107, vcc_lo
	v_lshlrev_b32_e32 v105, 20, v105
	v_or3_b32 v105, v10, v106, v105
.LBB4_6468:                             ;   in Loop: Header=BB4_5740 Depth=2
	s_or_b32 exec_lo, exec_lo, s29
	v_mul_f32_e32 v105, s28, v105
	v_and_b32_e32 v10, 0x7f800000, v105
	v_cmp_ne_u32_e32 vcc_lo, 0x7f800000, v10
	v_mov_b32_e32 v10, 0x8000
	s_and_saveexec_b32 s29, vcc_lo
	s_cbranch_execz .LBB4_6476
; %bb.6469:                             ;   in Loop: Header=BB4_5740 Depth=2
	v_mov_b32_e32 v10, 0
	s_mov_b32 s40, exec_lo
	v_cmpx_ne_u32_e32 0, v105
	s_cbranch_execz .LBB4_6475
; %bb.6470:                             ;   in Loop: Header=BB4_5740 Depth=2
	v_bfe_u32 v10, v105, 23, 8
	v_and_b32_e32 v106, 0x7fffff, v105
	v_sub_nc_u32_e32 v107, 0x78, v10
	v_cmp_gt_u32_e32 vcc_lo, 0x79, v10
	v_or_b32_e32 v108, 0x800000, v106
	v_cndmask_b32_e32 v107, 0, v107, vcc_lo
	v_cmp_eq_u32_e32 vcc_lo, 0, v10
	v_add_nc_u32_e32 v10, 0xffffff89, v10
	v_cndmask_b32_e64 v107, v107, 0x77, vcc_lo
	v_cndmask_b32_e32 v106, v108, v106, vcc_lo
	v_cndmask_b32_e64 v10, v10, 0xffffff8a, vcc_lo
	v_lshl_add_u32 v108, 0x100000, v107, -1
	v_lshrrev_b32_e32 v109, v107, v106
	v_lshlrev_b32_e64 v111, v107, 0x80000
	v_add_nc_u32_e32 v107, v107, v10
	v_and_b32_e32 v106, v108, v106
	v_bfe_u32 v110, v109, 20, 1
	v_cmp_eq_u32_e64 s13, v106, v111
	v_add_nc_u32_e32 v108, -1, v110
	v_cndmask_b32_e64 v106, 0, v108, s13
	v_lshrrev_b32_e32 v108, 23, v109
	s_mov_b32 s13, exec_lo
	v_add_nc_u32_e32 v106, v106, v109
	v_xor_b32_e32 v108, 1, v108
	v_and_b32_e32 v10, 0xfffff, v106
	v_add_nc_u32_e32 v106, v10, v109
                                        ; implicit-def: $vgpr10
	v_cmpx_ne_u32_e64 v107, v108
	s_xor_b32 s13, exec_lo, s13
; %bb.6471:                             ;   in Loop: Header=BB4_5740 Depth=2
	v_cmp_lt_u32_e32 vcc_lo, 0xffffff, v106
	v_sub_nc_u32_e32 v10, v107, v108
	v_cndmask_b32_e64 v107, 0, 1, vcc_lo
	v_add_co_ci_u32_e64 v10, null, 0, v10, vcc_lo
	v_lshrrev_b32_e32 v106, v107, v106
; %bb.6472:                             ;   in Loop: Header=BB4_5740 Depth=2
	s_andn2_saveexec_b32 s13, s13
; %bb.6473:                             ;   in Loop: Header=BB4_5740 Depth=2
	v_bfe_u32 v10, v106, 23, 1
; %bb.6474:                             ;   in Loop: Header=BB4_5740 Depth=2
	s_or_b32 exec_lo, exec_lo, s13
	v_lshrrev_b32_e32 v106, 20, v106
	v_min_i32_e32 v107, 15, v10
	v_cmp_gt_i32_e32 vcc_lo, 16, v10
	v_and_b32_sdwa v105, v105, v82 dst_sel:DWORD dst_unused:UNUSED_PAD src0_sel:BYTE_3 src1_sel:DWORD
	v_lshlrev_b32_e32 v107, 3, v107
	v_cndmask_b32_e32 v106, 7, v106, vcc_lo
	v_and_b32_e32 v107, 0xf8, v107
	v_and_b32_e32 v108, 7, v106
	v_or_b32_e32 v10, v10, v106
	v_or3_b32 v105, v105, v107, v108
	v_cmp_ne_u32_e32 vcc_lo, 0, v10
	v_lshlrev_b32_e32 v105, 8, v105
	v_cndmask_b32_e32 v10, 0, v105, vcc_lo
.LBB4_6475:                             ;   in Loop: Header=BB4_5740 Depth=2
	s_or_b32 exec_lo, exec_lo, s40
.LBB4_6476:                             ;   in Loop: Header=BB4_5740 Depth=2
	s_or_b32 exec_lo, exec_lo, s29
	v_cmp_gt_i16_sdwa s29, v11, v81 src0_sel:BYTE_0 src1_sel:DWORD
	s_mov_b32 s13, 0
	s_and_saveexec_b32 s40, s29
	s_xor_b32 s29, exec_lo, s40
	s_cbranch_execz .LBB4_6746
; %bb.6477:                             ;   in Loop: Header=BB4_5740 Depth=2
	v_cmp_eq_u16_sdwa s41, v11, v82 src0_sel:BYTE_0 src1_sel:DWORD
	s_mov_b32 s13, -1
	s_and_saveexec_b32 s40, s41
; %bb.6478:                             ;   in Loop: Header=BB4_5740 Depth=2
	s_xor_b32 s13, exec_lo, -1
; %bb.6479:                             ;   in Loop: Header=BB4_5740 Depth=2
	s_or_b32 exec_lo, exec_lo, s40
	s_and_b32 s13, s13, exec_lo
	s_or_saveexec_b32 s29, s29
	v_mov_b32_e32 v105, 0x7f800001
	s_xor_b32 exec_lo, exec_lo, s29
	s_cbranch_execnz .LBB4_6747
.LBB4_6480:                             ;   in Loop: Header=BB4_5740 Depth=2
	s_or_b32 exec_lo, exec_lo, s29
	s_and_saveexec_b32 s29, s13
	s_cbranch_execz .LBB4_6482
.LBB4_6481:                             ;   in Loop: Header=BB4_5740 Depth=2
	v_and_b32_e32 v105, 7, v11
	v_bfe_u32 v108, v11, 3, 4
	v_lshlrev_b32_e32 v109, 24, v11
	v_ffbh_u32_e32 v106, v105
	v_cmp_eq_u32_e32 vcc_lo, 0, v108
	v_min_u32_e32 v106, 32, v106
	v_subrev_nc_u32_e32 v107, 28, v106
	v_sub_nc_u32_e32 v106, 29, v106
	v_lshlrev_b32_e32 v107, v107, v11
	v_cndmask_b32_e32 v106, v108, v106, vcc_lo
	v_and_b32_e32 v107, 7, v107
	v_lshl_add_u32 v106, v106, 23, 0x3b800000
	v_cndmask_b32_e32 v105, v105, v107, vcc_lo
	v_and_b32_e32 v107, 0x80000000, v109
	v_lshlrev_b32_e32 v105, 20, v105
	v_or3_b32 v105, v107, v106, v105
.LBB4_6482:                             ;   in Loop: Header=BB4_5740 Depth=2
	s_or_b32 exec_lo, exec_lo, s29
	v_mul_f32_e32 v106, s28, v105
	v_and_b32_e32 v105, 0x7f800000, v106
	v_cmp_ne_u32_e32 vcc_lo, 0x7f800000, v105
	v_mov_b32_e32 v105, 0x80
	s_and_saveexec_b32 s29, vcc_lo
	s_cbranch_execz .LBB4_6490
; %bb.6483:                             ;   in Loop: Header=BB4_5740 Depth=2
	v_mov_b32_e32 v105, 0
	s_mov_b32 s40, exec_lo
	v_cmpx_ne_u32_e32 0, v106
	s_cbranch_execz .LBB4_6489
; %bb.6484:                             ;   in Loop: Header=BB4_5740 Depth=2
	v_bfe_u32 v105, v106, 23, 8
	v_and_b32_e32 v107, 0x7fffff, v106
	v_sub_nc_u32_e32 v108, 0x78, v105
	v_cmp_gt_u32_e32 vcc_lo, 0x79, v105
	v_or_b32_e32 v109, 0x800000, v107
	v_cndmask_b32_e32 v108, 0, v108, vcc_lo
	v_cmp_eq_u32_e32 vcc_lo, 0, v105
	v_add_nc_u32_e32 v105, 0xffffff89, v105
	v_cndmask_b32_e64 v108, v108, 0x77, vcc_lo
	v_cndmask_b32_e32 v107, v109, v107, vcc_lo
	v_cndmask_b32_e64 v105, v105, 0xffffff8a, vcc_lo
	v_lshl_add_u32 v109, 0x100000, v108, -1
	v_lshrrev_b32_e32 v110, v108, v107
	v_lshlrev_b32_e64 v120, v108, 0x80000
	v_add_nc_u32_e32 v108, v108, v105
	v_and_b32_e32 v107, v109, v107
	v_bfe_u32 v111, v110, 20, 1
	v_cmp_eq_u32_e64 s13, v107, v120
	v_add_nc_u32_e32 v109, -1, v111
	v_cndmask_b32_e64 v107, 0, v109, s13
	v_lshrrev_b32_e32 v109, 23, v110
	s_mov_b32 s13, exec_lo
	v_add_nc_u32_e32 v107, v107, v110
	v_xor_b32_e32 v109, 1, v109
	v_and_b32_e32 v105, 0xfffff, v107
	v_add_nc_u32_e32 v107, v105, v110
                                        ; implicit-def: $vgpr105
	v_cmpx_ne_u32_e64 v108, v109
	s_xor_b32 s13, exec_lo, s13
; %bb.6485:                             ;   in Loop: Header=BB4_5740 Depth=2
	v_cmp_lt_u32_e32 vcc_lo, 0xffffff, v107
	v_sub_nc_u32_e32 v105, v108, v109
	v_cndmask_b32_e64 v108, 0, 1, vcc_lo
	v_add_co_ci_u32_e64 v105, null, 0, v105, vcc_lo
	v_lshrrev_b32_e32 v107, v108, v107
; %bb.6486:                             ;   in Loop: Header=BB4_5740 Depth=2
	s_andn2_saveexec_b32 s13, s13
; %bb.6487:                             ;   in Loop: Header=BB4_5740 Depth=2
	v_bfe_u32 v105, v107, 23, 1
; %bb.6488:                             ;   in Loop: Header=BB4_5740 Depth=2
	s_or_b32 exec_lo, exec_lo, s13
	v_lshrrev_b32_e32 v107, 20, v107
	v_min_i32_e32 v108, 15, v105
	v_cmp_gt_i32_e32 vcc_lo, 16, v105
	v_and_b32_sdwa v106, v106, v82 dst_sel:DWORD dst_unused:UNUSED_PAD src0_sel:BYTE_3 src1_sel:DWORD
	v_lshlrev_b32_e32 v108, 3, v108
	v_cndmask_b32_e32 v107, 7, v107, vcc_lo
	v_and_b32_e32 v108, 0xf8, v108
	v_and_b32_e32 v109, 7, v107
	v_or_b32_e32 v105, v105, v107
	v_or3_b32 v106, v108, v106, v109
	v_cmp_ne_u32_e32 vcc_lo, 0, v105
	v_cndmask_b32_e32 v105, 0, v106, vcc_lo
.LBB4_6489:                             ;   in Loop: Header=BB4_5740 Depth=2
	s_or_b32 exec_lo, exec_lo, s40
.LBB4_6490:                             ;   in Loop: Header=BB4_5740 Depth=2
	s_or_b32 exec_lo, exec_lo, s29
	v_cmp_gt_i16_sdwa s29, v11, v81 src0_sel:BYTE_1 src1_sel:DWORD
	s_mov_b32 s13, 0
	s_and_saveexec_b32 s40, s29
	s_xor_b32 s29, exec_lo, s40
	s_cbranch_execz .LBB4_6748
; %bb.6491:                             ;   in Loop: Header=BB4_5740 Depth=2
	v_cmp_eq_u16_sdwa s41, v11, v82 src0_sel:BYTE_1 src1_sel:DWORD
	s_mov_b32 s13, -1
	s_and_saveexec_b32 s40, s41
; %bb.6492:                             ;   in Loop: Header=BB4_5740 Depth=2
	s_xor_b32 s13, exec_lo, -1
; %bb.6493:                             ;   in Loop: Header=BB4_5740 Depth=2
	s_or_b32 exec_lo, exec_lo, s40
	s_and_b32 s13, s13, exec_lo
	s_or_saveexec_b32 s29, s29
	v_mov_b32_e32 v106, 0x7f800001
	s_xor_b32 exec_lo, exec_lo, s29
	s_cbranch_execnz .LBB4_6749
.LBB4_6494:                             ;   in Loop: Header=BB4_5740 Depth=2
	s_or_b32 exec_lo, exec_lo, s29
	s_and_saveexec_b32 s29, s13
	s_cbranch_execz .LBB4_6496
.LBB4_6495:                             ;   in Loop: Header=BB4_5740 Depth=2
	v_and_b32_sdwa v106, v83, v11 dst_sel:DWORD dst_unused:UNUSED_PAD src0_sel:DWORD src1_sel:BYTE_1
	v_and_b32_e32 v107, 7, v106
	v_bfe_u32 v110, v106, 3, 4
	v_ffbh_u32_e32 v108, v107
	v_cmp_eq_u32_e32 vcc_lo, 0, v110
	v_min_u32_e32 v108, 32, v108
	v_subrev_nc_u32_e32 v109, 28, v108
	v_sub_nc_u32_e32 v108, 29, v108
	v_lshlrev_b32_e32 v106, v109, v106
	v_lshlrev_b32_sdwa v109, v84, v11 dst_sel:DWORD dst_unused:UNUSED_PAD src0_sel:DWORD src1_sel:BYTE_1
	v_cndmask_b32_e32 v108, v110, v108, vcc_lo
	v_and_b32_e32 v106, 7, v106
	v_lshl_add_u32 v108, v108, 23, 0x3b800000
	v_cndmask_b32_e32 v106, v107, v106, vcc_lo
	v_and_b32_e32 v107, 0x80000000, v109
	v_lshlrev_b32_e32 v106, 20, v106
	v_or3_b32 v106, v107, v108, v106
.LBB4_6496:                             ;   in Loop: Header=BB4_5740 Depth=2
	s_or_b32 exec_lo, exec_lo, s29
	v_mul_f32_e32 v107, s28, v106
	v_and_b32_e32 v106, 0x7f800000, v107
	v_cmp_ne_u32_e32 vcc_lo, 0x7f800000, v106
	v_mov_b32_e32 v106, 0x8000
	s_and_saveexec_b32 s29, vcc_lo
	s_cbranch_execz .LBB4_6504
; %bb.6497:                             ;   in Loop: Header=BB4_5740 Depth=2
	v_mov_b32_e32 v106, 0
	s_mov_b32 s40, exec_lo
	v_cmpx_ne_u32_e32 0, v107
	s_cbranch_execz .LBB4_6503
; %bb.6498:                             ;   in Loop: Header=BB4_5740 Depth=2
	v_bfe_u32 v106, v107, 23, 8
	v_and_b32_e32 v108, 0x7fffff, v107
	v_sub_nc_u32_e32 v109, 0x78, v106
	v_cmp_gt_u32_e32 vcc_lo, 0x79, v106
	v_or_b32_e32 v110, 0x800000, v108
	v_cndmask_b32_e32 v109, 0, v109, vcc_lo
	v_cmp_eq_u32_e32 vcc_lo, 0, v106
	v_add_nc_u32_e32 v106, 0xffffff89, v106
	v_cndmask_b32_e64 v109, v109, 0x77, vcc_lo
	v_cndmask_b32_e32 v108, v110, v108, vcc_lo
	v_cndmask_b32_e64 v106, v106, 0xffffff8a, vcc_lo
	v_lshl_add_u32 v110, 0x100000, v109, -1
	v_lshrrev_b32_e32 v111, v109, v108
	v_lshlrev_b32_e64 v121, v109, 0x80000
	v_add_nc_u32_e32 v109, v109, v106
	v_and_b32_e32 v108, v110, v108
	v_bfe_u32 v120, v111, 20, 1
	v_cmp_eq_u32_e64 s13, v108, v121
	v_add_nc_u32_e32 v110, -1, v120
	v_cndmask_b32_e64 v108, 0, v110, s13
	v_lshrrev_b32_e32 v110, 23, v111
	s_mov_b32 s13, exec_lo
	v_add_nc_u32_e32 v108, v108, v111
	v_xor_b32_e32 v110, 1, v110
	v_and_b32_e32 v106, 0xfffff, v108
	v_add_nc_u32_e32 v108, v106, v111
                                        ; implicit-def: $vgpr106
	v_cmpx_ne_u32_e64 v109, v110
	s_xor_b32 s13, exec_lo, s13
; %bb.6499:                             ;   in Loop: Header=BB4_5740 Depth=2
	v_cmp_lt_u32_e32 vcc_lo, 0xffffff, v108
	v_sub_nc_u32_e32 v106, v109, v110
	v_cndmask_b32_e64 v109, 0, 1, vcc_lo
	v_add_co_ci_u32_e64 v106, null, 0, v106, vcc_lo
	v_lshrrev_b32_e32 v108, v109, v108
; %bb.6500:                             ;   in Loop: Header=BB4_5740 Depth=2
	s_andn2_saveexec_b32 s13, s13
; %bb.6501:                             ;   in Loop: Header=BB4_5740 Depth=2
	v_bfe_u32 v106, v108, 23, 1
; %bb.6502:                             ;   in Loop: Header=BB4_5740 Depth=2
	s_or_b32 exec_lo, exec_lo, s13
	v_lshrrev_b32_e32 v108, 20, v108
	v_min_i32_e32 v109, 15, v106
	v_cmp_gt_i32_e32 vcc_lo, 16, v106
	v_and_b32_sdwa v107, v107, v82 dst_sel:DWORD dst_unused:UNUSED_PAD src0_sel:BYTE_3 src1_sel:DWORD
	v_lshlrev_b32_e32 v109, 3, v109
	v_cndmask_b32_e32 v108, 7, v108, vcc_lo
	v_and_b32_e32 v109, 0xf8, v109
	v_and_b32_e32 v110, 7, v108
	v_or_b32_e32 v106, v106, v108
	v_or3_b32 v107, v107, v109, v110
	v_cmp_ne_u32_e32 vcc_lo, 0, v106
	v_lshlrev_b32_e32 v107, 8, v107
	v_cndmask_b32_e32 v106, 0, v107, vcc_lo
.LBB4_6503:                             ;   in Loop: Header=BB4_5740 Depth=2
	s_or_b32 exec_lo, exec_lo, s40
.LBB4_6504:                             ;   in Loop: Header=BB4_5740 Depth=2
	s_or_b32 exec_lo, exec_lo, s29
	v_and_b32_sdwa v108, v11, v85 dst_sel:DWORD dst_unused:UNUSED_PAD src0_sel:WORD_1 src1_sel:DWORD
	s_mov_b32 s13, 0
	s_mov_b32 s29, exec_lo
	v_cmpx_lt_i16_e32 0x7f, v108
	s_xor_b32 s29, exec_lo, s29
	s_cbranch_execz .LBB4_6750
; %bb.6505:                             ;   in Loop: Header=BB4_5740 Depth=2
	s_mov_b32 s13, -1
	s_mov_b32 s40, exec_lo
	v_cmpx_eq_u16_e32 0x80, v108
; %bb.6506:                             ;   in Loop: Header=BB4_5740 Depth=2
	s_xor_b32 s13, exec_lo, -1
; %bb.6507:                             ;   in Loop: Header=BB4_5740 Depth=2
	s_or_b32 exec_lo, exec_lo, s40
	s_and_b32 s13, s13, exec_lo
                                        ; implicit-def: $vgpr108
	s_or_saveexec_b32 s29, s29
	v_mov_b32_e32 v107, 0x7f800001
	s_xor_b32 exec_lo, exec_lo, s29
	s_cbranch_execnz .LBB4_6751
.LBB4_6508:                             ;   in Loop: Header=BB4_5740 Depth=2
	s_or_b32 exec_lo, exec_lo, s29
	s_and_saveexec_b32 s29, s13
	s_cbranch_execz .LBB4_6510
.LBB4_6509:                             ;   in Loop: Header=BB4_5740 Depth=2
	v_bfe_u32 v107, v11, 16, 3
	v_bfe_u32 v110, v11, 19, 4
	v_lshlrev_b32_e32 v111, 8, v11
	v_ffbh_u32_e32 v108, v107
	v_cmp_eq_u32_e32 vcc_lo, 0, v110
	v_min_u32_e32 v108, 32, v108
	v_subrev_nc_u32_e32 v109, 28, v108
	v_sub_nc_u32_e32 v108, 29, v108
	v_lshlrev_b32_sdwa v109, v109, v11 dst_sel:DWORD dst_unused:UNUSED_PAD src0_sel:DWORD src1_sel:WORD_1
	v_cndmask_b32_e32 v108, v110, v108, vcc_lo
	v_and_b32_e32 v109, 7, v109
	v_lshl_add_u32 v108, v108, 23, 0x3b800000
	v_cndmask_b32_e32 v107, v107, v109, vcc_lo
	v_and_b32_e32 v109, 0x80000000, v111
	v_lshlrev_b32_e32 v107, 20, v107
	v_or3_b32 v107, v109, v108, v107
.LBB4_6510:                             ;   in Loop: Header=BB4_5740 Depth=2
	s_or_b32 exec_lo, exec_lo, s29
	v_mul_f32_e32 v108, s28, v107
	v_and_b32_e32 v107, 0x7f800000, v108
	v_cmp_ne_u32_e32 vcc_lo, 0x7f800000, v107
	v_mov_b32_e32 v107, 0x80
	s_and_saveexec_b32 s29, vcc_lo
	s_cbranch_execz .LBB4_6518
; %bb.6511:                             ;   in Loop: Header=BB4_5740 Depth=2
	v_mov_b32_e32 v107, 0
	s_mov_b32 s40, exec_lo
	v_cmpx_ne_u32_e32 0, v108
	s_cbranch_execz .LBB4_6517
; %bb.6512:                             ;   in Loop: Header=BB4_5740 Depth=2
	v_bfe_u32 v107, v108, 23, 8
	v_and_b32_e32 v109, 0x7fffff, v108
	v_sub_nc_u32_e32 v110, 0x78, v107
	v_cmp_gt_u32_e32 vcc_lo, 0x79, v107
	v_or_b32_e32 v111, 0x800000, v109
	v_cndmask_b32_e32 v110, 0, v110, vcc_lo
	v_cmp_eq_u32_e32 vcc_lo, 0, v107
	v_add_nc_u32_e32 v107, 0xffffff89, v107
	v_cndmask_b32_e64 v110, v110, 0x77, vcc_lo
	v_cndmask_b32_e32 v109, v111, v109, vcc_lo
	v_cndmask_b32_e64 v107, v107, 0xffffff8a, vcc_lo
	v_lshl_add_u32 v111, 0x100000, v110, -1
	v_lshrrev_b32_e32 v120, v110, v109
	v_lshlrev_b32_e64 v122, v110, 0x80000
	v_add_nc_u32_e32 v110, v110, v107
	v_and_b32_e32 v109, v111, v109
	v_bfe_u32 v121, v120, 20, 1
	v_cmp_eq_u32_e64 s13, v109, v122
	v_add_nc_u32_e32 v111, -1, v121
	v_cndmask_b32_e64 v109, 0, v111, s13
	v_lshrrev_b32_e32 v111, 23, v120
	s_mov_b32 s13, exec_lo
	v_add_nc_u32_e32 v109, v109, v120
	v_xor_b32_e32 v111, 1, v111
	v_and_b32_e32 v107, 0xfffff, v109
	v_add_nc_u32_e32 v109, v107, v120
                                        ; implicit-def: $vgpr107
	v_cmpx_ne_u32_e64 v110, v111
	s_xor_b32 s13, exec_lo, s13
; %bb.6513:                             ;   in Loop: Header=BB4_5740 Depth=2
	v_cmp_lt_u32_e32 vcc_lo, 0xffffff, v109
	v_sub_nc_u32_e32 v107, v110, v111
	v_cndmask_b32_e64 v110, 0, 1, vcc_lo
	v_add_co_ci_u32_e64 v107, null, 0, v107, vcc_lo
	v_lshrrev_b32_e32 v109, v110, v109
; %bb.6514:                             ;   in Loop: Header=BB4_5740 Depth=2
	s_andn2_saveexec_b32 s13, s13
; %bb.6515:                             ;   in Loop: Header=BB4_5740 Depth=2
	v_bfe_u32 v107, v109, 23, 1
; %bb.6516:                             ;   in Loop: Header=BB4_5740 Depth=2
	s_or_b32 exec_lo, exec_lo, s13
	v_lshrrev_b32_e32 v109, 20, v109
	v_min_i32_e32 v110, 15, v107
	v_cmp_gt_i32_e32 vcc_lo, 16, v107
	v_and_b32_sdwa v108, v108, v82 dst_sel:DWORD dst_unused:UNUSED_PAD src0_sel:BYTE_3 src1_sel:DWORD
	v_lshlrev_b32_e32 v110, 3, v110
	v_cndmask_b32_e32 v109, 7, v109, vcc_lo
	v_and_b32_e32 v110, 0xf8, v110
	v_and_b32_e32 v111, 7, v109
	v_or_b32_e32 v107, v107, v109
	v_or3_b32 v108, v110, v108, v111
	v_cmp_ne_u32_e32 vcc_lo, 0, v107
	v_cndmask_b32_e32 v107, 0, v108, vcc_lo
.LBB4_6517:                             ;   in Loop: Header=BB4_5740 Depth=2
	s_or_b32 exec_lo, exec_lo, s40
.LBB4_6518:                             ;   in Loop: Header=BB4_5740 Depth=2
	s_or_b32 exec_lo, exec_lo, s29
	v_cmp_gt_i16_sdwa s29, v11, v81 src0_sel:BYTE_3 src1_sel:DWORD
	s_mov_b32 s13, 0
	s_and_saveexec_b32 s40, s29
	s_xor_b32 s29, exec_lo, s40
	s_cbranch_execz .LBB4_6752
; %bb.6519:                             ;   in Loop: Header=BB4_5740 Depth=2
	v_cmp_eq_u16_sdwa s41, v11, v82 src0_sel:BYTE_3 src1_sel:DWORD
	s_mov_b32 s13, -1
	s_and_saveexec_b32 s40, s41
; %bb.6520:                             ;   in Loop: Header=BB4_5740 Depth=2
	s_xor_b32 s13, exec_lo, -1
; %bb.6521:                             ;   in Loop: Header=BB4_5740 Depth=2
	s_or_b32 exec_lo, exec_lo, s40
	s_and_b32 s13, s13, exec_lo
	s_or_saveexec_b32 s29, s29
	v_mov_b32_e32 v108, 0x7f800001
	s_xor_b32 exec_lo, exec_lo, s29
	s_cbranch_execnz .LBB4_6753
.LBB4_6522:                             ;   in Loop: Header=BB4_5740 Depth=2
	s_or_b32 exec_lo, exec_lo, s29
	s_and_saveexec_b32 s29, s13
	s_cbranch_execz .LBB4_6524
.LBB4_6523:                             ;   in Loop: Header=BB4_5740 Depth=2
	v_bfe_u32 v108, v11, 24, 3
	v_bfe_u32 v111, v11, 27, 4
	v_ffbh_u32_e32 v109, v108
	v_cmp_eq_u32_e32 vcc_lo, 0, v111
	v_min_u32_e32 v109, 32, v109
	v_subrev_nc_u32_e32 v110, 28, v109
	v_sub_nc_u32_e32 v109, 29, v109
	v_lshlrev_b32_sdwa v110, v110, v11 dst_sel:DWORD dst_unused:UNUSED_PAD src0_sel:DWORD src1_sel:BYTE_3
	v_cndmask_b32_e32 v109, v111, v109, vcc_lo
	v_and_b32_e32 v11, 0x80000000, v11
	v_and_b32_e32 v110, 7, v110
	v_lshl_add_u32 v109, v109, 23, 0x3b800000
	v_cndmask_b32_e32 v108, v108, v110, vcc_lo
	v_lshlrev_b32_e32 v108, 20, v108
	v_or3_b32 v108, v11, v109, v108
.LBB4_6524:                             ;   in Loop: Header=BB4_5740 Depth=2
	s_or_b32 exec_lo, exec_lo, s29
	v_mul_f32_e32 v108, s28, v108
	v_and_b32_e32 v11, 0x7f800000, v108
	v_cmp_ne_u32_e32 vcc_lo, 0x7f800000, v11
	v_mov_b32_e32 v11, 0x8000
	s_and_saveexec_b32 s29, vcc_lo
	s_cbranch_execz .LBB4_6532
; %bb.6525:                             ;   in Loop: Header=BB4_5740 Depth=2
	v_mov_b32_e32 v11, 0
	s_mov_b32 s40, exec_lo
	v_cmpx_ne_u32_e32 0, v108
	s_cbranch_execz .LBB4_6531
; %bb.6526:                             ;   in Loop: Header=BB4_5740 Depth=2
	v_bfe_u32 v11, v108, 23, 8
	v_and_b32_e32 v109, 0x7fffff, v108
	v_sub_nc_u32_e32 v110, 0x78, v11
	v_cmp_gt_u32_e32 vcc_lo, 0x79, v11
	v_or_b32_e32 v111, 0x800000, v109
	v_cndmask_b32_e32 v110, 0, v110, vcc_lo
	v_cmp_eq_u32_e32 vcc_lo, 0, v11
	v_add_nc_u32_e32 v11, 0xffffff89, v11
	v_cndmask_b32_e64 v110, v110, 0x77, vcc_lo
	v_cndmask_b32_e32 v109, v111, v109, vcc_lo
	v_cndmask_b32_e64 v11, v11, 0xffffff8a, vcc_lo
	v_lshl_add_u32 v111, 0x100000, v110, -1
	v_lshrrev_b32_e32 v120, v110, v109
	v_lshlrev_b32_e64 v122, v110, 0x80000
	v_add_nc_u32_e32 v110, v110, v11
	v_and_b32_e32 v109, v111, v109
	v_bfe_u32 v121, v120, 20, 1
	v_cmp_eq_u32_e64 s13, v109, v122
	v_add_nc_u32_e32 v111, -1, v121
	v_cndmask_b32_e64 v109, 0, v111, s13
	v_lshrrev_b32_e32 v111, 23, v120
	s_mov_b32 s13, exec_lo
	v_add_nc_u32_e32 v109, v109, v120
	v_xor_b32_e32 v111, 1, v111
	v_and_b32_e32 v11, 0xfffff, v109
	v_add_nc_u32_e32 v109, v11, v120
                                        ; implicit-def: $vgpr11
	v_cmpx_ne_u32_e64 v110, v111
	s_xor_b32 s13, exec_lo, s13
; %bb.6527:                             ;   in Loop: Header=BB4_5740 Depth=2
	v_cmp_lt_u32_e32 vcc_lo, 0xffffff, v109
	v_sub_nc_u32_e32 v11, v110, v111
	v_cndmask_b32_e64 v110, 0, 1, vcc_lo
	v_add_co_ci_u32_e64 v11, null, 0, v11, vcc_lo
	v_lshrrev_b32_e32 v109, v110, v109
; %bb.6528:                             ;   in Loop: Header=BB4_5740 Depth=2
	s_andn2_saveexec_b32 s13, s13
; %bb.6529:                             ;   in Loop: Header=BB4_5740 Depth=2
	v_bfe_u32 v11, v109, 23, 1
; %bb.6530:                             ;   in Loop: Header=BB4_5740 Depth=2
	s_or_b32 exec_lo, exec_lo, s13
	v_lshrrev_b32_e32 v109, 20, v109
	v_min_i32_e32 v110, 15, v11
	v_cmp_gt_i32_e32 vcc_lo, 16, v11
	v_and_b32_sdwa v108, v108, v82 dst_sel:DWORD dst_unused:UNUSED_PAD src0_sel:BYTE_3 src1_sel:DWORD
	v_lshlrev_b32_e32 v110, 3, v110
	v_cndmask_b32_e32 v109, 7, v109, vcc_lo
	v_and_b32_e32 v110, 0xf8, v110
	v_and_b32_e32 v111, 7, v109
	v_or_b32_e32 v11, v11, v109
	v_or3_b32 v108, v108, v110, v111
	v_cmp_ne_u32_e32 vcc_lo, 0, v11
	v_lshlrev_b32_e32 v108, 8, v108
	v_cndmask_b32_e32 v11, 0, v108, vcc_lo
.LBB4_6531:                             ;   in Loop: Header=BB4_5740 Depth=2
	s_or_b32 exec_lo, exec_lo, s40
.LBB4_6532:                             ;   in Loop: Header=BB4_5740 Depth=2
	s_or_b32 exec_lo, exec_lo, s29
	v_cmp_gt_i16_sdwa s29, v12, v81 src0_sel:BYTE_0 src1_sel:DWORD
	s_mov_b32 s13, 0
	s_and_saveexec_b32 s40, s29
	s_xor_b32 s29, exec_lo, s40
	s_cbranch_execz .LBB4_6754
; %bb.6533:                             ;   in Loop: Header=BB4_5740 Depth=2
	v_cmp_eq_u16_sdwa s41, v12, v82 src0_sel:BYTE_0 src1_sel:DWORD
	s_mov_b32 s13, -1
	s_and_saveexec_b32 s40, s41
; %bb.6534:                             ;   in Loop: Header=BB4_5740 Depth=2
	s_xor_b32 s13, exec_lo, -1
; %bb.6535:                             ;   in Loop: Header=BB4_5740 Depth=2
	s_or_b32 exec_lo, exec_lo, s40
	s_and_b32 s13, s13, exec_lo
	s_or_saveexec_b32 s29, s29
	v_mov_b32_e32 v108, 0x7f800001
	s_xor_b32 exec_lo, exec_lo, s29
	s_cbranch_execnz .LBB4_6755
.LBB4_6536:                             ;   in Loop: Header=BB4_5740 Depth=2
	s_or_b32 exec_lo, exec_lo, s29
	s_and_saveexec_b32 s29, s13
	s_cbranch_execz .LBB4_6538
.LBB4_6537:                             ;   in Loop: Header=BB4_5740 Depth=2
	v_and_b32_e32 v108, 7, v12
	v_bfe_u32 v111, v12, 3, 4
	v_lshlrev_b32_e32 v120, 24, v12
	v_ffbh_u32_e32 v109, v108
	v_cmp_eq_u32_e32 vcc_lo, 0, v111
	v_min_u32_e32 v109, 32, v109
	v_subrev_nc_u32_e32 v110, 28, v109
	v_sub_nc_u32_e32 v109, 29, v109
	v_lshlrev_b32_e32 v110, v110, v12
	v_cndmask_b32_e32 v109, v111, v109, vcc_lo
	v_and_b32_e32 v110, 7, v110
	v_lshl_add_u32 v109, v109, 23, 0x3b800000
	v_cndmask_b32_e32 v108, v108, v110, vcc_lo
	v_and_b32_e32 v110, 0x80000000, v120
	v_lshlrev_b32_e32 v108, 20, v108
	v_or3_b32 v108, v110, v109, v108
.LBB4_6538:                             ;   in Loop: Header=BB4_5740 Depth=2
	s_or_b32 exec_lo, exec_lo, s29
	v_mul_f32_e32 v109, s28, v108
	v_and_b32_e32 v108, 0x7f800000, v109
	v_cmp_ne_u32_e32 vcc_lo, 0x7f800000, v108
	v_mov_b32_e32 v108, 0x80
	s_and_saveexec_b32 s29, vcc_lo
	s_cbranch_execz .LBB4_6546
; %bb.6539:                             ;   in Loop: Header=BB4_5740 Depth=2
	v_mov_b32_e32 v108, 0
	s_mov_b32 s40, exec_lo
	v_cmpx_ne_u32_e32 0, v109
	s_cbranch_execz .LBB4_6545
; %bb.6540:                             ;   in Loop: Header=BB4_5740 Depth=2
	v_bfe_u32 v108, v109, 23, 8
	v_and_b32_e32 v110, 0x7fffff, v109
	v_sub_nc_u32_e32 v111, 0x78, v108
	v_cmp_gt_u32_e32 vcc_lo, 0x79, v108
	v_or_b32_e32 v120, 0x800000, v110
	v_cndmask_b32_e32 v111, 0, v111, vcc_lo
	v_cmp_eq_u32_e32 vcc_lo, 0, v108
	v_add_nc_u32_e32 v108, 0xffffff89, v108
	v_cndmask_b32_e64 v111, v111, 0x77, vcc_lo
	v_cndmask_b32_e32 v110, v120, v110, vcc_lo
	v_cndmask_b32_e64 v108, v108, 0xffffff8a, vcc_lo
	v_lshl_add_u32 v120, 0x100000, v111, -1
	v_lshrrev_b32_e32 v121, v111, v110
	v_lshlrev_b32_e64 v123, v111, 0x80000
	v_add_nc_u32_e32 v111, v111, v108
	v_and_b32_e32 v110, v120, v110
	v_bfe_u32 v122, v121, 20, 1
	v_cmp_eq_u32_e64 s13, v110, v123
	v_add_nc_u32_e32 v120, -1, v122
	v_cndmask_b32_e64 v110, 0, v120, s13
	v_lshrrev_b32_e32 v120, 23, v121
	s_mov_b32 s13, exec_lo
	v_add_nc_u32_e32 v110, v110, v121
	v_xor_b32_e32 v120, 1, v120
	v_and_b32_e32 v108, 0xfffff, v110
	v_add_nc_u32_e32 v110, v108, v121
                                        ; implicit-def: $vgpr108
	v_cmpx_ne_u32_e64 v111, v120
	s_xor_b32 s13, exec_lo, s13
; %bb.6541:                             ;   in Loop: Header=BB4_5740 Depth=2
	v_cmp_lt_u32_e32 vcc_lo, 0xffffff, v110
	v_sub_nc_u32_e32 v108, v111, v120
	v_cndmask_b32_e64 v111, 0, 1, vcc_lo
	v_add_co_ci_u32_e64 v108, null, 0, v108, vcc_lo
	v_lshrrev_b32_e32 v110, v111, v110
; %bb.6542:                             ;   in Loop: Header=BB4_5740 Depth=2
	s_andn2_saveexec_b32 s13, s13
; %bb.6543:                             ;   in Loop: Header=BB4_5740 Depth=2
	v_bfe_u32 v108, v110, 23, 1
; %bb.6544:                             ;   in Loop: Header=BB4_5740 Depth=2
	s_or_b32 exec_lo, exec_lo, s13
	v_lshrrev_b32_e32 v110, 20, v110
	v_min_i32_e32 v111, 15, v108
	v_cmp_gt_i32_e32 vcc_lo, 16, v108
	v_and_b32_sdwa v109, v109, v82 dst_sel:DWORD dst_unused:UNUSED_PAD src0_sel:BYTE_3 src1_sel:DWORD
	v_lshlrev_b32_e32 v111, 3, v111
	v_cndmask_b32_e32 v110, 7, v110, vcc_lo
	v_and_b32_e32 v111, 0xf8, v111
	v_and_b32_e32 v120, 7, v110
	v_or_b32_e32 v108, v108, v110
	v_or3_b32 v109, v111, v109, v120
	v_cmp_ne_u32_e32 vcc_lo, 0, v108
	v_cndmask_b32_e32 v108, 0, v109, vcc_lo
.LBB4_6545:                             ;   in Loop: Header=BB4_5740 Depth=2
	s_or_b32 exec_lo, exec_lo, s40
.LBB4_6546:                             ;   in Loop: Header=BB4_5740 Depth=2
	s_or_b32 exec_lo, exec_lo, s29
	v_cmp_gt_i16_sdwa s29, v12, v81 src0_sel:BYTE_1 src1_sel:DWORD
	s_mov_b32 s13, 0
	s_and_saveexec_b32 s40, s29
	s_xor_b32 s29, exec_lo, s40
	s_cbranch_execz .LBB4_6756
; %bb.6547:                             ;   in Loop: Header=BB4_5740 Depth=2
	v_cmp_eq_u16_sdwa s41, v12, v82 src0_sel:BYTE_1 src1_sel:DWORD
	s_mov_b32 s13, -1
	s_and_saveexec_b32 s40, s41
; %bb.6548:                             ;   in Loop: Header=BB4_5740 Depth=2
	s_xor_b32 s13, exec_lo, -1
; %bb.6549:                             ;   in Loop: Header=BB4_5740 Depth=2
	s_or_b32 exec_lo, exec_lo, s40
	s_and_b32 s13, s13, exec_lo
	s_or_saveexec_b32 s29, s29
	v_mov_b32_e32 v109, 0x7f800001
	s_xor_b32 exec_lo, exec_lo, s29
	s_cbranch_execnz .LBB4_6757
.LBB4_6550:                             ;   in Loop: Header=BB4_5740 Depth=2
	s_or_b32 exec_lo, exec_lo, s29
	s_and_saveexec_b32 s29, s13
	s_cbranch_execz .LBB4_6552
.LBB4_6551:                             ;   in Loop: Header=BB4_5740 Depth=2
	v_and_b32_sdwa v109, v83, v12 dst_sel:DWORD dst_unused:UNUSED_PAD src0_sel:DWORD src1_sel:BYTE_1
	v_and_b32_e32 v110, 7, v109
	v_bfe_u32 v121, v109, 3, 4
	v_ffbh_u32_e32 v111, v110
	v_cmp_eq_u32_e32 vcc_lo, 0, v121
	v_min_u32_e32 v111, 32, v111
	v_subrev_nc_u32_e32 v120, 28, v111
	v_sub_nc_u32_e32 v111, 29, v111
	v_lshlrev_b32_e32 v109, v120, v109
	v_lshlrev_b32_sdwa v120, v84, v12 dst_sel:DWORD dst_unused:UNUSED_PAD src0_sel:DWORD src1_sel:BYTE_1
	v_cndmask_b32_e32 v111, v121, v111, vcc_lo
	v_and_b32_e32 v109, 7, v109
	v_lshl_add_u32 v111, v111, 23, 0x3b800000
	v_cndmask_b32_e32 v109, v110, v109, vcc_lo
	v_and_b32_e32 v110, 0x80000000, v120
	v_lshlrev_b32_e32 v109, 20, v109
	v_or3_b32 v109, v110, v111, v109
.LBB4_6552:                             ;   in Loop: Header=BB4_5740 Depth=2
	s_or_b32 exec_lo, exec_lo, s29
	v_mul_f32_e32 v110, s28, v109
	v_and_b32_e32 v109, 0x7f800000, v110
	v_cmp_ne_u32_e32 vcc_lo, 0x7f800000, v109
	v_mov_b32_e32 v109, 0x8000
	s_and_saveexec_b32 s29, vcc_lo
	s_cbranch_execz .LBB4_6560
; %bb.6553:                             ;   in Loop: Header=BB4_5740 Depth=2
	v_mov_b32_e32 v109, 0
	s_mov_b32 s40, exec_lo
	v_cmpx_ne_u32_e32 0, v110
	s_cbranch_execz .LBB4_6559
; %bb.6554:                             ;   in Loop: Header=BB4_5740 Depth=2
	v_bfe_u32 v109, v110, 23, 8
	v_and_b32_e32 v111, 0x7fffff, v110
	v_sub_nc_u32_e32 v120, 0x78, v109
	v_cmp_gt_u32_e32 vcc_lo, 0x79, v109
	v_or_b32_e32 v121, 0x800000, v111
	v_cndmask_b32_e32 v120, 0, v120, vcc_lo
	v_cmp_eq_u32_e32 vcc_lo, 0, v109
	v_add_nc_u32_e32 v109, 0xffffff89, v109
	v_cndmask_b32_e64 v120, v120, 0x77, vcc_lo
	v_cndmask_b32_e32 v111, v121, v111, vcc_lo
	v_cndmask_b32_e64 v109, v109, 0xffffff8a, vcc_lo
	v_lshl_add_u32 v121, 0x100000, v120, -1
	v_lshrrev_b32_e32 v122, v120, v111
	v_lshlrev_b32_e64 v124, v120, 0x80000
	v_add_nc_u32_e32 v120, v120, v109
	v_and_b32_e32 v111, v121, v111
	v_bfe_u32 v123, v122, 20, 1
	v_cmp_eq_u32_e64 s13, v111, v124
	v_add_nc_u32_e32 v121, -1, v123
	v_cndmask_b32_e64 v111, 0, v121, s13
	v_lshrrev_b32_e32 v121, 23, v122
	s_mov_b32 s13, exec_lo
	v_add_nc_u32_e32 v111, v111, v122
	v_xor_b32_e32 v121, 1, v121
	v_and_b32_e32 v109, 0xfffff, v111
	v_add_nc_u32_e32 v111, v109, v122
                                        ; implicit-def: $vgpr109
	v_cmpx_ne_u32_e64 v120, v121
	s_xor_b32 s13, exec_lo, s13
; %bb.6555:                             ;   in Loop: Header=BB4_5740 Depth=2
	v_cmp_lt_u32_e32 vcc_lo, 0xffffff, v111
	v_sub_nc_u32_e32 v109, v120, v121
	v_cndmask_b32_e64 v120, 0, 1, vcc_lo
	v_add_co_ci_u32_e64 v109, null, 0, v109, vcc_lo
	v_lshrrev_b32_e32 v111, v120, v111
; %bb.6556:                             ;   in Loop: Header=BB4_5740 Depth=2
	s_andn2_saveexec_b32 s13, s13
; %bb.6557:                             ;   in Loop: Header=BB4_5740 Depth=2
	v_bfe_u32 v109, v111, 23, 1
; %bb.6558:                             ;   in Loop: Header=BB4_5740 Depth=2
	s_or_b32 exec_lo, exec_lo, s13
	v_lshrrev_b32_e32 v111, 20, v111
	v_min_i32_e32 v120, 15, v109
	v_cmp_gt_i32_e32 vcc_lo, 16, v109
	v_and_b32_sdwa v110, v110, v82 dst_sel:DWORD dst_unused:UNUSED_PAD src0_sel:BYTE_3 src1_sel:DWORD
	v_lshlrev_b32_e32 v120, 3, v120
	v_cndmask_b32_e32 v111, 7, v111, vcc_lo
	v_and_b32_e32 v120, 0xf8, v120
	v_and_b32_e32 v121, 7, v111
	v_or_b32_e32 v109, v109, v111
	v_or3_b32 v110, v110, v120, v121
	v_cmp_ne_u32_e32 vcc_lo, 0, v109
	v_lshlrev_b32_e32 v110, 8, v110
	v_cndmask_b32_e32 v109, 0, v110, vcc_lo
.LBB4_6559:                             ;   in Loop: Header=BB4_5740 Depth=2
	s_or_b32 exec_lo, exec_lo, s40
.LBB4_6560:                             ;   in Loop: Header=BB4_5740 Depth=2
	s_or_b32 exec_lo, exec_lo, s29
	v_and_b32_sdwa v111, v12, v85 dst_sel:DWORD dst_unused:UNUSED_PAD src0_sel:WORD_1 src1_sel:DWORD
	s_mov_b32 s13, 0
	s_mov_b32 s29, exec_lo
	v_cmpx_lt_i16_e32 0x7f, v111
	s_xor_b32 s29, exec_lo, s29
	s_cbranch_execz .LBB4_6758
; %bb.6561:                             ;   in Loop: Header=BB4_5740 Depth=2
	s_mov_b32 s13, -1
	s_mov_b32 s40, exec_lo
	v_cmpx_eq_u16_e32 0x80, v111
; %bb.6562:                             ;   in Loop: Header=BB4_5740 Depth=2
	s_xor_b32 s13, exec_lo, -1
; %bb.6563:                             ;   in Loop: Header=BB4_5740 Depth=2
	s_or_b32 exec_lo, exec_lo, s40
	s_and_b32 s13, s13, exec_lo
                                        ; implicit-def: $vgpr111
	s_or_saveexec_b32 s29, s29
	v_mov_b32_e32 v110, 0x7f800001
	s_xor_b32 exec_lo, exec_lo, s29
	s_cbranch_execnz .LBB4_6759
.LBB4_6564:                             ;   in Loop: Header=BB4_5740 Depth=2
	s_or_b32 exec_lo, exec_lo, s29
	s_and_saveexec_b32 s29, s13
	s_cbranch_execz .LBB4_6566
.LBB4_6565:                             ;   in Loop: Header=BB4_5740 Depth=2
	v_bfe_u32 v110, v12, 16, 3
	v_bfe_u32 v121, v12, 19, 4
	v_lshlrev_b32_e32 v122, 8, v12
	v_ffbh_u32_e32 v111, v110
	v_cmp_eq_u32_e32 vcc_lo, 0, v121
	v_min_u32_e32 v111, 32, v111
	v_subrev_nc_u32_e32 v120, 28, v111
	v_sub_nc_u32_e32 v111, 29, v111
	v_lshlrev_b32_sdwa v120, v120, v12 dst_sel:DWORD dst_unused:UNUSED_PAD src0_sel:DWORD src1_sel:WORD_1
	v_cndmask_b32_e32 v111, v121, v111, vcc_lo
	v_and_b32_e32 v120, 7, v120
	v_lshl_add_u32 v111, v111, 23, 0x3b800000
	v_cndmask_b32_e32 v110, v110, v120, vcc_lo
	v_and_b32_e32 v120, 0x80000000, v122
	v_lshlrev_b32_e32 v110, 20, v110
	v_or3_b32 v110, v120, v111, v110
.LBB4_6566:                             ;   in Loop: Header=BB4_5740 Depth=2
	s_or_b32 exec_lo, exec_lo, s29
	v_mul_f32_e32 v111, s28, v110
	v_and_b32_e32 v110, 0x7f800000, v111
	v_cmp_ne_u32_e32 vcc_lo, 0x7f800000, v110
	v_mov_b32_e32 v110, 0x80
	s_and_saveexec_b32 s29, vcc_lo
	s_cbranch_execz .LBB4_6574
; %bb.6567:                             ;   in Loop: Header=BB4_5740 Depth=2
	v_mov_b32_e32 v110, 0
	s_mov_b32 s40, exec_lo
	v_cmpx_ne_u32_e32 0, v111
	s_cbranch_execz .LBB4_6573
; %bb.6568:                             ;   in Loop: Header=BB4_5740 Depth=2
	v_bfe_u32 v110, v111, 23, 8
	v_and_b32_e32 v120, 0x7fffff, v111
	v_sub_nc_u32_e32 v121, 0x78, v110
	v_cmp_gt_u32_e32 vcc_lo, 0x79, v110
	v_or_b32_e32 v122, 0x800000, v120
	v_cndmask_b32_e32 v121, 0, v121, vcc_lo
	v_cmp_eq_u32_e32 vcc_lo, 0, v110
	v_add_nc_u32_e32 v110, 0xffffff89, v110
	v_cndmask_b32_e64 v121, v121, 0x77, vcc_lo
	v_cndmask_b32_e32 v120, v122, v120, vcc_lo
	v_cndmask_b32_e64 v110, v110, 0xffffff8a, vcc_lo
	v_lshl_add_u32 v122, 0x100000, v121, -1
	v_lshrrev_b32_e32 v123, v121, v120
	v_lshlrev_b32_e64 v125, v121, 0x80000
	v_add_nc_u32_e32 v121, v121, v110
	v_and_b32_e32 v120, v122, v120
	v_bfe_u32 v124, v123, 20, 1
	v_cmp_eq_u32_e64 s13, v120, v125
	v_add_nc_u32_e32 v122, -1, v124
	v_cndmask_b32_e64 v120, 0, v122, s13
	v_lshrrev_b32_e32 v122, 23, v123
	s_mov_b32 s13, exec_lo
	v_add_nc_u32_e32 v120, v120, v123
	v_xor_b32_e32 v122, 1, v122
	v_and_b32_e32 v110, 0xfffff, v120
	v_add_nc_u32_e32 v120, v110, v123
                                        ; implicit-def: $vgpr110
	v_cmpx_ne_u32_e64 v121, v122
	s_xor_b32 s13, exec_lo, s13
; %bb.6569:                             ;   in Loop: Header=BB4_5740 Depth=2
	v_cmp_lt_u32_e32 vcc_lo, 0xffffff, v120
	v_sub_nc_u32_e32 v110, v121, v122
	v_cndmask_b32_e64 v121, 0, 1, vcc_lo
	v_add_co_ci_u32_e64 v110, null, 0, v110, vcc_lo
	v_lshrrev_b32_e32 v120, v121, v120
; %bb.6570:                             ;   in Loop: Header=BB4_5740 Depth=2
	s_andn2_saveexec_b32 s13, s13
; %bb.6571:                             ;   in Loop: Header=BB4_5740 Depth=2
	v_bfe_u32 v110, v120, 23, 1
; %bb.6572:                             ;   in Loop: Header=BB4_5740 Depth=2
	s_or_b32 exec_lo, exec_lo, s13
	v_lshrrev_b32_e32 v120, 20, v120
	v_min_i32_e32 v121, 15, v110
	v_cmp_gt_i32_e32 vcc_lo, 16, v110
	v_and_b32_sdwa v111, v111, v82 dst_sel:DWORD dst_unused:UNUSED_PAD src0_sel:BYTE_3 src1_sel:DWORD
	v_lshlrev_b32_e32 v121, 3, v121
	v_cndmask_b32_e32 v120, 7, v120, vcc_lo
	v_and_b32_e32 v121, 0xf8, v121
	v_and_b32_e32 v122, 7, v120
	v_or_b32_e32 v110, v110, v120
	v_or3_b32 v111, v121, v111, v122
	v_cmp_ne_u32_e32 vcc_lo, 0, v110
	v_cndmask_b32_e32 v110, 0, v111, vcc_lo
.LBB4_6573:                             ;   in Loop: Header=BB4_5740 Depth=2
	s_or_b32 exec_lo, exec_lo, s40
.LBB4_6574:                             ;   in Loop: Header=BB4_5740 Depth=2
	s_or_b32 exec_lo, exec_lo, s29
	v_cmp_gt_i16_sdwa s29, v12, v81 src0_sel:BYTE_3 src1_sel:DWORD
	s_mov_b32 s13, 0
	s_and_saveexec_b32 s40, s29
	s_xor_b32 s29, exec_lo, s40
	s_cbranch_execz .LBB4_6760
; %bb.6575:                             ;   in Loop: Header=BB4_5740 Depth=2
	v_cmp_eq_u16_sdwa s41, v12, v82 src0_sel:BYTE_3 src1_sel:DWORD
	s_mov_b32 s13, -1
	s_and_saveexec_b32 s40, s41
; %bb.6576:                             ;   in Loop: Header=BB4_5740 Depth=2
	s_xor_b32 s13, exec_lo, -1
; %bb.6577:                             ;   in Loop: Header=BB4_5740 Depth=2
	s_or_b32 exec_lo, exec_lo, s40
	s_and_b32 s13, s13, exec_lo
	s_or_saveexec_b32 s29, s29
	v_mov_b32_e32 v111, 0x7f800001
	s_xor_b32 exec_lo, exec_lo, s29
	s_cbranch_execnz .LBB4_6761
.LBB4_6578:                             ;   in Loop: Header=BB4_5740 Depth=2
	s_or_b32 exec_lo, exec_lo, s29
	s_and_saveexec_b32 s29, s13
	s_cbranch_execz .LBB4_6580
.LBB4_6579:                             ;   in Loop: Header=BB4_5740 Depth=2
	v_bfe_u32 v111, v12, 24, 3
	v_bfe_u32 v122, v12, 27, 4
	v_ffbh_u32_e32 v120, v111
	v_cmp_eq_u32_e32 vcc_lo, 0, v122
	v_min_u32_e32 v120, 32, v120
	v_subrev_nc_u32_e32 v121, 28, v120
	v_sub_nc_u32_e32 v120, 29, v120
	v_lshlrev_b32_sdwa v121, v121, v12 dst_sel:DWORD dst_unused:UNUSED_PAD src0_sel:DWORD src1_sel:BYTE_3
	v_cndmask_b32_e32 v120, v122, v120, vcc_lo
	v_and_b32_e32 v12, 0x80000000, v12
	v_and_b32_e32 v121, 7, v121
	v_lshl_add_u32 v120, v120, 23, 0x3b800000
	v_cndmask_b32_e32 v111, v111, v121, vcc_lo
	v_lshlrev_b32_e32 v111, 20, v111
	v_or3_b32 v111, v12, v120, v111
.LBB4_6580:                             ;   in Loop: Header=BB4_5740 Depth=2
	s_or_b32 exec_lo, exec_lo, s29
	v_mul_f32_e32 v111, s28, v111
	v_and_b32_e32 v12, 0x7f800000, v111
	v_cmp_ne_u32_e32 vcc_lo, 0x7f800000, v12
	v_mov_b32_e32 v12, 0x8000
	s_and_saveexec_b32 s29, vcc_lo
	s_cbranch_execz .LBB4_6588
; %bb.6581:                             ;   in Loop: Header=BB4_5740 Depth=2
	v_mov_b32_e32 v12, 0
	s_mov_b32 s40, exec_lo
	v_cmpx_ne_u32_e32 0, v111
	s_cbranch_execz .LBB4_6587
; %bb.6582:                             ;   in Loop: Header=BB4_5740 Depth=2
	v_bfe_u32 v12, v111, 23, 8
	v_and_b32_e32 v120, 0x7fffff, v111
	v_sub_nc_u32_e32 v121, 0x78, v12
	v_cmp_gt_u32_e32 vcc_lo, 0x79, v12
	v_or_b32_e32 v122, 0x800000, v120
	v_cndmask_b32_e32 v121, 0, v121, vcc_lo
	v_cmp_eq_u32_e32 vcc_lo, 0, v12
	v_add_nc_u32_e32 v12, 0xffffff89, v12
	v_cndmask_b32_e64 v121, v121, 0x77, vcc_lo
	v_cndmask_b32_e32 v120, v122, v120, vcc_lo
	v_cndmask_b32_e64 v12, v12, 0xffffff8a, vcc_lo
	v_lshl_add_u32 v122, 0x100000, v121, -1
	v_lshrrev_b32_e32 v123, v121, v120
	v_lshlrev_b32_e64 v125, v121, 0x80000
	v_add_nc_u32_e32 v121, v121, v12
	v_and_b32_e32 v120, v122, v120
	v_bfe_u32 v124, v123, 20, 1
	v_cmp_eq_u32_e64 s13, v120, v125
	v_add_nc_u32_e32 v122, -1, v124
	v_cndmask_b32_e64 v120, 0, v122, s13
	v_lshrrev_b32_e32 v122, 23, v123
	s_mov_b32 s13, exec_lo
	v_add_nc_u32_e32 v120, v120, v123
	v_xor_b32_e32 v122, 1, v122
	v_and_b32_e32 v12, 0xfffff, v120
	v_add_nc_u32_e32 v120, v12, v123
                                        ; implicit-def: $vgpr12
	v_cmpx_ne_u32_e64 v121, v122
	s_xor_b32 s13, exec_lo, s13
; %bb.6583:                             ;   in Loop: Header=BB4_5740 Depth=2
	v_cmp_lt_u32_e32 vcc_lo, 0xffffff, v120
	v_sub_nc_u32_e32 v12, v121, v122
	v_cndmask_b32_e64 v121, 0, 1, vcc_lo
	v_add_co_ci_u32_e64 v12, null, 0, v12, vcc_lo
	v_lshrrev_b32_e32 v120, v121, v120
; %bb.6584:                             ;   in Loop: Header=BB4_5740 Depth=2
	s_andn2_saveexec_b32 s13, s13
; %bb.6585:                             ;   in Loop: Header=BB4_5740 Depth=2
	v_bfe_u32 v12, v120, 23, 1
; %bb.6586:                             ;   in Loop: Header=BB4_5740 Depth=2
	s_or_b32 exec_lo, exec_lo, s13
	v_lshrrev_b32_e32 v120, 20, v120
	v_min_i32_e32 v121, 15, v12
	v_cmp_gt_i32_e32 vcc_lo, 16, v12
	v_and_b32_sdwa v111, v111, v82 dst_sel:DWORD dst_unused:UNUSED_PAD src0_sel:BYTE_3 src1_sel:DWORD
	v_lshlrev_b32_e32 v121, 3, v121
	v_cndmask_b32_e32 v120, 7, v120, vcc_lo
	v_and_b32_e32 v121, 0xf8, v121
	v_and_b32_e32 v122, 7, v120
	v_or_b32_e32 v12, v12, v120
	v_or3_b32 v111, v111, v121, v122
	v_cmp_ne_u32_e32 vcc_lo, 0, v12
	v_lshlrev_b32_e32 v111, 8, v111
	v_cndmask_b32_e32 v12, 0, v111, vcc_lo
.LBB4_6587:                             ;   in Loop: Header=BB4_5740 Depth=2
	s_or_b32 exec_lo, exec_lo, s40
.LBB4_6588:                             ;   in Loop: Header=BB4_5740 Depth=2
	s_or_b32 exec_lo, exec_lo, s29
	v_cmp_gt_i16_sdwa s29, v13, v81 src0_sel:BYTE_0 src1_sel:DWORD
	s_mov_b32 s13, 0
	s_and_saveexec_b32 s40, s29
	s_xor_b32 s29, exec_lo, s40
	s_cbranch_execz .LBB4_6762
; %bb.6589:                             ;   in Loop: Header=BB4_5740 Depth=2
	v_cmp_eq_u16_sdwa s41, v13, v82 src0_sel:BYTE_0 src1_sel:DWORD
	s_mov_b32 s13, -1
	s_and_saveexec_b32 s40, s41
; %bb.6590:                             ;   in Loop: Header=BB4_5740 Depth=2
	s_xor_b32 s13, exec_lo, -1
; %bb.6591:                             ;   in Loop: Header=BB4_5740 Depth=2
	s_or_b32 exec_lo, exec_lo, s40
	s_and_b32 s13, s13, exec_lo
	s_or_saveexec_b32 s29, s29
	v_mov_b32_e32 v111, 0x7f800001
	s_xor_b32 exec_lo, exec_lo, s29
	s_cbranch_execnz .LBB4_6763
.LBB4_6592:                             ;   in Loop: Header=BB4_5740 Depth=2
	s_or_b32 exec_lo, exec_lo, s29
	s_and_saveexec_b32 s29, s13
	s_cbranch_execz .LBB4_6594
.LBB4_6593:                             ;   in Loop: Header=BB4_5740 Depth=2
	v_and_b32_e32 v111, 7, v13
	v_bfe_u32 v122, v13, 3, 4
	v_lshlrev_b32_e32 v123, 24, v13
	v_ffbh_u32_e32 v120, v111
	v_cmp_eq_u32_e32 vcc_lo, 0, v122
	v_min_u32_e32 v120, 32, v120
	v_subrev_nc_u32_e32 v121, 28, v120
	v_sub_nc_u32_e32 v120, 29, v120
	v_lshlrev_b32_e32 v121, v121, v13
	v_cndmask_b32_e32 v120, v122, v120, vcc_lo
	v_and_b32_e32 v121, 7, v121
	v_lshl_add_u32 v120, v120, 23, 0x3b800000
	v_cndmask_b32_e32 v111, v111, v121, vcc_lo
	v_and_b32_e32 v121, 0x80000000, v123
	v_lshlrev_b32_e32 v111, 20, v111
	v_or3_b32 v111, v121, v120, v111
.LBB4_6594:                             ;   in Loop: Header=BB4_5740 Depth=2
	s_or_b32 exec_lo, exec_lo, s29
	v_mul_f32_e32 v120, s28, v111
	v_and_b32_e32 v111, 0x7f800000, v120
	v_cmp_ne_u32_e32 vcc_lo, 0x7f800000, v111
	v_mov_b32_e32 v111, 0x80
	s_and_saveexec_b32 s29, vcc_lo
	s_cbranch_execz .LBB4_6602
; %bb.6595:                             ;   in Loop: Header=BB4_5740 Depth=2
	v_mov_b32_e32 v111, 0
	s_mov_b32 s40, exec_lo
	v_cmpx_ne_u32_e32 0, v120
	s_cbranch_execz .LBB4_6601
; %bb.6596:                             ;   in Loop: Header=BB4_5740 Depth=2
	v_bfe_u32 v111, v120, 23, 8
	v_and_b32_e32 v121, 0x7fffff, v120
	v_sub_nc_u32_e32 v122, 0x78, v111
	v_cmp_gt_u32_e32 vcc_lo, 0x79, v111
	v_or_b32_e32 v123, 0x800000, v121
	v_cndmask_b32_e32 v122, 0, v122, vcc_lo
	v_cmp_eq_u32_e32 vcc_lo, 0, v111
	v_add_nc_u32_e32 v111, 0xffffff89, v111
	v_cndmask_b32_e64 v122, v122, 0x77, vcc_lo
	v_cndmask_b32_e32 v121, v123, v121, vcc_lo
	v_cndmask_b32_e64 v111, v111, 0xffffff8a, vcc_lo
	v_lshl_add_u32 v123, 0x100000, v122, -1
	v_lshrrev_b32_e32 v124, v122, v121
	v_lshlrev_b32_e64 v126, v122, 0x80000
	v_add_nc_u32_e32 v122, v122, v111
	v_and_b32_e32 v121, v123, v121
	v_bfe_u32 v125, v124, 20, 1
	v_cmp_eq_u32_e64 s13, v121, v126
	v_add_nc_u32_e32 v123, -1, v125
	v_cndmask_b32_e64 v121, 0, v123, s13
	v_lshrrev_b32_e32 v123, 23, v124
	s_mov_b32 s13, exec_lo
	v_add_nc_u32_e32 v121, v121, v124
	v_xor_b32_e32 v123, 1, v123
	v_and_b32_e32 v111, 0xfffff, v121
	v_add_nc_u32_e32 v121, v111, v124
                                        ; implicit-def: $vgpr111
	v_cmpx_ne_u32_e64 v122, v123
	s_xor_b32 s13, exec_lo, s13
; %bb.6597:                             ;   in Loop: Header=BB4_5740 Depth=2
	v_cmp_lt_u32_e32 vcc_lo, 0xffffff, v121
	v_sub_nc_u32_e32 v111, v122, v123
	v_cndmask_b32_e64 v122, 0, 1, vcc_lo
	v_add_co_ci_u32_e64 v111, null, 0, v111, vcc_lo
	v_lshrrev_b32_e32 v121, v122, v121
; %bb.6598:                             ;   in Loop: Header=BB4_5740 Depth=2
	s_andn2_saveexec_b32 s13, s13
; %bb.6599:                             ;   in Loop: Header=BB4_5740 Depth=2
	v_bfe_u32 v111, v121, 23, 1
; %bb.6600:                             ;   in Loop: Header=BB4_5740 Depth=2
	s_or_b32 exec_lo, exec_lo, s13
	v_lshrrev_b32_e32 v121, 20, v121
	v_min_i32_e32 v122, 15, v111
	v_cmp_gt_i32_e32 vcc_lo, 16, v111
	v_and_b32_sdwa v120, v120, v82 dst_sel:DWORD dst_unused:UNUSED_PAD src0_sel:BYTE_3 src1_sel:DWORD
	v_lshlrev_b32_e32 v122, 3, v122
	v_cndmask_b32_e32 v121, 7, v121, vcc_lo
	v_and_b32_e32 v122, 0xf8, v122
	v_and_b32_e32 v123, 7, v121
	v_or_b32_e32 v111, v111, v121
	v_or3_b32 v120, v122, v120, v123
	v_cmp_ne_u32_e32 vcc_lo, 0, v111
	v_cndmask_b32_e32 v111, 0, v120, vcc_lo
.LBB4_6601:                             ;   in Loop: Header=BB4_5740 Depth=2
	s_or_b32 exec_lo, exec_lo, s40
.LBB4_6602:                             ;   in Loop: Header=BB4_5740 Depth=2
	s_or_b32 exec_lo, exec_lo, s29
	v_cmp_gt_i16_sdwa s29, v13, v81 src0_sel:BYTE_1 src1_sel:DWORD
	s_mov_b32 s13, 0
	s_and_saveexec_b32 s40, s29
	s_xor_b32 s29, exec_lo, s40
	s_cbranch_execz .LBB4_6764
; %bb.6603:                             ;   in Loop: Header=BB4_5740 Depth=2
	v_cmp_eq_u16_sdwa s41, v13, v82 src0_sel:BYTE_1 src1_sel:DWORD
	s_mov_b32 s13, -1
	s_and_saveexec_b32 s40, s41
; %bb.6604:                             ;   in Loop: Header=BB4_5740 Depth=2
	s_xor_b32 s13, exec_lo, -1
; %bb.6605:                             ;   in Loop: Header=BB4_5740 Depth=2
	s_or_b32 exec_lo, exec_lo, s40
	s_and_b32 s13, s13, exec_lo
	s_or_saveexec_b32 s29, s29
	v_mov_b32_e32 v120, 0x7f800001
	s_xor_b32 exec_lo, exec_lo, s29
	s_cbranch_execnz .LBB4_6765
.LBB4_6606:                             ;   in Loop: Header=BB4_5740 Depth=2
	s_or_b32 exec_lo, exec_lo, s29
	s_and_saveexec_b32 s29, s13
	s_cbranch_execz .LBB4_6608
.LBB4_6607:                             ;   in Loop: Header=BB4_5740 Depth=2
	v_and_b32_sdwa v120, v83, v13 dst_sel:DWORD dst_unused:UNUSED_PAD src0_sel:DWORD src1_sel:BYTE_1
	v_and_b32_e32 v121, 7, v120
	v_bfe_u32 v124, v120, 3, 4
	v_ffbh_u32_e32 v122, v121
	v_cmp_eq_u32_e32 vcc_lo, 0, v124
	v_min_u32_e32 v122, 32, v122
	v_subrev_nc_u32_e32 v123, 28, v122
	v_sub_nc_u32_e32 v122, 29, v122
	v_lshlrev_b32_e32 v120, v123, v120
	v_lshlrev_b32_sdwa v123, v84, v13 dst_sel:DWORD dst_unused:UNUSED_PAD src0_sel:DWORD src1_sel:BYTE_1
	v_cndmask_b32_e32 v122, v124, v122, vcc_lo
	v_and_b32_e32 v120, 7, v120
	v_lshl_add_u32 v122, v122, 23, 0x3b800000
	v_cndmask_b32_e32 v120, v121, v120, vcc_lo
	v_and_b32_e32 v121, 0x80000000, v123
	v_lshlrev_b32_e32 v120, 20, v120
	v_or3_b32 v120, v121, v122, v120
.LBB4_6608:                             ;   in Loop: Header=BB4_5740 Depth=2
	s_or_b32 exec_lo, exec_lo, s29
	v_mul_f32_e32 v121, s28, v120
	v_and_b32_e32 v120, 0x7f800000, v121
	v_cmp_ne_u32_e32 vcc_lo, 0x7f800000, v120
	v_mov_b32_e32 v120, 0x8000
	s_and_saveexec_b32 s29, vcc_lo
	s_cbranch_execz .LBB4_6616
; %bb.6609:                             ;   in Loop: Header=BB4_5740 Depth=2
	v_mov_b32_e32 v120, 0
	s_mov_b32 s40, exec_lo
	v_cmpx_ne_u32_e32 0, v121
	s_cbranch_execz .LBB4_6615
; %bb.6610:                             ;   in Loop: Header=BB4_5740 Depth=2
	v_bfe_u32 v122, v121, 23, 8
	v_and_b32_e32 v120, 0x7fffff, v121
	v_cmp_gt_u32_e64 s13, 0x79, v122
	v_sub_nc_u32_e32 v123, 0x78, v122
	v_cmp_eq_u32_e32 vcc_lo, 0, v122
	v_or_b32_e32 v124, 0x800000, v120
	v_cndmask_b32_e64 v123, 0, v123, s13
	v_cndmask_b32_e32 v120, v124, v120, vcc_lo
	v_cndmask_b32_e64 v123, v123, 0x77, vcc_lo
	v_lshl_add_u32 v124, 0x100000, v123, -1
	v_lshlrev_b32_e64 v125, v123, 0x80000
	v_and_b32_e32 v124, v124, v120
	v_cmp_eq_u32_e64 s13, v124, v125
	v_lshrrev_b32_e32 v124, v123, v120
	v_add_nc_u32_e32 v120, 0xffffff89, v122
	v_lshrrev_b32_e32 v122, 23, v124
	v_cndmask_b32_e64 v120, v120, 0xffffff8a, vcc_lo
	v_xor_b32_e32 v122, 1, v122
	v_add_nc_u32_e32 v120, v123, v120
	v_bfe_u32 v123, v124, 20, 1
	v_add_nc_u32_e32 v123, -1, v123
	v_cndmask_b32_e64 v123, 0, v123, s13
	s_mov_b32 s13, exec_lo
	v_add_nc_u32_e32 v123, v123, v124
	v_and_b32_e32 v123, 0xfffff, v123
	v_add_nc_u32_e32 v124, v123, v124
                                        ; implicit-def: $vgpr123
	v_cmpx_ne_u32_e64 v120, v122
	s_xor_b32 s13, exec_lo, s13
; %bb.6611:                             ;   in Loop: Header=BB4_5740 Depth=2
	v_cmp_lt_u32_e32 vcc_lo, 0xffffff, v124
	v_sub_nc_u32_e32 v120, v120, v122
	v_cndmask_b32_e64 v122, 0, 1, vcc_lo
	v_add_co_ci_u32_e64 v123, null, 0, v120, vcc_lo
	v_lshrrev_b32_e32 v124, v122, v124
; %bb.6612:                             ;   in Loop: Header=BB4_5740 Depth=2
	s_andn2_saveexec_b32 s13, s13
; %bb.6613:                             ;   in Loop: Header=BB4_5740 Depth=2
	v_bfe_u32 v123, v124, 23, 1
; %bb.6614:                             ;   in Loop: Header=BB4_5740 Depth=2
	s_or_b32 exec_lo, exec_lo, s13
	v_lshrrev_b32_e32 v120, 20, v124
	v_min_i32_e32 v122, 15, v123
	v_cmp_gt_i32_e32 vcc_lo, 16, v123
	v_and_b32_sdwa v121, v121, v82 dst_sel:DWORD dst_unused:UNUSED_PAD src0_sel:BYTE_3 src1_sel:DWORD
	v_lshlrev_b32_e32 v122, 3, v122
	v_cndmask_b32_e32 v120, 7, v120, vcc_lo
	v_and_b32_e32 v122, 0xf8, v122
	v_and_b32_e32 v124, 7, v120
	v_or_b32_e32 v120, v123, v120
	v_or3_b32 v121, v121, v122, v124
	v_cmp_ne_u32_e32 vcc_lo, 0, v120
	v_lshlrev_b32_e32 v121, 8, v121
	v_cndmask_b32_e32 v120, 0, v121, vcc_lo
.LBB4_6615:                             ;   in Loop: Header=BB4_5740 Depth=2
	s_or_b32 exec_lo, exec_lo, s40
.LBB4_6616:                             ;   in Loop: Header=BB4_5740 Depth=2
	s_or_b32 exec_lo, exec_lo, s29
	v_and_b32_sdwa v122, v13, v85 dst_sel:DWORD dst_unused:UNUSED_PAD src0_sel:WORD_1 src1_sel:DWORD
	s_mov_b32 s13, 0
	s_mov_b32 s29, exec_lo
	v_cmpx_lt_i16_e32 0x7f, v122
	s_xor_b32 s29, exec_lo, s29
	s_cbranch_execz .LBB4_6766
; %bb.6617:                             ;   in Loop: Header=BB4_5740 Depth=2
	s_mov_b32 s13, -1
	s_mov_b32 s40, exec_lo
	v_cmpx_eq_u16_e32 0x80, v122
; %bb.6618:                             ;   in Loop: Header=BB4_5740 Depth=2
	s_xor_b32 s13, exec_lo, -1
; %bb.6619:                             ;   in Loop: Header=BB4_5740 Depth=2
	s_or_b32 exec_lo, exec_lo, s40
	s_and_b32 s13, s13, exec_lo
                                        ; implicit-def: $vgpr122
	s_or_saveexec_b32 s29, s29
	v_mov_b32_e32 v121, 0x7f800001
	s_xor_b32 exec_lo, exec_lo, s29
	s_cbranch_execnz .LBB4_6767
.LBB4_6620:                             ;   in Loop: Header=BB4_5740 Depth=2
	s_or_b32 exec_lo, exec_lo, s29
	s_and_saveexec_b32 s29, s13
	s_cbranch_execz .LBB4_6622
.LBB4_6621:                             ;   in Loop: Header=BB4_5740 Depth=2
	v_bfe_u32 v121, v13, 16, 3
	v_bfe_u32 v124, v13, 19, 4
	v_lshlrev_b32_e32 v125, 8, v13
	v_ffbh_u32_e32 v122, v121
	v_cmp_eq_u32_e32 vcc_lo, 0, v124
	v_min_u32_e32 v122, 32, v122
	v_subrev_nc_u32_e32 v123, 28, v122
	v_sub_nc_u32_e32 v122, 29, v122
	v_lshlrev_b32_sdwa v123, v123, v13 dst_sel:DWORD dst_unused:UNUSED_PAD src0_sel:DWORD src1_sel:WORD_1
	v_cndmask_b32_e32 v122, v124, v122, vcc_lo
	v_and_b32_e32 v123, 7, v123
	v_lshl_add_u32 v122, v122, 23, 0x3b800000
	v_cndmask_b32_e32 v121, v121, v123, vcc_lo
	v_and_b32_e32 v123, 0x80000000, v125
	v_lshlrev_b32_e32 v121, 20, v121
	v_or3_b32 v121, v123, v122, v121
.LBB4_6622:                             ;   in Loop: Header=BB4_5740 Depth=2
	s_or_b32 exec_lo, exec_lo, s29
	v_mul_f32_e32 v122, s28, v121
	v_and_b32_e32 v121, 0x7f800000, v122
	v_cmp_ne_u32_e32 vcc_lo, 0x7f800000, v121
	v_mov_b32_e32 v121, 0x80
	s_and_saveexec_b32 s29, vcc_lo
	s_cbranch_execz .LBB4_6630
; %bb.6623:                             ;   in Loop: Header=BB4_5740 Depth=2
	v_mov_b32_e32 v121, 0
	s_mov_b32 s40, exec_lo
	v_cmpx_ne_u32_e32 0, v122
	s_cbranch_execz .LBB4_6629
; %bb.6624:                             ;   in Loop: Header=BB4_5740 Depth=2
	v_bfe_u32 v123, v122, 23, 8
	v_and_b32_e32 v121, 0x7fffff, v122
	v_cmp_gt_u32_e64 s13, 0x79, v123
	v_sub_nc_u32_e32 v124, 0x78, v123
	v_cmp_eq_u32_e32 vcc_lo, 0, v123
	v_or_b32_e32 v125, 0x800000, v121
	v_cndmask_b32_e64 v124, 0, v124, s13
	v_cndmask_b32_e32 v121, v125, v121, vcc_lo
	v_cndmask_b32_e64 v124, v124, 0x77, vcc_lo
	v_lshl_add_u32 v125, 0x100000, v124, -1
	v_lshlrev_b32_e64 v126, v124, 0x80000
	v_and_b32_e32 v125, v125, v121
	v_cmp_eq_u32_e64 s13, v125, v126
	v_lshrrev_b32_e32 v125, v124, v121
	v_add_nc_u32_e32 v121, 0xffffff89, v123
	v_lshrrev_b32_e32 v123, 23, v125
	v_cndmask_b32_e64 v121, v121, 0xffffff8a, vcc_lo
	v_xor_b32_e32 v123, 1, v123
	v_add_nc_u32_e32 v121, v124, v121
	v_bfe_u32 v124, v125, 20, 1
	v_add_nc_u32_e32 v124, -1, v124
	v_cndmask_b32_e64 v124, 0, v124, s13
	s_mov_b32 s13, exec_lo
	v_add_nc_u32_e32 v124, v124, v125
	v_and_b32_e32 v124, 0xfffff, v124
	v_add_nc_u32_e32 v125, v124, v125
                                        ; implicit-def: $vgpr124
	v_cmpx_ne_u32_e64 v121, v123
	s_xor_b32 s13, exec_lo, s13
; %bb.6625:                             ;   in Loop: Header=BB4_5740 Depth=2
	v_cmp_lt_u32_e32 vcc_lo, 0xffffff, v125
	v_sub_nc_u32_e32 v121, v121, v123
	v_cndmask_b32_e64 v123, 0, 1, vcc_lo
	v_add_co_ci_u32_e64 v124, null, 0, v121, vcc_lo
	v_lshrrev_b32_e32 v125, v123, v125
; %bb.6626:                             ;   in Loop: Header=BB4_5740 Depth=2
	s_andn2_saveexec_b32 s13, s13
; %bb.6627:                             ;   in Loop: Header=BB4_5740 Depth=2
	v_bfe_u32 v124, v125, 23, 1
; %bb.6628:                             ;   in Loop: Header=BB4_5740 Depth=2
	s_or_b32 exec_lo, exec_lo, s13
	v_lshrrev_b32_e32 v121, 20, v125
	v_min_i32_e32 v123, 15, v124
	v_cmp_gt_i32_e32 vcc_lo, 16, v124
	v_and_b32_sdwa v122, v122, v82 dst_sel:DWORD dst_unused:UNUSED_PAD src0_sel:BYTE_3 src1_sel:DWORD
	v_lshlrev_b32_e32 v123, 3, v123
	v_cndmask_b32_e32 v121, 7, v121, vcc_lo
	v_and_b32_e32 v123, 0xf8, v123
	v_and_b32_e32 v125, 7, v121
	v_or_b32_e32 v121, v124, v121
	v_or3_b32 v122, v123, v122, v125
	v_cmp_ne_u32_e32 vcc_lo, 0, v121
	v_cndmask_b32_e32 v121, 0, v122, vcc_lo
.LBB4_6629:                             ;   in Loop: Header=BB4_5740 Depth=2
	s_or_b32 exec_lo, exec_lo, s40
.LBB4_6630:                             ;   in Loop: Header=BB4_5740 Depth=2
	s_or_b32 exec_lo, exec_lo, s29
	v_cmp_gt_i16_sdwa s29, v13, v81 src0_sel:BYTE_3 src1_sel:DWORD
	s_mov_b32 s13, 0
	s_and_saveexec_b32 s40, s29
	s_xor_b32 s29, exec_lo, s40
	s_cbranch_execz .LBB4_6768
; %bb.6631:                             ;   in Loop: Header=BB4_5740 Depth=2
	v_cmp_eq_u16_sdwa s41, v13, v82 src0_sel:BYTE_3 src1_sel:DWORD
	s_mov_b32 s13, -1
	s_and_saveexec_b32 s40, s41
; %bb.6632:                             ;   in Loop: Header=BB4_5740 Depth=2
	s_xor_b32 s13, exec_lo, -1
; %bb.6633:                             ;   in Loop: Header=BB4_5740 Depth=2
	s_or_b32 exec_lo, exec_lo, s40
	s_and_b32 s13, s13, exec_lo
	s_or_saveexec_b32 s29, s29
	v_mov_b32_e32 v122, 0x7f800001
	s_xor_b32 exec_lo, exec_lo, s29
	s_cbranch_execnz .LBB4_6769
.LBB4_6634:                             ;   in Loop: Header=BB4_5740 Depth=2
	s_or_b32 exec_lo, exec_lo, s29
	s_and_saveexec_b32 s29, s13
	s_cbranch_execz .LBB4_6636
.LBB4_6635:                             ;   in Loop: Header=BB4_5740 Depth=2
	v_bfe_u32 v122, v13, 24, 3
	v_bfe_u32 v125, v13, 27, 4
	v_ffbh_u32_e32 v123, v122
	v_cmp_eq_u32_e32 vcc_lo, 0, v125
	v_min_u32_e32 v123, 32, v123
	v_subrev_nc_u32_e32 v124, 28, v123
	v_sub_nc_u32_e32 v123, 29, v123
	v_lshlrev_b32_sdwa v124, v124, v13 dst_sel:DWORD dst_unused:UNUSED_PAD src0_sel:DWORD src1_sel:BYTE_3
	v_cndmask_b32_e32 v123, v125, v123, vcc_lo
	v_and_b32_e32 v13, 0x80000000, v13
	v_and_b32_e32 v124, 7, v124
	v_lshl_add_u32 v123, v123, 23, 0x3b800000
	v_cndmask_b32_e32 v122, v122, v124, vcc_lo
	v_lshlrev_b32_e32 v122, 20, v122
	v_or3_b32 v122, v13, v123, v122
.LBB4_6636:                             ;   in Loop: Header=BB4_5740 Depth=2
	s_or_b32 exec_lo, exec_lo, s29
	v_mul_f32_e32 v13, s28, v122
	v_and_b32_e32 v122, 0x7f800000, v13
	v_cmp_ne_u32_e32 vcc_lo, 0x7f800000, v122
	v_mov_b32_e32 v122, 0x8000
	s_and_saveexec_b32 s28, vcc_lo
	s_cbranch_execz .LBB4_5739
; %bb.6637:                             ;   in Loop: Header=BB4_5740 Depth=2
	v_mov_b32_e32 v122, 0
	s_mov_b32 s29, exec_lo
	v_cmpx_ne_u32_e32 0, v13
	s_cbranch_execz .LBB4_5738
; %bb.6638:                             ;   in Loop: Header=BB4_5740 Depth=2
	v_bfe_u32 v123, v13, 23, 8
	v_and_b32_e32 v122, 0x7fffff, v13
	v_cmp_gt_u32_e64 s13, 0x79, v123
	v_sub_nc_u32_e32 v124, 0x78, v123
	v_cmp_eq_u32_e32 vcc_lo, 0, v123
	v_or_b32_e32 v125, 0x800000, v122
	v_cndmask_b32_e64 v124, 0, v124, s13
	v_cndmask_b32_e32 v122, v125, v122, vcc_lo
	v_cndmask_b32_e64 v124, v124, 0x77, vcc_lo
	v_lshl_add_u32 v125, 0x100000, v124, -1
	v_lshlrev_b32_e64 v126, v124, 0x80000
	v_and_b32_e32 v125, v125, v122
	v_cmp_eq_u32_e64 s13, v125, v126
	v_lshrrev_b32_e32 v125, v124, v122
	v_add_nc_u32_e32 v122, 0xffffff89, v123
	v_lshrrev_b32_e32 v123, 23, v125
	v_cndmask_b32_e64 v122, v122, 0xffffff8a, vcc_lo
	v_xor_b32_e32 v123, 1, v123
	v_add_nc_u32_e32 v122, v124, v122
	v_bfe_u32 v124, v125, 20, 1
	v_add_nc_u32_e32 v124, -1, v124
	v_cndmask_b32_e64 v124, 0, v124, s13
	s_mov_b32 s13, exec_lo
	v_add_nc_u32_e32 v124, v124, v125
	v_and_b32_e32 v124, 0xfffff, v124
	v_add_nc_u32_e32 v125, v124, v125
                                        ; implicit-def: $vgpr124
	v_cmpx_ne_u32_e64 v122, v123
	s_xor_b32 s13, exec_lo, s13
; %bb.6639:                             ;   in Loop: Header=BB4_5740 Depth=2
	v_cmp_lt_u32_e32 vcc_lo, 0xffffff, v125
	v_sub_nc_u32_e32 v122, v122, v123
	v_cndmask_b32_e64 v123, 0, 1, vcc_lo
	v_add_co_ci_u32_e64 v124, null, 0, v122, vcc_lo
	v_lshrrev_b32_e32 v125, v123, v125
; %bb.6640:                             ;   in Loop: Header=BB4_5740 Depth=2
	s_andn2_saveexec_b32 s13, s13
	s_cbranch_execz .LBB4_5737
; %bb.6641:                             ;   in Loop: Header=BB4_5740 Depth=2
	v_bfe_u32 v124, v125, 23, 1
	s_branch .LBB4_5737
.LBB4_6642:                             ;   in Loop: Header=BB4_5740 Depth=2
	s_or_saveexec_b32 s29, s29
	v_mov_b32_e32 v96, 0x7f800001
	s_xor_b32 exec_lo, exec_lo, s29
	s_cbranch_execz .LBB4_5752
.LBB4_6643:                             ;   in Loop: Header=BB4_5740 Depth=2
	v_cmp_ne_u16_sdwa s40, v10, v15 src0_sel:BYTE_0 src1_sel:DWORD
	v_mov_b32_e32 v96, 0
	s_andn2_b32 s13, s13, exec_lo
	s_and_b32 s40, s40, exec_lo
	s_or_b32 s13, s13, s40
	s_or_b32 exec_lo, exec_lo, s29
	s_and_saveexec_b32 s29, s13
	s_cbranch_execnz .LBB4_5753
	s_branch .LBB4_5754
.LBB4_6644:                             ;   in Loop: Header=BB4_5740 Depth=2
	s_or_saveexec_b32 s29, s29
	v_mov_b32_e32 v97, 0x7f800001
	s_xor_b32 exec_lo, exec_lo, s29
	s_cbranch_execz .LBB4_5766
.LBB4_6645:                             ;   in Loop: Header=BB4_5740 Depth=2
	v_cmp_ne_u16_sdwa s40, v10, v15 src0_sel:BYTE_1 src1_sel:DWORD
	v_mov_b32_e32 v97, 0
	s_andn2_b32 s13, s13, exec_lo
	s_and_b32 s40, s40, exec_lo
	s_or_b32 s13, s13, s40
	s_or_b32 exec_lo, exec_lo, s29
	s_and_saveexec_b32 s29, s13
	s_cbranch_execnz .LBB4_5767
	s_branch .LBB4_5768
.LBB4_6646:                             ;   in Loop: Header=BB4_5740 Depth=2
	s_or_saveexec_b32 s29, s29
	v_mov_b32_e32 v98, 0x7f800001
	s_xor_b32 exec_lo, exec_lo, s29
	s_cbranch_execz .LBB4_5780
.LBB4_6647:                             ;   in Loop: Header=BB4_5740 Depth=2
	v_cmp_ne_u16_e32 vcc_lo, 0, v99
	v_mov_b32_e32 v98, 0
	s_andn2_b32 s13, s13, exec_lo
	s_and_b32 s40, vcc_lo, exec_lo
	s_or_b32 s13, s13, s40
	s_or_b32 exec_lo, exec_lo, s29
	s_and_saveexec_b32 s29, s13
	s_cbranch_execnz .LBB4_5781
	s_branch .LBB4_5782
.LBB4_6648:                             ;   in Loop: Header=BB4_5740 Depth=2
	s_or_saveexec_b32 s29, s29
	v_mov_b32_e32 v99, 0x7f800001
	s_xor_b32 exec_lo, exec_lo, s29
	s_cbranch_execz .LBB4_5794
.LBB4_6649:                             ;   in Loop: Header=BB4_5740 Depth=2
	v_cmp_ne_u16_sdwa s40, v10, v15 src0_sel:BYTE_3 src1_sel:DWORD
	v_mov_b32_e32 v99, 0
	s_andn2_b32 s13, s13, exec_lo
	s_and_b32 s40, s40, exec_lo
	s_or_b32 s13, s13, s40
	s_or_b32 exec_lo, exec_lo, s29
	s_and_saveexec_b32 s29, s13
	s_cbranch_execnz .LBB4_5795
	s_branch .LBB4_5796
.LBB4_6650:                             ;   in Loop: Header=BB4_5740 Depth=2
	s_or_saveexec_b32 s29, s29
	v_mov_b32_e32 v10, 0x7f800001
	s_xor_b32 exec_lo, exec_lo, s29
	s_cbranch_execz .LBB4_5808
.LBB4_6651:                             ;   in Loop: Header=BB4_5740 Depth=2
	v_cmp_ne_u16_sdwa s40, v11, v15 src0_sel:BYTE_0 src1_sel:DWORD
	v_mov_b32_e32 v10, 0
	s_andn2_b32 s13, s13, exec_lo
	s_and_b32 s40, s40, exec_lo
	s_or_b32 s13, s13, s40
	s_or_b32 exec_lo, exec_lo, s29
	s_and_saveexec_b32 s29, s13
	s_cbranch_execnz .LBB4_5809
	s_branch .LBB4_5810
.LBB4_6652:                             ;   in Loop: Header=BB4_5740 Depth=2
	s_or_saveexec_b32 s29, s29
	v_mov_b32_e32 v10, 0x7f800001
	s_xor_b32 exec_lo, exec_lo, s29
	s_cbranch_execz .LBB4_5822
.LBB4_6653:                             ;   in Loop: Header=BB4_5740 Depth=2
	v_cmp_ne_u16_sdwa s40, v11, v15 src0_sel:BYTE_1 src1_sel:DWORD
	v_mov_b32_e32 v10, 0
	s_andn2_b32 s13, s13, exec_lo
	s_and_b32 s40, s40, exec_lo
	s_or_b32 s13, s13, s40
	s_or_b32 exec_lo, exec_lo, s29
	s_and_saveexec_b32 s29, s13
	s_cbranch_execnz .LBB4_5823
	s_branch .LBB4_5824
.LBB4_6654:                             ;   in Loop: Header=BB4_5740 Depth=2
	s_or_saveexec_b32 s29, s29
	v_mov_b32_e32 v10, 0x7f800001
	s_xor_b32 exec_lo, exec_lo, s29
	s_cbranch_execz .LBB4_5836
.LBB4_6655:                             ;   in Loop: Header=BB4_5740 Depth=2
	v_cmp_ne_u16_e32 vcc_lo, 0, v102
	v_mov_b32_e32 v10, 0
	s_andn2_b32 s13, s13, exec_lo
	s_and_b32 s40, vcc_lo, exec_lo
	s_or_b32 s13, s13, s40
	s_or_b32 exec_lo, exec_lo, s29
	s_and_saveexec_b32 s29, s13
	s_cbranch_execnz .LBB4_5837
	s_branch .LBB4_5838
.LBB4_6656:                             ;   in Loop: Header=BB4_5740 Depth=2
	s_or_saveexec_b32 s29, s29
	v_mov_b32_e32 v10, 0x7f800001
	s_xor_b32 exec_lo, exec_lo, s29
	s_cbranch_execz .LBB4_5850
.LBB4_6657:                             ;   in Loop: Header=BB4_5740 Depth=2
	v_cmp_ne_u16_sdwa s40, v11, v15 src0_sel:BYTE_3 src1_sel:DWORD
	v_mov_b32_e32 v10, 0
	s_andn2_b32 s13, s13, exec_lo
	s_and_b32 s40, s40, exec_lo
	s_or_b32 s13, s13, s40
	s_or_b32 exec_lo, exec_lo, s29
	s_and_saveexec_b32 s29, s13
	s_cbranch_execnz .LBB4_5851
	s_branch .LBB4_5852
.LBB4_6658:                             ;   in Loop: Header=BB4_5740 Depth=2
	s_or_saveexec_b32 s29, s29
	v_mov_b32_e32 v10, 0x7f800001
	s_xor_b32 exec_lo, exec_lo, s29
	s_cbranch_execz .LBB4_5864
.LBB4_6659:                             ;   in Loop: Header=BB4_5740 Depth=2
	v_cmp_ne_u16_sdwa s40, v12, v15 src0_sel:BYTE_0 src1_sel:DWORD
	v_mov_b32_e32 v10, 0
	s_andn2_b32 s13, s13, exec_lo
	s_and_b32 s40, s40, exec_lo
	s_or_b32 s13, s13, s40
	s_or_b32 exec_lo, exec_lo, s29
	s_and_saveexec_b32 s29, s13
	s_cbranch_execnz .LBB4_5865
	s_branch .LBB4_5866
.LBB4_6660:                             ;   in Loop: Header=BB4_5740 Depth=2
	s_or_saveexec_b32 s29, s29
	v_mov_b32_e32 v10, 0x7f800001
	s_xor_b32 exec_lo, exec_lo, s29
	s_cbranch_execz .LBB4_5878
.LBB4_6661:                             ;   in Loop: Header=BB4_5740 Depth=2
	v_cmp_ne_u16_sdwa s40, v12, v15 src0_sel:BYTE_1 src1_sel:DWORD
	v_mov_b32_e32 v10, 0
	s_andn2_b32 s13, s13, exec_lo
	s_and_b32 s40, s40, exec_lo
	s_or_b32 s13, s13, s40
	s_or_b32 exec_lo, exec_lo, s29
	s_and_saveexec_b32 s29, s13
	s_cbranch_execnz .LBB4_5879
	s_branch .LBB4_5880
.LBB4_6662:                             ;   in Loop: Header=BB4_5740 Depth=2
	s_or_saveexec_b32 s29, s29
	v_mov_b32_e32 v10, 0x7f800001
	s_xor_b32 exec_lo, exec_lo, s29
	s_cbranch_execz .LBB4_5892
.LBB4_6663:                             ;   in Loop: Header=BB4_5740 Depth=2
	v_cmp_ne_u16_e32 vcc_lo, 0, v11
	v_mov_b32_e32 v10, 0
	s_andn2_b32 s13, s13, exec_lo
	s_and_b32 s40, vcc_lo, exec_lo
	s_or_b32 s13, s13, s40
	s_or_b32 exec_lo, exec_lo, s29
	s_and_saveexec_b32 s29, s13
	s_cbranch_execnz .LBB4_5893
	s_branch .LBB4_5894
.LBB4_6664:                             ;   in Loop: Header=BB4_5740 Depth=2
	s_or_saveexec_b32 s29, s29
	v_mov_b32_e32 v10, 0x7f800001
	s_xor_b32 exec_lo, exec_lo, s29
	s_cbranch_execz .LBB4_5906
.LBB4_6665:                             ;   in Loop: Header=BB4_5740 Depth=2
	v_cmp_ne_u16_sdwa s40, v12, v15 src0_sel:BYTE_3 src1_sel:DWORD
	v_mov_b32_e32 v10, 0
	s_andn2_b32 s13, s13, exec_lo
	s_and_b32 s40, s40, exec_lo
	s_or_b32 s13, s13, s40
	s_or_b32 exec_lo, exec_lo, s29
	s_and_saveexec_b32 s29, s13
	s_cbranch_execnz .LBB4_5907
	s_branch .LBB4_5908
.LBB4_6666:                             ;   in Loop: Header=BB4_5740 Depth=2
	s_or_saveexec_b32 s29, s29
	v_mov_b32_e32 v10, 0x7f800001
	s_xor_b32 exec_lo, exec_lo, s29
	s_cbranch_execz .LBB4_5920
.LBB4_6667:                             ;   in Loop: Header=BB4_5740 Depth=2
	v_cmp_ne_u16_sdwa s40, v13, v15 src0_sel:BYTE_0 src1_sel:DWORD
	v_mov_b32_e32 v10, 0
	s_andn2_b32 s13, s13, exec_lo
	s_and_b32 s40, s40, exec_lo
	s_or_b32 s13, s13, s40
	s_or_b32 exec_lo, exec_lo, s29
	s_and_saveexec_b32 s29, s13
	s_cbranch_execnz .LBB4_5921
	s_branch .LBB4_5922
.LBB4_6668:                             ;   in Loop: Header=BB4_5740 Depth=2
	s_or_saveexec_b32 s29, s29
	v_mov_b32_e32 v10, 0x7f800001
	s_xor_b32 exec_lo, exec_lo, s29
	s_cbranch_execz .LBB4_5934
.LBB4_6669:                             ;   in Loop: Header=BB4_5740 Depth=2
	v_cmp_ne_u16_sdwa s40, v13, v15 src0_sel:BYTE_1 src1_sel:DWORD
	v_mov_b32_e32 v10, 0
	s_andn2_b32 s13, s13, exec_lo
	s_and_b32 s40, s40, exec_lo
	s_or_b32 s13, s13, s40
	s_or_b32 exec_lo, exec_lo, s29
	s_and_saveexec_b32 s29, s13
	s_cbranch_execnz .LBB4_5935
	s_branch .LBB4_5936
.LBB4_6670:                             ;   in Loop: Header=BB4_5740 Depth=2
	s_or_saveexec_b32 s29, s29
	v_mov_b32_e32 v10, 0x7f800001
	s_xor_b32 exec_lo, exec_lo, s29
	s_cbranch_execz .LBB4_5948
.LBB4_6671:                             ;   in Loop: Header=BB4_5740 Depth=2
	v_cmp_ne_u16_e32 vcc_lo, 0, v11
	v_mov_b32_e32 v10, 0
	s_andn2_b32 s13, s13, exec_lo
	s_and_b32 s40, vcc_lo, exec_lo
	s_or_b32 s13, s13, s40
	s_or_b32 exec_lo, exec_lo, s29
	s_and_saveexec_b32 s29, s13
	s_cbranch_execnz .LBB4_5949
	s_branch .LBB4_5950
.LBB4_6672:                             ;   in Loop: Header=BB4_5740 Depth=2
	s_or_saveexec_b32 s29, s29
	v_mov_b32_e32 v10, 0x7f800001
	s_xor_b32 exec_lo, exec_lo, s29
	s_cbranch_execz .LBB4_5962
.LBB4_6673:                             ;   in Loop: Header=BB4_5740 Depth=2
	v_cmp_ne_u16_sdwa s40, v13, v15 src0_sel:BYTE_3 src1_sel:DWORD
	v_mov_b32_e32 v10, 0
	s_andn2_b32 s13, s13, exec_lo
	s_and_b32 s40, s40, exec_lo
	s_or_b32 s13, s13, s40
	s_or_b32 exec_lo, exec_lo, s29
	s_and_saveexec_b32 s29, s13
	s_cbranch_execnz .LBB4_5963
	s_branch .LBB4_5964
.LBB4_6674:                             ;   in Loop: Header=BB4_5740 Depth=2
	s_or_saveexec_b32 s29, s29
	v_mov_b32_e32 v40, 0x7f800001
	s_xor_b32 exec_lo, exec_lo, s29
	s_cbranch_execz .LBB4_5976
.LBB4_6675:                             ;   in Loop: Header=BB4_5740 Depth=2
	v_cmp_ne_u16_sdwa s40, v10, v15 src0_sel:BYTE_0 src1_sel:DWORD
	v_mov_b32_e32 v40, 0
	s_andn2_b32 s13, s13, exec_lo
	s_and_b32 s40, s40, exec_lo
	s_or_b32 s13, s13, s40
	s_or_b32 exec_lo, exec_lo, s29
	s_and_saveexec_b32 s29, s13
	s_cbranch_execnz .LBB4_5977
	s_branch .LBB4_5978
.LBB4_6676:                             ;   in Loop: Header=BB4_5740 Depth=2
	s_or_saveexec_b32 s29, s29
	v_mov_b32_e32 v41, 0x7f800001
	s_xor_b32 exec_lo, exec_lo, s29
	s_cbranch_execz .LBB4_5990
.LBB4_6677:                             ;   in Loop: Header=BB4_5740 Depth=2
	v_cmp_ne_u16_sdwa s40, v10, v15 src0_sel:BYTE_1 src1_sel:DWORD
	v_mov_b32_e32 v41, 0
	s_andn2_b32 s13, s13, exec_lo
	s_and_b32 s40, s40, exec_lo
	s_or_b32 s13, s13, s40
	s_or_b32 exec_lo, exec_lo, s29
	s_and_saveexec_b32 s29, s13
	s_cbranch_execnz .LBB4_5991
	s_branch .LBB4_5992
.LBB4_6678:                             ;   in Loop: Header=BB4_5740 Depth=2
	s_or_saveexec_b32 s29, s29
	v_mov_b32_e32 v42, 0x7f800001
	s_xor_b32 exec_lo, exec_lo, s29
	s_cbranch_execz .LBB4_6004
.LBB4_6679:                             ;   in Loop: Header=BB4_5740 Depth=2
	v_cmp_ne_u16_e32 vcc_lo, 0, v43
	v_mov_b32_e32 v42, 0
	s_andn2_b32 s13, s13, exec_lo
	s_and_b32 s40, vcc_lo, exec_lo
	s_or_b32 s13, s13, s40
	s_or_b32 exec_lo, exec_lo, s29
	s_and_saveexec_b32 s29, s13
	s_cbranch_execnz .LBB4_6005
	s_branch .LBB4_6006
.LBB4_6680:                             ;   in Loop: Header=BB4_5740 Depth=2
	s_or_saveexec_b32 s29, s29
	v_mov_b32_e32 v43, 0x7f800001
	s_xor_b32 exec_lo, exec_lo, s29
	s_cbranch_execz .LBB4_6018
.LBB4_6681:                             ;   in Loop: Header=BB4_5740 Depth=2
	v_cmp_ne_u16_sdwa s40, v10, v15 src0_sel:BYTE_3 src1_sel:DWORD
	v_mov_b32_e32 v43, 0
	s_andn2_b32 s13, s13, exec_lo
	s_and_b32 s40, s40, exec_lo
	s_or_b32 s13, s13, s40
	s_or_b32 exec_lo, exec_lo, s29
	s_and_saveexec_b32 s29, s13
	s_cbranch_execnz .LBB4_6019
	s_branch .LBB4_6020
.LBB4_6682:                             ;   in Loop: Header=BB4_5740 Depth=2
	s_or_saveexec_b32 s29, s29
	v_mov_b32_e32 v10, 0x7f800001
	s_xor_b32 exec_lo, exec_lo, s29
	s_cbranch_execz .LBB4_6032
.LBB4_6683:                             ;   in Loop: Header=BB4_5740 Depth=2
	v_cmp_ne_u16_sdwa s40, v11, v15 src0_sel:BYTE_0 src1_sel:DWORD
	v_mov_b32_e32 v10, 0
	s_andn2_b32 s13, s13, exec_lo
	s_and_b32 s40, s40, exec_lo
	s_or_b32 s13, s13, s40
	s_or_b32 exec_lo, exec_lo, s29
	s_and_saveexec_b32 s29, s13
	s_cbranch_execnz .LBB4_6033
	s_branch .LBB4_6034
.LBB4_6684:                             ;   in Loop: Header=BB4_5740 Depth=2
	s_or_saveexec_b32 s29, s29
	v_mov_b32_e32 v10, 0x7f800001
	s_xor_b32 exec_lo, exec_lo, s29
	s_cbranch_execz .LBB4_6046
.LBB4_6685:                             ;   in Loop: Header=BB4_5740 Depth=2
	v_cmp_ne_u16_sdwa s40, v11, v15 src0_sel:BYTE_1 src1_sel:DWORD
	v_mov_b32_e32 v10, 0
	s_andn2_b32 s13, s13, exec_lo
	s_and_b32 s40, s40, exec_lo
	s_or_b32 s13, s13, s40
	s_or_b32 exec_lo, exec_lo, s29
	s_and_saveexec_b32 s29, s13
	s_cbranch_execnz .LBB4_6047
	s_branch .LBB4_6048
.LBB4_6686:                             ;   in Loop: Header=BB4_5740 Depth=2
	s_or_saveexec_b32 s29, s29
	v_mov_b32_e32 v10, 0x7f800001
	s_xor_b32 exec_lo, exec_lo, s29
	s_cbranch_execz .LBB4_6060
.LBB4_6687:                             ;   in Loop: Header=BB4_5740 Depth=2
	v_cmp_ne_u16_e32 vcc_lo, 0, v46
	v_mov_b32_e32 v10, 0
	s_andn2_b32 s13, s13, exec_lo
	s_and_b32 s40, vcc_lo, exec_lo
	s_or_b32 s13, s13, s40
	s_or_b32 exec_lo, exec_lo, s29
	s_and_saveexec_b32 s29, s13
	s_cbranch_execnz .LBB4_6061
	s_branch .LBB4_6062
.LBB4_6688:                             ;   in Loop: Header=BB4_5740 Depth=2
	s_or_saveexec_b32 s29, s29
	v_mov_b32_e32 v10, 0x7f800001
	s_xor_b32 exec_lo, exec_lo, s29
	s_cbranch_execz .LBB4_6074
.LBB4_6689:                             ;   in Loop: Header=BB4_5740 Depth=2
	v_cmp_ne_u16_sdwa s40, v11, v15 src0_sel:BYTE_3 src1_sel:DWORD
	v_mov_b32_e32 v10, 0
	s_andn2_b32 s13, s13, exec_lo
	s_and_b32 s40, s40, exec_lo
	s_or_b32 s13, s13, s40
	s_or_b32 exec_lo, exec_lo, s29
	s_and_saveexec_b32 s29, s13
	s_cbranch_execnz .LBB4_6075
	s_branch .LBB4_6076
.LBB4_6690:                             ;   in Loop: Header=BB4_5740 Depth=2
	s_or_saveexec_b32 s29, s29
	v_mov_b32_e32 v10, 0x7f800001
	s_xor_b32 exec_lo, exec_lo, s29
	s_cbranch_execz .LBB4_6088
.LBB4_6691:                             ;   in Loop: Header=BB4_5740 Depth=2
	v_cmp_ne_u16_sdwa s40, v12, v15 src0_sel:BYTE_0 src1_sel:DWORD
	v_mov_b32_e32 v10, 0
	s_andn2_b32 s13, s13, exec_lo
	s_and_b32 s40, s40, exec_lo
	s_or_b32 s13, s13, s40
	s_or_b32 exec_lo, exec_lo, s29
	s_and_saveexec_b32 s29, s13
	s_cbranch_execnz .LBB4_6089
	s_branch .LBB4_6090
.LBB4_6692:                             ;   in Loop: Header=BB4_5740 Depth=2
	s_or_saveexec_b32 s29, s29
	v_mov_b32_e32 v10, 0x7f800001
	s_xor_b32 exec_lo, exec_lo, s29
	s_cbranch_execz .LBB4_6102
.LBB4_6693:                             ;   in Loop: Header=BB4_5740 Depth=2
	v_cmp_ne_u16_sdwa s40, v12, v15 src0_sel:BYTE_1 src1_sel:DWORD
	v_mov_b32_e32 v10, 0
	s_andn2_b32 s13, s13, exec_lo
	s_and_b32 s40, s40, exec_lo
	s_or_b32 s13, s13, s40
	s_or_b32 exec_lo, exec_lo, s29
	s_and_saveexec_b32 s29, s13
	s_cbranch_execnz .LBB4_6103
	s_branch .LBB4_6104
.LBB4_6694:                             ;   in Loop: Header=BB4_5740 Depth=2
	s_or_saveexec_b32 s29, s29
	v_mov_b32_e32 v10, 0x7f800001
	s_xor_b32 exec_lo, exec_lo, s29
	s_cbranch_execz .LBB4_6116
.LBB4_6695:                             ;   in Loop: Header=BB4_5740 Depth=2
	v_cmp_ne_u16_e32 vcc_lo, 0, v11
	v_mov_b32_e32 v10, 0
	s_andn2_b32 s13, s13, exec_lo
	s_and_b32 s40, vcc_lo, exec_lo
	s_or_b32 s13, s13, s40
	s_or_b32 exec_lo, exec_lo, s29
	s_and_saveexec_b32 s29, s13
	s_cbranch_execnz .LBB4_6117
	s_branch .LBB4_6118
.LBB4_6696:                             ;   in Loop: Header=BB4_5740 Depth=2
	s_or_saveexec_b32 s29, s29
	v_mov_b32_e32 v10, 0x7f800001
	s_xor_b32 exec_lo, exec_lo, s29
	s_cbranch_execz .LBB4_6130
.LBB4_6697:                             ;   in Loop: Header=BB4_5740 Depth=2
	v_cmp_ne_u16_sdwa s40, v12, v15 src0_sel:BYTE_3 src1_sel:DWORD
	v_mov_b32_e32 v10, 0
	s_andn2_b32 s13, s13, exec_lo
	s_and_b32 s40, s40, exec_lo
	s_or_b32 s13, s13, s40
	s_or_b32 exec_lo, exec_lo, s29
	s_and_saveexec_b32 s29, s13
	s_cbranch_execnz .LBB4_6131
	s_branch .LBB4_6132
.LBB4_6698:                             ;   in Loop: Header=BB4_5740 Depth=2
	s_or_saveexec_b32 s29, s29
	v_mov_b32_e32 v10, 0x7f800001
	s_xor_b32 exec_lo, exec_lo, s29
	s_cbranch_execz .LBB4_6144
.LBB4_6699:                             ;   in Loop: Header=BB4_5740 Depth=2
	v_cmp_ne_u16_sdwa s40, v13, v15 src0_sel:BYTE_0 src1_sel:DWORD
	v_mov_b32_e32 v10, 0
	s_andn2_b32 s13, s13, exec_lo
	s_and_b32 s40, s40, exec_lo
	s_or_b32 s13, s13, s40
	s_or_b32 exec_lo, exec_lo, s29
	s_and_saveexec_b32 s29, s13
	s_cbranch_execnz .LBB4_6145
	s_branch .LBB4_6146
.LBB4_6700:                             ;   in Loop: Header=BB4_5740 Depth=2
	s_or_saveexec_b32 s29, s29
	v_mov_b32_e32 v10, 0x7f800001
	s_xor_b32 exec_lo, exec_lo, s29
	s_cbranch_execz .LBB4_6158
.LBB4_6701:                             ;   in Loop: Header=BB4_5740 Depth=2
	v_cmp_ne_u16_sdwa s40, v13, v15 src0_sel:BYTE_1 src1_sel:DWORD
	v_mov_b32_e32 v10, 0
	s_andn2_b32 s13, s13, exec_lo
	s_and_b32 s40, s40, exec_lo
	s_or_b32 s13, s13, s40
	s_or_b32 exec_lo, exec_lo, s29
	s_and_saveexec_b32 s29, s13
	s_cbranch_execnz .LBB4_6159
	s_branch .LBB4_6160
.LBB4_6702:                             ;   in Loop: Header=BB4_5740 Depth=2
	s_or_saveexec_b32 s29, s29
	v_mov_b32_e32 v10, 0x7f800001
	s_xor_b32 exec_lo, exec_lo, s29
	s_cbranch_execz .LBB4_6172
.LBB4_6703:                             ;   in Loop: Header=BB4_5740 Depth=2
	v_cmp_ne_u16_e32 vcc_lo, 0, v11
	v_mov_b32_e32 v10, 0
	s_andn2_b32 s13, s13, exec_lo
	s_and_b32 s40, vcc_lo, exec_lo
	s_or_b32 s13, s13, s40
	s_or_b32 exec_lo, exec_lo, s29
	s_and_saveexec_b32 s29, s13
	s_cbranch_execnz .LBB4_6173
	s_branch .LBB4_6174
.LBB4_6704:                             ;   in Loop: Header=BB4_5740 Depth=2
	s_or_saveexec_b32 s29, s29
	v_mov_b32_e32 v10, 0x7f800001
	s_xor_b32 exec_lo, exec_lo, s29
	s_cbranch_execz .LBB4_6186
.LBB4_6705:                             ;   in Loop: Header=BB4_5740 Depth=2
	v_cmp_ne_u16_sdwa s40, v13, v15 src0_sel:BYTE_3 src1_sel:DWORD
	v_mov_b32_e32 v10, 0
	s_andn2_b32 s13, s13, exec_lo
	s_and_b32 s40, s40, exec_lo
	s_or_b32 s13, s13, s40
	s_or_b32 exec_lo, exec_lo, s29
	s_and_saveexec_b32 s29, s13
	s_cbranch_execnz .LBB4_6187
	s_branch .LBB4_6188
.LBB4_6706:                             ;   in Loop: Header=BB4_5740 Depth=2
	s_or_saveexec_b32 s29, s29
	v_mov_b32_e32 v72, 0x7f800001
	s_xor_b32 exec_lo, exec_lo, s29
	s_cbranch_execz .LBB4_6200
.LBB4_6707:                             ;   in Loop: Header=BB4_5740 Depth=2
	v_cmp_ne_u16_sdwa s40, v10, v15 src0_sel:BYTE_0 src1_sel:DWORD
	v_mov_b32_e32 v72, 0
	s_andn2_b32 s13, s13, exec_lo
	s_and_b32 s40, s40, exec_lo
	s_or_b32 s13, s13, s40
	s_or_b32 exec_lo, exec_lo, s29
	s_and_saveexec_b32 s29, s13
	s_cbranch_execnz .LBB4_6201
	s_branch .LBB4_6202
.LBB4_6708:                             ;   in Loop: Header=BB4_5740 Depth=2
	s_or_saveexec_b32 s29, s29
	v_mov_b32_e32 v73, 0x7f800001
	s_xor_b32 exec_lo, exec_lo, s29
	s_cbranch_execz .LBB4_6214
.LBB4_6709:                             ;   in Loop: Header=BB4_5740 Depth=2
	v_cmp_ne_u16_sdwa s40, v10, v15 src0_sel:BYTE_1 src1_sel:DWORD
	v_mov_b32_e32 v73, 0
	s_andn2_b32 s13, s13, exec_lo
	s_and_b32 s40, s40, exec_lo
	s_or_b32 s13, s13, s40
	s_or_b32 exec_lo, exec_lo, s29
	s_and_saveexec_b32 s29, s13
	s_cbranch_execnz .LBB4_6215
	s_branch .LBB4_6216
.LBB4_6710:                             ;   in Loop: Header=BB4_5740 Depth=2
	s_or_saveexec_b32 s29, s29
	v_mov_b32_e32 v74, 0x7f800001
	s_xor_b32 exec_lo, exec_lo, s29
	s_cbranch_execz .LBB4_6228
.LBB4_6711:                             ;   in Loop: Header=BB4_5740 Depth=2
	v_cmp_ne_u16_e32 vcc_lo, 0, v75
	v_mov_b32_e32 v74, 0
	s_andn2_b32 s13, s13, exec_lo
	s_and_b32 s40, vcc_lo, exec_lo
	s_or_b32 s13, s13, s40
	s_or_b32 exec_lo, exec_lo, s29
	s_and_saveexec_b32 s29, s13
	s_cbranch_execnz .LBB4_6229
	s_branch .LBB4_6230
.LBB4_6712:                             ;   in Loop: Header=BB4_5740 Depth=2
	s_or_saveexec_b32 s29, s29
	v_mov_b32_e32 v75, 0x7f800001
	s_xor_b32 exec_lo, exec_lo, s29
	s_cbranch_execz .LBB4_6242
.LBB4_6713:                             ;   in Loop: Header=BB4_5740 Depth=2
	v_cmp_ne_u16_sdwa s40, v10, v15 src0_sel:BYTE_3 src1_sel:DWORD
	v_mov_b32_e32 v75, 0
	s_andn2_b32 s13, s13, exec_lo
	s_and_b32 s40, s40, exec_lo
	s_or_b32 s13, s13, s40
	s_or_b32 exec_lo, exec_lo, s29
	s_and_saveexec_b32 s29, s13
	s_cbranch_execnz .LBB4_6243
	s_branch .LBB4_6244
.LBB4_6714:                             ;   in Loop: Header=BB4_5740 Depth=2
	s_or_saveexec_b32 s29, s29
	v_mov_b32_e32 v10, 0x7f800001
	s_xor_b32 exec_lo, exec_lo, s29
	s_cbranch_execz .LBB4_6256
.LBB4_6715:                             ;   in Loop: Header=BB4_5740 Depth=2
	v_cmp_ne_u16_sdwa s40, v11, v15 src0_sel:BYTE_0 src1_sel:DWORD
	v_mov_b32_e32 v10, 0
	s_andn2_b32 s13, s13, exec_lo
	s_and_b32 s40, s40, exec_lo
	s_or_b32 s13, s13, s40
	s_or_b32 exec_lo, exec_lo, s29
	s_and_saveexec_b32 s29, s13
	s_cbranch_execnz .LBB4_6257
	s_branch .LBB4_6258
.LBB4_6716:                             ;   in Loop: Header=BB4_5740 Depth=2
	s_or_saveexec_b32 s29, s29
	v_mov_b32_e32 v10, 0x7f800001
	s_xor_b32 exec_lo, exec_lo, s29
	s_cbranch_execz .LBB4_6270
.LBB4_6717:                             ;   in Loop: Header=BB4_5740 Depth=2
	v_cmp_ne_u16_sdwa s40, v11, v15 src0_sel:BYTE_1 src1_sel:DWORD
	v_mov_b32_e32 v10, 0
	s_andn2_b32 s13, s13, exec_lo
	s_and_b32 s40, s40, exec_lo
	s_or_b32 s13, s13, s40
	s_or_b32 exec_lo, exec_lo, s29
	s_and_saveexec_b32 s29, s13
	s_cbranch_execnz .LBB4_6271
	s_branch .LBB4_6272
.LBB4_6718:                             ;   in Loop: Header=BB4_5740 Depth=2
	s_or_saveexec_b32 s29, s29
	v_mov_b32_e32 v10, 0x7f800001
	s_xor_b32 exec_lo, exec_lo, s29
	s_cbranch_execz .LBB4_6284
.LBB4_6719:                             ;   in Loop: Header=BB4_5740 Depth=2
	v_cmp_ne_u16_e32 vcc_lo, 0, v78
	v_mov_b32_e32 v10, 0
	s_andn2_b32 s13, s13, exec_lo
	s_and_b32 s40, vcc_lo, exec_lo
	s_or_b32 s13, s13, s40
	s_or_b32 exec_lo, exec_lo, s29
	s_and_saveexec_b32 s29, s13
	s_cbranch_execnz .LBB4_6285
	s_branch .LBB4_6286
.LBB4_6720:                             ;   in Loop: Header=BB4_5740 Depth=2
	s_or_saveexec_b32 s29, s29
	v_mov_b32_e32 v10, 0x7f800001
	s_xor_b32 exec_lo, exec_lo, s29
	s_cbranch_execz .LBB4_6298
.LBB4_6721:                             ;   in Loop: Header=BB4_5740 Depth=2
	v_cmp_ne_u16_sdwa s40, v11, v15 src0_sel:BYTE_3 src1_sel:DWORD
	v_mov_b32_e32 v10, 0
	s_andn2_b32 s13, s13, exec_lo
	s_and_b32 s40, s40, exec_lo
	s_or_b32 s13, s13, s40
	s_or_b32 exec_lo, exec_lo, s29
	s_and_saveexec_b32 s29, s13
	s_cbranch_execnz .LBB4_6299
	s_branch .LBB4_6300
.LBB4_6722:                             ;   in Loop: Header=BB4_5740 Depth=2
	s_or_saveexec_b32 s29, s29
	v_mov_b32_e32 v10, 0x7f800001
	s_xor_b32 exec_lo, exec_lo, s29
	s_cbranch_execz .LBB4_6312
.LBB4_6723:                             ;   in Loop: Header=BB4_5740 Depth=2
	v_cmp_ne_u16_sdwa s40, v12, v15 src0_sel:BYTE_0 src1_sel:DWORD
	v_mov_b32_e32 v10, 0
	s_andn2_b32 s13, s13, exec_lo
	s_and_b32 s40, s40, exec_lo
	s_or_b32 s13, s13, s40
	s_or_b32 exec_lo, exec_lo, s29
	s_and_saveexec_b32 s29, s13
	s_cbranch_execnz .LBB4_6313
	s_branch .LBB4_6314
.LBB4_6724:                             ;   in Loop: Header=BB4_5740 Depth=2
	s_or_saveexec_b32 s29, s29
	v_mov_b32_e32 v10, 0x7f800001
	s_xor_b32 exec_lo, exec_lo, s29
	s_cbranch_execz .LBB4_6326
.LBB4_6725:                             ;   in Loop: Header=BB4_5740 Depth=2
	v_cmp_ne_u16_sdwa s40, v12, v15 src0_sel:BYTE_1 src1_sel:DWORD
	v_mov_b32_e32 v10, 0
	s_andn2_b32 s13, s13, exec_lo
	s_and_b32 s40, s40, exec_lo
	s_or_b32 s13, s13, s40
	s_or_b32 exec_lo, exec_lo, s29
	s_and_saveexec_b32 s29, s13
	s_cbranch_execnz .LBB4_6327
	s_branch .LBB4_6328
.LBB4_6726:                             ;   in Loop: Header=BB4_5740 Depth=2
	s_or_saveexec_b32 s29, s29
	v_mov_b32_e32 v10, 0x7f800001
	s_xor_b32 exec_lo, exec_lo, s29
	s_cbranch_execz .LBB4_6340
.LBB4_6727:                             ;   in Loop: Header=BB4_5740 Depth=2
	v_cmp_ne_u16_e32 vcc_lo, 0, v11
	v_mov_b32_e32 v10, 0
	s_andn2_b32 s13, s13, exec_lo
	s_and_b32 s40, vcc_lo, exec_lo
	s_or_b32 s13, s13, s40
	s_or_b32 exec_lo, exec_lo, s29
	s_and_saveexec_b32 s29, s13
	s_cbranch_execnz .LBB4_6341
	s_branch .LBB4_6342
.LBB4_6728:                             ;   in Loop: Header=BB4_5740 Depth=2
	s_or_saveexec_b32 s29, s29
	v_mov_b32_e32 v10, 0x7f800001
	s_xor_b32 exec_lo, exec_lo, s29
	s_cbranch_execz .LBB4_6354
.LBB4_6729:                             ;   in Loop: Header=BB4_5740 Depth=2
	v_cmp_ne_u16_sdwa s40, v12, v15 src0_sel:BYTE_3 src1_sel:DWORD
	v_mov_b32_e32 v10, 0
	s_andn2_b32 s13, s13, exec_lo
	s_and_b32 s40, s40, exec_lo
	s_or_b32 s13, s13, s40
	s_or_b32 exec_lo, exec_lo, s29
	s_and_saveexec_b32 s29, s13
	s_cbranch_execnz .LBB4_6355
	s_branch .LBB4_6356
.LBB4_6730:                             ;   in Loop: Header=BB4_5740 Depth=2
	s_or_saveexec_b32 s29, s29
	v_mov_b32_e32 v10, 0x7f800001
	s_xor_b32 exec_lo, exec_lo, s29
	s_cbranch_execz .LBB4_6368
.LBB4_6731:                             ;   in Loop: Header=BB4_5740 Depth=2
	v_cmp_ne_u16_sdwa s40, v13, v15 src0_sel:BYTE_0 src1_sel:DWORD
	v_mov_b32_e32 v10, 0
	s_andn2_b32 s13, s13, exec_lo
	s_and_b32 s40, s40, exec_lo
	s_or_b32 s13, s13, s40
	s_or_b32 exec_lo, exec_lo, s29
	s_and_saveexec_b32 s29, s13
	s_cbranch_execnz .LBB4_6369
	s_branch .LBB4_6370
.LBB4_6732:                             ;   in Loop: Header=BB4_5740 Depth=2
	s_or_saveexec_b32 s29, s29
	v_mov_b32_e32 v10, 0x7f800001
	s_xor_b32 exec_lo, exec_lo, s29
	s_cbranch_execz .LBB4_6382
.LBB4_6733:                             ;   in Loop: Header=BB4_5740 Depth=2
	v_cmp_ne_u16_sdwa s40, v13, v15 src0_sel:BYTE_1 src1_sel:DWORD
	v_mov_b32_e32 v10, 0
	s_andn2_b32 s13, s13, exec_lo
	s_and_b32 s40, s40, exec_lo
	s_or_b32 s13, s13, s40
	s_or_b32 exec_lo, exec_lo, s29
	s_and_saveexec_b32 s29, s13
	s_cbranch_execnz .LBB4_6383
	s_branch .LBB4_6384
.LBB4_6734:                             ;   in Loop: Header=BB4_5740 Depth=2
	s_or_saveexec_b32 s29, s29
	v_mov_b32_e32 v10, 0x7f800001
	s_xor_b32 exec_lo, exec_lo, s29
	s_cbranch_execz .LBB4_6396
.LBB4_6735:                             ;   in Loop: Header=BB4_5740 Depth=2
	v_cmp_ne_u16_e32 vcc_lo, 0, v11
	v_mov_b32_e32 v10, 0
	s_andn2_b32 s13, s13, exec_lo
	s_and_b32 s40, vcc_lo, exec_lo
	s_or_b32 s13, s13, s40
	s_or_b32 exec_lo, exec_lo, s29
	s_and_saveexec_b32 s29, s13
	s_cbranch_execnz .LBB4_6397
	s_branch .LBB4_6398
.LBB4_6736:                             ;   in Loop: Header=BB4_5740 Depth=2
	s_or_saveexec_b32 s29, s29
	v_mov_b32_e32 v10, 0x7f800001
	s_xor_b32 exec_lo, exec_lo, s29
	s_cbranch_execz .LBB4_6410
.LBB4_6737:                             ;   in Loop: Header=BB4_5740 Depth=2
	v_cmp_ne_u16_sdwa s40, v13, v15 src0_sel:BYTE_3 src1_sel:DWORD
	v_mov_b32_e32 v10, 0
	s_andn2_b32 s13, s13, exec_lo
	s_and_b32 s40, s40, exec_lo
	s_or_b32 s13, s13, s40
	s_or_b32 exec_lo, exec_lo, s29
	s_and_saveexec_b32 s29, s13
	s_cbranch_execnz .LBB4_6411
	s_branch .LBB4_6412
.LBB4_6738:                             ;   in Loop: Header=BB4_5740 Depth=2
	s_or_saveexec_b32 s29, s29
	v_mov_b32_e32 v54, 0x7f800001
	s_xor_b32 exec_lo, exec_lo, s29
	s_cbranch_execz .LBB4_6424
.LBB4_6739:                             ;   in Loop: Header=BB4_5740 Depth=2
	v_cmp_ne_u16_sdwa s40, v10, v15 src0_sel:BYTE_0 src1_sel:DWORD
	v_mov_b32_e32 v54, 0
	s_andn2_b32 s13, s13, exec_lo
	s_and_b32 s40, s40, exec_lo
	s_or_b32 s13, s13, s40
	s_or_b32 exec_lo, exec_lo, s29
	s_and_saveexec_b32 s29, s13
	s_cbranch_execnz .LBB4_6425
	s_branch .LBB4_6426
.LBB4_6740:                             ;   in Loop: Header=BB4_5740 Depth=2
	s_or_saveexec_b32 s29, s29
	v_mov_b32_e32 v55, 0x7f800001
	s_xor_b32 exec_lo, exec_lo, s29
	s_cbranch_execz .LBB4_6438
.LBB4_6741:                             ;   in Loop: Header=BB4_5740 Depth=2
	v_cmp_ne_u16_sdwa s40, v10, v15 src0_sel:BYTE_1 src1_sel:DWORD
	v_mov_b32_e32 v55, 0
	s_andn2_b32 s13, s13, exec_lo
	s_and_b32 s40, s40, exec_lo
	s_or_b32 s13, s13, s40
	s_or_b32 exec_lo, exec_lo, s29
	s_and_saveexec_b32 s29, s13
	s_cbranch_execnz .LBB4_6439
	s_branch .LBB4_6440
.LBB4_6742:                             ;   in Loop: Header=BB4_5740 Depth=2
	s_or_saveexec_b32 s29, s29
	v_mov_b32_e32 v104, 0x7f800001
	s_xor_b32 exec_lo, exec_lo, s29
	s_cbranch_execz .LBB4_6452
.LBB4_6743:                             ;   in Loop: Header=BB4_5740 Depth=2
	v_cmp_ne_u16_e32 vcc_lo, 0, v105
	v_mov_b32_e32 v104, 0
	s_andn2_b32 s13, s13, exec_lo
	s_and_b32 s40, vcc_lo, exec_lo
	s_or_b32 s13, s13, s40
	s_or_b32 exec_lo, exec_lo, s29
	s_and_saveexec_b32 s29, s13
	s_cbranch_execnz .LBB4_6453
	s_branch .LBB4_6454
.LBB4_6744:                             ;   in Loop: Header=BB4_5740 Depth=2
	s_or_saveexec_b32 s29, s29
	v_mov_b32_e32 v105, 0x7f800001
	s_xor_b32 exec_lo, exec_lo, s29
	s_cbranch_execz .LBB4_6466
.LBB4_6745:                             ;   in Loop: Header=BB4_5740 Depth=2
	v_cmp_ne_u16_sdwa s40, v10, v15 src0_sel:BYTE_3 src1_sel:DWORD
	v_mov_b32_e32 v105, 0
	s_andn2_b32 s13, s13, exec_lo
	s_and_b32 s40, s40, exec_lo
	s_or_b32 s13, s13, s40
	s_or_b32 exec_lo, exec_lo, s29
	s_and_saveexec_b32 s29, s13
	s_cbranch_execnz .LBB4_6467
	s_branch .LBB4_6468
.LBB4_6746:                             ;   in Loop: Header=BB4_5740 Depth=2
	s_or_saveexec_b32 s29, s29
	v_mov_b32_e32 v105, 0x7f800001
	s_xor_b32 exec_lo, exec_lo, s29
	s_cbranch_execz .LBB4_6480
.LBB4_6747:                             ;   in Loop: Header=BB4_5740 Depth=2
	v_cmp_ne_u16_sdwa s40, v11, v15 src0_sel:BYTE_0 src1_sel:DWORD
	v_mov_b32_e32 v105, 0
	s_andn2_b32 s13, s13, exec_lo
	s_and_b32 s40, s40, exec_lo
	s_or_b32 s13, s13, s40
	s_or_b32 exec_lo, exec_lo, s29
	s_and_saveexec_b32 s29, s13
	s_cbranch_execnz .LBB4_6481
	s_branch .LBB4_6482
.LBB4_6748:                             ;   in Loop: Header=BB4_5740 Depth=2
	s_or_saveexec_b32 s29, s29
	v_mov_b32_e32 v106, 0x7f800001
	s_xor_b32 exec_lo, exec_lo, s29
	s_cbranch_execz .LBB4_6494
.LBB4_6749:                             ;   in Loop: Header=BB4_5740 Depth=2
	v_cmp_ne_u16_sdwa s40, v11, v15 src0_sel:BYTE_1 src1_sel:DWORD
	v_mov_b32_e32 v106, 0
	s_andn2_b32 s13, s13, exec_lo
	s_and_b32 s40, s40, exec_lo
	s_or_b32 s13, s13, s40
	s_or_b32 exec_lo, exec_lo, s29
	s_and_saveexec_b32 s29, s13
	s_cbranch_execnz .LBB4_6495
	s_branch .LBB4_6496
.LBB4_6750:                             ;   in Loop: Header=BB4_5740 Depth=2
	s_or_saveexec_b32 s29, s29
	v_mov_b32_e32 v107, 0x7f800001
	s_xor_b32 exec_lo, exec_lo, s29
	s_cbranch_execz .LBB4_6508
.LBB4_6751:                             ;   in Loop: Header=BB4_5740 Depth=2
	v_cmp_ne_u16_e32 vcc_lo, 0, v108
	v_mov_b32_e32 v107, 0
	s_andn2_b32 s13, s13, exec_lo
	s_and_b32 s40, vcc_lo, exec_lo
	s_or_b32 s13, s13, s40
	s_or_b32 exec_lo, exec_lo, s29
	s_and_saveexec_b32 s29, s13
	s_cbranch_execnz .LBB4_6509
	s_branch .LBB4_6510
.LBB4_6752:                             ;   in Loop: Header=BB4_5740 Depth=2
	s_or_saveexec_b32 s29, s29
	v_mov_b32_e32 v108, 0x7f800001
	s_xor_b32 exec_lo, exec_lo, s29
	s_cbranch_execz .LBB4_6522
.LBB4_6753:                             ;   in Loop: Header=BB4_5740 Depth=2
	v_cmp_ne_u16_sdwa s40, v11, v15 src0_sel:BYTE_3 src1_sel:DWORD
	v_mov_b32_e32 v108, 0
	s_andn2_b32 s13, s13, exec_lo
	s_and_b32 s40, s40, exec_lo
	s_or_b32 s13, s13, s40
	s_or_b32 exec_lo, exec_lo, s29
	s_and_saveexec_b32 s29, s13
	s_cbranch_execnz .LBB4_6523
	s_branch .LBB4_6524
.LBB4_6754:                             ;   in Loop: Header=BB4_5740 Depth=2
	s_or_saveexec_b32 s29, s29
	v_mov_b32_e32 v108, 0x7f800001
	s_xor_b32 exec_lo, exec_lo, s29
	s_cbranch_execz .LBB4_6536
.LBB4_6755:                             ;   in Loop: Header=BB4_5740 Depth=2
	v_cmp_ne_u16_sdwa s40, v12, v15 src0_sel:BYTE_0 src1_sel:DWORD
	v_mov_b32_e32 v108, 0
	s_andn2_b32 s13, s13, exec_lo
	s_and_b32 s40, s40, exec_lo
	s_or_b32 s13, s13, s40
	s_or_b32 exec_lo, exec_lo, s29
	s_and_saveexec_b32 s29, s13
	s_cbranch_execnz .LBB4_6537
	s_branch .LBB4_6538
.LBB4_6756:                             ;   in Loop: Header=BB4_5740 Depth=2
	s_or_saveexec_b32 s29, s29
	v_mov_b32_e32 v109, 0x7f800001
	s_xor_b32 exec_lo, exec_lo, s29
	s_cbranch_execz .LBB4_6550
.LBB4_6757:                             ;   in Loop: Header=BB4_5740 Depth=2
	v_cmp_ne_u16_sdwa s40, v12, v15 src0_sel:BYTE_1 src1_sel:DWORD
	v_mov_b32_e32 v109, 0
	s_andn2_b32 s13, s13, exec_lo
	s_and_b32 s40, s40, exec_lo
	s_or_b32 s13, s13, s40
	s_or_b32 exec_lo, exec_lo, s29
	s_and_saveexec_b32 s29, s13
	s_cbranch_execnz .LBB4_6551
	s_branch .LBB4_6552
.LBB4_6758:                             ;   in Loop: Header=BB4_5740 Depth=2
	s_or_saveexec_b32 s29, s29
	v_mov_b32_e32 v110, 0x7f800001
	s_xor_b32 exec_lo, exec_lo, s29
	s_cbranch_execz .LBB4_6564
.LBB4_6759:                             ;   in Loop: Header=BB4_5740 Depth=2
	v_cmp_ne_u16_e32 vcc_lo, 0, v111
	v_mov_b32_e32 v110, 0
	s_andn2_b32 s13, s13, exec_lo
	s_and_b32 s40, vcc_lo, exec_lo
	s_or_b32 s13, s13, s40
	s_or_b32 exec_lo, exec_lo, s29
	s_and_saveexec_b32 s29, s13
	s_cbranch_execnz .LBB4_6565
	s_branch .LBB4_6566
.LBB4_6760:                             ;   in Loop: Header=BB4_5740 Depth=2
	s_or_saveexec_b32 s29, s29
	v_mov_b32_e32 v111, 0x7f800001
	s_xor_b32 exec_lo, exec_lo, s29
	s_cbranch_execz .LBB4_6578
.LBB4_6761:                             ;   in Loop: Header=BB4_5740 Depth=2
	v_cmp_ne_u16_sdwa s40, v12, v15 src0_sel:BYTE_3 src1_sel:DWORD
	v_mov_b32_e32 v111, 0
	s_andn2_b32 s13, s13, exec_lo
	s_and_b32 s40, s40, exec_lo
	s_or_b32 s13, s13, s40
	s_or_b32 exec_lo, exec_lo, s29
	s_and_saveexec_b32 s29, s13
	s_cbranch_execnz .LBB4_6579
	s_branch .LBB4_6580
.LBB4_6762:                             ;   in Loop: Header=BB4_5740 Depth=2
	s_or_saveexec_b32 s29, s29
	v_mov_b32_e32 v111, 0x7f800001
	s_xor_b32 exec_lo, exec_lo, s29
	s_cbranch_execz .LBB4_6592
.LBB4_6763:                             ;   in Loop: Header=BB4_5740 Depth=2
	v_cmp_ne_u16_sdwa s40, v13, v15 src0_sel:BYTE_0 src1_sel:DWORD
	v_mov_b32_e32 v111, 0
	s_andn2_b32 s13, s13, exec_lo
	s_and_b32 s40, s40, exec_lo
	s_or_b32 s13, s13, s40
	s_or_b32 exec_lo, exec_lo, s29
	s_and_saveexec_b32 s29, s13
	s_cbranch_execnz .LBB4_6593
	s_branch .LBB4_6594
.LBB4_6764:                             ;   in Loop: Header=BB4_5740 Depth=2
	s_or_saveexec_b32 s29, s29
	v_mov_b32_e32 v120, 0x7f800001
	s_xor_b32 exec_lo, exec_lo, s29
	s_cbranch_execz .LBB4_6606
.LBB4_6765:                             ;   in Loop: Header=BB4_5740 Depth=2
	v_cmp_ne_u16_sdwa s40, v13, v15 src0_sel:BYTE_1 src1_sel:DWORD
	v_mov_b32_e32 v120, 0
	s_andn2_b32 s13, s13, exec_lo
	s_and_b32 s40, s40, exec_lo
	s_or_b32 s13, s13, s40
	s_or_b32 exec_lo, exec_lo, s29
	s_and_saveexec_b32 s29, s13
	s_cbranch_execnz .LBB4_6607
	s_branch .LBB4_6608
.LBB4_6766:                             ;   in Loop: Header=BB4_5740 Depth=2
	s_or_saveexec_b32 s29, s29
	v_mov_b32_e32 v121, 0x7f800001
	s_xor_b32 exec_lo, exec_lo, s29
	s_cbranch_execz .LBB4_6620
.LBB4_6767:                             ;   in Loop: Header=BB4_5740 Depth=2
	v_cmp_ne_u16_e32 vcc_lo, 0, v122
	v_mov_b32_e32 v121, 0
	s_andn2_b32 s13, s13, exec_lo
	s_and_b32 s40, vcc_lo, exec_lo
	s_or_b32 s13, s13, s40
	s_or_b32 exec_lo, exec_lo, s29
	s_and_saveexec_b32 s29, s13
	s_cbranch_execnz .LBB4_6621
	s_branch .LBB4_6622
.LBB4_6768:                             ;   in Loop: Header=BB4_5740 Depth=2
	s_or_saveexec_b32 s29, s29
	v_mov_b32_e32 v122, 0x7f800001
	s_xor_b32 exec_lo, exec_lo, s29
	s_cbranch_execz .LBB4_6634
.LBB4_6769:                             ;   in Loop: Header=BB4_5740 Depth=2
	v_cmp_ne_u16_sdwa s40, v13, v15 src0_sel:BYTE_3 src1_sel:DWORD
	v_mov_b32_e32 v122, 0
	s_andn2_b32 s13, s13, exec_lo
	s_and_b32 s40, s40, exec_lo
	s_or_b32 s13, s13, s40
	s_or_b32 exec_lo, exec_lo, s29
	s_and_saveexec_b32 s29, s13
	s_cbranch_execnz .LBB4_6635
	s_branch .LBB4_6636
.LBB4_6770:                             ;   in Loop: Header=BB4_5663 Depth=1
	s_or_b32 exec_lo, exec_lo, s24
.LBB4_6771:                             ;   in Loop: Header=BB4_5663 Depth=1
	s_or_b32 exec_lo, exec_lo, s14
	v_and_b32_e32 v10, 0x3ffff800, v86
	v_mov_b32_e32 v12, 0
	s_mov_b32 s13, 0
	s_mov_b32 s24, exec_lo
                                        ; implicit-def: $vgpr13
                                        ; implicit-def: $vgpr50
	v_cmpx_ne_u32_e64 v86, v10
	s_cbranch_execz .LBB4_7041
; %bb.6772:                             ;   in Loop: Header=BB4_5663 Depth=1
	v_lshlrev_b32_e32 v11, 5, v87
	v_and_b32_e32 v51, 0x1ff, v86
	v_bfe_u32 v52, v86, 9, 2
	s_mov_b32 s25, exec_lo
	v_sub_nc_u32_e32 v11, v39, v11
	v_cmp_lt_u32_e64 s13, 15, v51
	v_ashrrev_i32_e32 v12, 31, v11
	v_add_co_ci_u32_e64 v52, null, 0, v52, s13
	v_lshrrev_b32_e32 v12, 27, v12
	v_add_nc_u32_e32 v12, v11, v12
	v_and_b32_e32 v13, 0xffffffe0, v12
	v_ashrrev_i32_e32 v12, 5, v12
	v_sub_nc_u32_e32 v50, v11, v13
	v_and_b32_e32 v13, 0x7ff, v86
	v_sub_nc_u32_e32 v52, v52, v12
	v_lshlrev_b32_e32 v11, 4, v50
	v_lshl_add_u32 v11, v12, 9, v11
	v_sub_nc_u32_e32 v53, v13, v11
	v_cmpx_lt_i32_e32 15, v53
	s_cbranch_execz .LBB4_7040
; %bb.6773:                             ;   in Loop: Header=BB4_5663 Depth=1
	s_trap 2
	ds_read_b64 v[12:13], v0
	v_add_nc_u32_e32 v54, v11, v10
	v_ashrrev_i32_e32 v55, 31, v54
	s_waitcnt lgkmcnt(0)
	v_readfirstlane_b32 s14, v12
	s_and_b32 s26, s14, 7
	s_bfe_u32 s29, s14, 0x40003
	s_flbit_i32_b32 s27, s26
	s_min_u32 s27, s27, 32
	s_sub_i32 s28, s27, 28
	s_sub_i32 s27, 29, s27
	s_lshl_b32 s28, s14, s28
	s_and_b32 s28, s28, 7
	s_cmp_eq_u32 s29, 0
	s_cselect_b32 s27, s27, s29
	s_cselect_b32 s26, s28, s26
	s_lshl_b32 s28, s14, 24
	s_lshl_b32 s27, s27, 23
	s_and_b32 s28, s28, 0x80000000
	s_add_i32 s27, s27, 0x3b800000
	s_lshl_b32 s29, s26, 20
	s_or_b32 s27, s28, s27
	s_mov_b32 s26, 0
	s_or_b32 s27, s27, s29
	s_and_b32 s28, s14, 0xff
	s_branch .LBB4_6777
.LBB4_6774:                             ;   in Loop: Header=BB4_6777 Depth=2
	s_or_b32 exec_lo, exec_lo, s14
	v_lshrrev_b32_e32 v116, 20, v116
	v_min_i32_e32 v117, 15, v115
	v_cmp_gt_i32_e32 vcc_lo, 16, v115
	v_and_b32_sdwa v13, v13, v82 dst_sel:DWORD dst_unused:UNUSED_PAD src0_sel:BYTE_3 src1_sel:DWORD
	v_lshlrev_b32_e32 v117, 3, v117
	v_cndmask_b32_e32 v116, 7, v116, vcc_lo
	v_and_b32_e32 v117, 0xf8, v117
	v_and_b32_e32 v118, 7, v116
	v_or_b32_e32 v115, v115, v116
	v_or3_b32 v13, v13, v117, v118
	v_cmp_ne_u32_e32 vcc_lo, 0, v115
	v_lshlrev_b32_e32 v13, 8, v13
	v_cndmask_b32_e32 v115, 0, v13, vcc_lo
.LBB4_6775:                             ;   in Loop: Header=BB4_6777 Depth=2
	s_or_b32 exec_lo, exec_lo, s40
.LBB4_6776:                             ;   in Loop: Header=BB4_6777 Depth=2
	s_or_b32 exec_lo, exec_lo, s29
	v_sub_nc_u32_e32 v53, v53, v67
	v_or_b32_sdwa v11, v11, v100 dst_sel:WORD_1 dst_unused:UNUSED_PAD src0_sel:DWORD src1_sel:DWORD
	v_or_b32_sdwa v10, v10, v97 dst_sel:WORD_1 dst_unused:UNUSED_PAD src0_sel:DWORD src1_sel:DWORD
	;; [unrolled: 1-line block ×4, first 2 shown]
	v_add_co_u32 v116, vcc_lo, v48, v54
	v_add_co_ci_u32_e64 v117, null, v49, v55, vcc_lo
	v_cmp_gt_i32_e32 vcc_lo, 16, v53
	v_add_co_u32 v54, s14, v54, v67
	v_or3_b32 v11, v99, v98, v11
	v_or3_b32 v10, v96, v87, v10
	;; [unrolled: 1-line block ×4, first 2 shown]
	v_sub_nc_u32_e32 v52, v52, v64
	v_add_co_ci_u32_e64 v55, null, 0, v55, s14
	s_or_b32 s26, vcc_lo, s26
	global_store_dwordx4 v[116:117], v[10:13], off glc slc
	s_andn2_b32 exec_lo, exec_lo, s26
	s_cbranch_execz .LBB4_7039
.LBB4_6777:                             ;   Parent Loop BB4_5663 Depth=1
                                        ; =>  This Inner Loop Header: Depth=2
	s_cmpk_lt_i32 s28, 0x80
	s_cbranch_scc1 .LBB4_6781
; %bb.6778:                             ;   in Loop: Header=BB4_6777 Depth=2
	s_and_b32 s14, 0xffff, s28
	s_cmpk_eq_i32 s14, 0x80
	s_mov_b32 s14, -1
	s_cbranch_scc0 .LBB4_6780
; %bb.6779:                             ;   in Loop: Header=BB4_6777 Depth=2
	s_mov_b32 s14, 0
.LBB4_6780:                             ;   in Loop: Header=BB4_6777 Depth=2
	s_mov_b32 s29, 0x7f800001
	s_branch .LBB4_6783
.LBB4_6781:                             ;   in Loop: Header=BB4_6777 Depth=2
	s_mov_b32 s14, 0
	s_mov_b32 s29, 0x7f800001
	s_cbranch_execz .LBB4_6783
; %bb.6782:                             ;   in Loop: Header=BB4_6777 Depth=2
	s_and_b32 s14, 0xffff, s28
	s_mov_b32 s29, 0
	s_cmp_lg_u32 s14, 0
	s_cselect_b32 s14, -1, 0
.LBB4_6783:                             ;   in Loop: Header=BB4_6777 Depth=2
	s_andn2_b32 vcc_lo, exec_lo, s14
	s_cbranch_vccnz .LBB4_6785
; %bb.6784:                             ;   in Loop: Header=BB4_6777 Depth=2
	s_mov_b32 s29, s27
.LBB4_6785:                             ;   in Loop: Header=BB4_6777 Depth=2
	v_add_co_u32 v10, vcc_lo, v37, v54
	v_add_co_ci_u32_e64 v11, null, v38, v55, vcc_lo
	s_mov_b32 s14, 0
	global_load_dwordx4 v[10:13], v[10:11], off slc
	s_waitcnt vmcnt(0)
	v_cmp_gt_i16_sdwa s40, v10, v81 src0_sel:BYTE_0 src1_sel:DWORD
	s_and_saveexec_b32 s41, s40
	s_xor_b32 s40, exec_lo, s41
	s_cbranch_execz .LBB4_7007
; %bb.6786:                             ;   in Loop: Header=BB4_6777 Depth=2
	v_cmp_eq_u16_sdwa s42, v10, v82 src0_sel:BYTE_0 src1_sel:DWORD
	s_mov_b32 s14, -1
	s_and_saveexec_b32 s41, s42
; %bb.6787:                             ;   in Loop: Header=BB4_6777 Depth=2
	s_xor_b32 s14, exec_lo, -1
; %bb.6788:                             ;   in Loop: Header=BB4_6777 Depth=2
	s_or_b32 exec_lo, exec_lo, s41
	s_and_b32 s14, s14, exec_lo
	s_or_saveexec_b32 s40, s40
	v_mov_b32_e32 v87, 0x7f800001
	s_xor_b32 exec_lo, exec_lo, s40
	s_cbranch_execnz .LBB4_7008
.LBB4_6789:                             ;   in Loop: Header=BB4_6777 Depth=2
	s_or_b32 exec_lo, exec_lo, s40
	s_and_saveexec_b32 s40, s14
	s_cbranch_execz .LBB4_6791
.LBB4_6790:                             ;   in Loop: Header=BB4_6777 Depth=2
	v_and_b32_e32 v87, 7, v10
	v_bfe_u32 v98, v10, 3, 4
	v_lshlrev_b32_e32 v99, 24, v10
	v_ffbh_u32_e32 v96, v87
	v_cmp_eq_u32_e32 vcc_lo, 0, v98
	v_min_u32_e32 v96, 32, v96
	v_subrev_nc_u32_e32 v97, 28, v96
	v_sub_nc_u32_e32 v96, 29, v96
	v_lshlrev_b32_e32 v97, v97, v10
	v_cndmask_b32_e32 v96, v98, v96, vcc_lo
	v_and_b32_e32 v97, 7, v97
	v_lshl_add_u32 v96, v96, 23, 0x3b800000
	v_cndmask_b32_e32 v87, v87, v97, vcc_lo
	v_and_b32_e32 v97, 0x80000000, v99
	v_lshlrev_b32_e32 v87, 20, v87
	v_or3_b32 v87, v97, v96, v87
.LBB4_6791:                             ;   in Loop: Header=BB4_6777 Depth=2
	s_or_b32 exec_lo, exec_lo, s40
	v_mul_f32_e32 v96, s29, v87
	v_and_b32_e32 v87, 0x7f800000, v96
	v_cmp_ne_u32_e32 vcc_lo, 0x7f800000, v87
	v_mov_b32_e32 v87, 0x80
	s_and_saveexec_b32 s40, vcc_lo
	s_cbranch_execz .LBB4_6799
; %bb.6792:                             ;   in Loop: Header=BB4_6777 Depth=2
	v_mov_b32_e32 v87, 0
	s_mov_b32 s41, exec_lo
	v_cmpx_ne_u32_e32 0, v96
	s_cbranch_execz .LBB4_6798
; %bb.6793:                             ;   in Loop: Header=BB4_6777 Depth=2
	v_bfe_u32 v87, v96, 23, 8
	v_and_b32_e32 v97, 0x7fffff, v96
	v_sub_nc_u32_e32 v98, 0x78, v87
	v_cmp_gt_u32_e32 vcc_lo, 0x79, v87
	v_or_b32_e32 v99, 0x800000, v97
	v_cndmask_b32_e32 v98, 0, v98, vcc_lo
	v_cmp_eq_u32_e32 vcc_lo, 0, v87
	v_add_nc_u32_e32 v87, 0xffffff89, v87
	v_cndmask_b32_e64 v98, v98, 0x77, vcc_lo
	v_cndmask_b32_e32 v97, v99, v97, vcc_lo
	v_cndmask_b32_e64 v87, v87, 0xffffff8a, vcc_lo
	v_lshl_add_u32 v99, 0x100000, v98, -1
	v_lshrrev_b32_e32 v100, v98, v97
	v_lshlrev_b32_e64 v102, v98, 0x80000
	v_add_nc_u32_e32 v98, v98, v87
	v_and_b32_e32 v97, v99, v97
	v_bfe_u32 v101, v100, 20, 1
	v_cmp_eq_u32_e64 s14, v97, v102
	v_add_nc_u32_e32 v99, -1, v101
	v_cndmask_b32_e64 v97, 0, v99, s14
	v_lshrrev_b32_e32 v99, 23, v100
	s_mov_b32 s14, exec_lo
	v_add_nc_u32_e32 v97, v97, v100
	v_xor_b32_e32 v99, 1, v99
	v_and_b32_e32 v87, 0xfffff, v97
	v_add_nc_u32_e32 v97, v87, v100
                                        ; implicit-def: $vgpr87
	v_cmpx_ne_u32_e64 v98, v99
	s_xor_b32 s14, exec_lo, s14
; %bb.6794:                             ;   in Loop: Header=BB4_6777 Depth=2
	v_cmp_lt_u32_e32 vcc_lo, 0xffffff, v97
	v_sub_nc_u32_e32 v87, v98, v99
	v_cndmask_b32_e64 v98, 0, 1, vcc_lo
	v_add_co_ci_u32_e64 v87, null, 0, v87, vcc_lo
	v_lshrrev_b32_e32 v97, v98, v97
; %bb.6795:                             ;   in Loop: Header=BB4_6777 Depth=2
	s_andn2_saveexec_b32 s14, s14
; %bb.6796:                             ;   in Loop: Header=BB4_6777 Depth=2
	v_bfe_u32 v87, v97, 23, 1
; %bb.6797:                             ;   in Loop: Header=BB4_6777 Depth=2
	s_or_b32 exec_lo, exec_lo, s14
	v_lshrrev_b32_e32 v97, 20, v97
	v_min_i32_e32 v98, 15, v87
	v_cmp_gt_i32_e32 vcc_lo, 16, v87
	v_and_b32_sdwa v96, v96, v82 dst_sel:DWORD dst_unused:UNUSED_PAD src0_sel:BYTE_3 src1_sel:DWORD
	v_lshlrev_b32_e32 v98, 3, v98
	v_cndmask_b32_e32 v97, 7, v97, vcc_lo
	v_and_b32_e32 v98, 0xf8, v98
	v_and_b32_e32 v99, 7, v97
	v_or_b32_e32 v87, v87, v97
	v_or3_b32 v96, v98, v96, v99
	v_cmp_ne_u32_e32 vcc_lo, 0, v87
	v_cndmask_b32_e32 v87, 0, v96, vcc_lo
.LBB4_6798:                             ;   in Loop: Header=BB4_6777 Depth=2
	s_or_b32 exec_lo, exec_lo, s41
.LBB4_6799:                             ;   in Loop: Header=BB4_6777 Depth=2
	s_or_b32 exec_lo, exec_lo, s40
	v_cmp_gt_i16_sdwa s40, v10, v81 src0_sel:BYTE_1 src1_sel:DWORD
	s_mov_b32 s14, 0
	s_and_saveexec_b32 s41, s40
	s_xor_b32 s40, exec_lo, s41
	s_cbranch_execz .LBB4_7009
; %bb.6800:                             ;   in Loop: Header=BB4_6777 Depth=2
	v_cmp_eq_u16_sdwa s42, v10, v82 src0_sel:BYTE_1 src1_sel:DWORD
	s_mov_b32 s14, -1
	s_and_saveexec_b32 s41, s42
; %bb.6801:                             ;   in Loop: Header=BB4_6777 Depth=2
	s_xor_b32 s14, exec_lo, -1
; %bb.6802:                             ;   in Loop: Header=BB4_6777 Depth=2
	s_or_b32 exec_lo, exec_lo, s41
	s_and_b32 s14, s14, exec_lo
	s_or_saveexec_b32 s40, s40
	v_mov_b32_e32 v96, 0x7f800001
	s_xor_b32 exec_lo, exec_lo, s40
	s_cbranch_execnz .LBB4_7010
.LBB4_6803:                             ;   in Loop: Header=BB4_6777 Depth=2
	s_or_b32 exec_lo, exec_lo, s40
	s_and_saveexec_b32 s40, s14
	s_cbranch_execz .LBB4_6805
.LBB4_6804:                             ;   in Loop: Header=BB4_6777 Depth=2
	v_and_b32_sdwa v96, v83, v10 dst_sel:DWORD dst_unused:UNUSED_PAD src0_sel:DWORD src1_sel:BYTE_1
	v_and_b32_e32 v97, 7, v96
	v_bfe_u32 v100, v96, 3, 4
	v_ffbh_u32_e32 v98, v97
	v_cmp_eq_u32_e32 vcc_lo, 0, v100
	v_min_u32_e32 v98, 32, v98
	v_subrev_nc_u32_e32 v99, 28, v98
	v_sub_nc_u32_e32 v98, 29, v98
	v_lshlrev_b32_e32 v96, v99, v96
	v_lshlrev_b32_sdwa v99, v84, v10 dst_sel:DWORD dst_unused:UNUSED_PAD src0_sel:DWORD src1_sel:BYTE_1
	v_cndmask_b32_e32 v98, v100, v98, vcc_lo
	v_and_b32_e32 v96, 7, v96
	v_lshl_add_u32 v98, v98, 23, 0x3b800000
	v_cndmask_b32_e32 v96, v97, v96, vcc_lo
	v_and_b32_e32 v97, 0x80000000, v99
	v_lshlrev_b32_e32 v96, 20, v96
	v_or3_b32 v96, v97, v98, v96
.LBB4_6805:                             ;   in Loop: Header=BB4_6777 Depth=2
	s_or_b32 exec_lo, exec_lo, s40
	v_mul_f32_e32 v97, s29, v96
	v_and_b32_e32 v96, 0x7f800000, v97
	v_cmp_ne_u32_e32 vcc_lo, 0x7f800000, v96
	v_mov_b32_e32 v96, 0x8000
	s_and_saveexec_b32 s40, vcc_lo
	s_cbranch_execz .LBB4_6813
; %bb.6806:                             ;   in Loop: Header=BB4_6777 Depth=2
	v_mov_b32_e32 v96, 0
	s_mov_b32 s41, exec_lo
	v_cmpx_ne_u32_e32 0, v97
	s_cbranch_execz .LBB4_6812
; %bb.6807:                             ;   in Loop: Header=BB4_6777 Depth=2
	v_bfe_u32 v96, v97, 23, 8
	v_and_b32_e32 v98, 0x7fffff, v97
	v_sub_nc_u32_e32 v99, 0x78, v96
	v_cmp_gt_u32_e32 vcc_lo, 0x79, v96
	v_or_b32_e32 v100, 0x800000, v98
	v_cndmask_b32_e32 v99, 0, v99, vcc_lo
	v_cmp_eq_u32_e32 vcc_lo, 0, v96
	v_add_nc_u32_e32 v96, 0xffffff89, v96
	v_cndmask_b32_e64 v99, v99, 0x77, vcc_lo
	v_cndmask_b32_e32 v98, v100, v98, vcc_lo
	v_cndmask_b32_e64 v96, v96, 0xffffff8a, vcc_lo
	v_lshl_add_u32 v100, 0x100000, v99, -1
	v_lshrrev_b32_e32 v101, v99, v98
	v_lshlrev_b32_e64 v103, v99, 0x80000
	v_add_nc_u32_e32 v99, v99, v96
	v_and_b32_e32 v98, v100, v98
	v_bfe_u32 v102, v101, 20, 1
	v_cmp_eq_u32_e64 s14, v98, v103
	v_add_nc_u32_e32 v100, -1, v102
	v_cndmask_b32_e64 v98, 0, v100, s14
	v_lshrrev_b32_e32 v100, 23, v101
	s_mov_b32 s14, exec_lo
	v_add_nc_u32_e32 v98, v98, v101
	v_xor_b32_e32 v100, 1, v100
	v_and_b32_e32 v96, 0xfffff, v98
	v_add_nc_u32_e32 v98, v96, v101
                                        ; implicit-def: $vgpr96
	v_cmpx_ne_u32_e64 v99, v100
	s_xor_b32 s14, exec_lo, s14
; %bb.6808:                             ;   in Loop: Header=BB4_6777 Depth=2
	v_cmp_lt_u32_e32 vcc_lo, 0xffffff, v98
	v_sub_nc_u32_e32 v96, v99, v100
	v_cndmask_b32_e64 v99, 0, 1, vcc_lo
	v_add_co_ci_u32_e64 v96, null, 0, v96, vcc_lo
	v_lshrrev_b32_e32 v98, v99, v98
; %bb.6809:                             ;   in Loop: Header=BB4_6777 Depth=2
	s_andn2_saveexec_b32 s14, s14
; %bb.6810:                             ;   in Loop: Header=BB4_6777 Depth=2
	v_bfe_u32 v96, v98, 23, 1
; %bb.6811:                             ;   in Loop: Header=BB4_6777 Depth=2
	s_or_b32 exec_lo, exec_lo, s14
	v_lshrrev_b32_e32 v98, 20, v98
	v_min_i32_e32 v99, 15, v96
	v_cmp_gt_i32_e32 vcc_lo, 16, v96
	v_and_b32_sdwa v97, v97, v82 dst_sel:DWORD dst_unused:UNUSED_PAD src0_sel:BYTE_3 src1_sel:DWORD
	v_lshlrev_b32_e32 v99, 3, v99
	v_cndmask_b32_e32 v98, 7, v98, vcc_lo
	v_and_b32_e32 v99, 0xf8, v99
	v_and_b32_e32 v100, 7, v98
	v_or_b32_e32 v96, v96, v98
	v_or3_b32 v97, v97, v99, v100
	v_cmp_ne_u32_e32 vcc_lo, 0, v96
	v_lshlrev_b32_e32 v97, 8, v97
	v_cndmask_b32_e32 v96, 0, v97, vcc_lo
.LBB4_6812:                             ;   in Loop: Header=BB4_6777 Depth=2
	s_or_b32 exec_lo, exec_lo, s41
.LBB4_6813:                             ;   in Loop: Header=BB4_6777 Depth=2
	s_or_b32 exec_lo, exec_lo, s40
	v_and_b32_sdwa v98, v10, v85 dst_sel:DWORD dst_unused:UNUSED_PAD src0_sel:WORD_1 src1_sel:DWORD
	s_mov_b32 s14, 0
	s_mov_b32 s40, exec_lo
	v_cmpx_lt_i16_e32 0x7f, v98
	s_xor_b32 s40, exec_lo, s40
	s_cbranch_execz .LBB4_7011
; %bb.6814:                             ;   in Loop: Header=BB4_6777 Depth=2
	s_mov_b32 s14, -1
	s_mov_b32 s41, exec_lo
	v_cmpx_eq_u16_e32 0x80, v98
; %bb.6815:                             ;   in Loop: Header=BB4_6777 Depth=2
	s_xor_b32 s14, exec_lo, -1
; %bb.6816:                             ;   in Loop: Header=BB4_6777 Depth=2
	s_or_b32 exec_lo, exec_lo, s41
	s_and_b32 s14, s14, exec_lo
                                        ; implicit-def: $vgpr98
	s_or_saveexec_b32 s40, s40
	v_mov_b32_e32 v97, 0x7f800001
	s_xor_b32 exec_lo, exec_lo, s40
	s_cbranch_execnz .LBB4_7012
.LBB4_6817:                             ;   in Loop: Header=BB4_6777 Depth=2
	s_or_b32 exec_lo, exec_lo, s40
	s_and_saveexec_b32 s40, s14
	s_cbranch_execz .LBB4_6819
.LBB4_6818:                             ;   in Loop: Header=BB4_6777 Depth=2
	v_bfe_u32 v97, v10, 16, 3
	v_bfe_u32 v100, v10, 19, 4
	v_lshlrev_b32_e32 v101, 8, v10
	v_ffbh_u32_e32 v98, v97
	v_cmp_eq_u32_e32 vcc_lo, 0, v100
	v_min_u32_e32 v98, 32, v98
	v_subrev_nc_u32_e32 v99, 28, v98
	v_sub_nc_u32_e32 v98, 29, v98
	v_lshlrev_b32_sdwa v99, v99, v10 dst_sel:DWORD dst_unused:UNUSED_PAD src0_sel:DWORD src1_sel:WORD_1
	v_cndmask_b32_e32 v98, v100, v98, vcc_lo
	v_and_b32_e32 v99, 7, v99
	v_lshl_add_u32 v98, v98, 23, 0x3b800000
	v_cndmask_b32_e32 v97, v97, v99, vcc_lo
	v_and_b32_e32 v99, 0x80000000, v101
	v_lshlrev_b32_e32 v97, 20, v97
	v_or3_b32 v97, v99, v98, v97
.LBB4_6819:                             ;   in Loop: Header=BB4_6777 Depth=2
	s_or_b32 exec_lo, exec_lo, s40
	v_mul_f32_e32 v98, s29, v97
	v_and_b32_e32 v97, 0x7f800000, v98
	v_cmp_ne_u32_e32 vcc_lo, 0x7f800000, v97
	v_mov_b32_e32 v97, 0x80
	s_and_saveexec_b32 s40, vcc_lo
	s_cbranch_execz .LBB4_6827
; %bb.6820:                             ;   in Loop: Header=BB4_6777 Depth=2
	v_mov_b32_e32 v97, 0
	s_mov_b32 s41, exec_lo
	v_cmpx_ne_u32_e32 0, v98
	s_cbranch_execz .LBB4_6826
; %bb.6821:                             ;   in Loop: Header=BB4_6777 Depth=2
	v_bfe_u32 v97, v98, 23, 8
	v_and_b32_e32 v99, 0x7fffff, v98
	v_sub_nc_u32_e32 v100, 0x78, v97
	v_cmp_gt_u32_e32 vcc_lo, 0x79, v97
	v_or_b32_e32 v101, 0x800000, v99
	v_cndmask_b32_e32 v100, 0, v100, vcc_lo
	v_cmp_eq_u32_e32 vcc_lo, 0, v97
	v_add_nc_u32_e32 v97, 0xffffff89, v97
	v_cndmask_b32_e64 v100, v100, 0x77, vcc_lo
	v_cndmask_b32_e32 v99, v101, v99, vcc_lo
	v_cndmask_b32_e64 v97, v97, 0xffffff8a, vcc_lo
	v_lshl_add_u32 v101, 0x100000, v100, -1
	v_lshrrev_b32_e32 v102, v100, v99
	v_lshlrev_b32_e64 v112, v100, 0x80000
	v_add_nc_u32_e32 v100, v100, v97
	v_and_b32_e32 v99, v101, v99
	v_bfe_u32 v103, v102, 20, 1
	v_cmp_eq_u32_e64 s14, v99, v112
	v_add_nc_u32_e32 v101, -1, v103
	v_cndmask_b32_e64 v99, 0, v101, s14
	v_lshrrev_b32_e32 v101, 23, v102
	s_mov_b32 s14, exec_lo
	v_add_nc_u32_e32 v99, v99, v102
	v_xor_b32_e32 v101, 1, v101
	v_and_b32_e32 v97, 0xfffff, v99
	v_add_nc_u32_e32 v99, v97, v102
                                        ; implicit-def: $vgpr97
	v_cmpx_ne_u32_e64 v100, v101
	s_xor_b32 s14, exec_lo, s14
; %bb.6822:                             ;   in Loop: Header=BB4_6777 Depth=2
	v_cmp_lt_u32_e32 vcc_lo, 0xffffff, v99
	v_sub_nc_u32_e32 v97, v100, v101
	v_cndmask_b32_e64 v100, 0, 1, vcc_lo
	v_add_co_ci_u32_e64 v97, null, 0, v97, vcc_lo
	v_lshrrev_b32_e32 v99, v100, v99
; %bb.6823:                             ;   in Loop: Header=BB4_6777 Depth=2
	s_andn2_saveexec_b32 s14, s14
; %bb.6824:                             ;   in Loop: Header=BB4_6777 Depth=2
	v_bfe_u32 v97, v99, 23, 1
; %bb.6825:                             ;   in Loop: Header=BB4_6777 Depth=2
	s_or_b32 exec_lo, exec_lo, s14
	v_lshrrev_b32_e32 v99, 20, v99
	v_min_i32_e32 v100, 15, v97
	v_cmp_gt_i32_e32 vcc_lo, 16, v97
	v_and_b32_sdwa v98, v98, v82 dst_sel:DWORD dst_unused:UNUSED_PAD src0_sel:BYTE_3 src1_sel:DWORD
	v_lshlrev_b32_e32 v100, 3, v100
	v_cndmask_b32_e32 v99, 7, v99, vcc_lo
	v_and_b32_e32 v100, 0xf8, v100
	v_and_b32_e32 v101, 7, v99
	v_or_b32_e32 v97, v97, v99
	v_or3_b32 v98, v100, v98, v101
	v_cmp_ne_u32_e32 vcc_lo, 0, v97
	v_cndmask_b32_e32 v97, 0, v98, vcc_lo
.LBB4_6826:                             ;   in Loop: Header=BB4_6777 Depth=2
	s_or_b32 exec_lo, exec_lo, s41
.LBB4_6827:                             ;   in Loop: Header=BB4_6777 Depth=2
	s_or_b32 exec_lo, exec_lo, s40
	v_cmp_gt_i16_sdwa s40, v10, v81 src0_sel:BYTE_3 src1_sel:DWORD
	s_mov_b32 s14, 0
	s_and_saveexec_b32 s41, s40
	s_xor_b32 s40, exec_lo, s41
	s_cbranch_execz .LBB4_7013
; %bb.6828:                             ;   in Loop: Header=BB4_6777 Depth=2
	v_cmp_eq_u16_sdwa s42, v10, v82 src0_sel:BYTE_3 src1_sel:DWORD
	s_mov_b32 s14, -1
	s_and_saveexec_b32 s41, s42
; %bb.6829:                             ;   in Loop: Header=BB4_6777 Depth=2
	s_xor_b32 s14, exec_lo, -1
; %bb.6830:                             ;   in Loop: Header=BB4_6777 Depth=2
	s_or_b32 exec_lo, exec_lo, s41
	s_and_b32 s14, s14, exec_lo
	s_or_saveexec_b32 s40, s40
	v_mov_b32_e32 v98, 0x7f800001
	s_xor_b32 exec_lo, exec_lo, s40
	s_cbranch_execnz .LBB4_7014
.LBB4_6831:                             ;   in Loop: Header=BB4_6777 Depth=2
	s_or_b32 exec_lo, exec_lo, s40
	s_and_saveexec_b32 s40, s14
	s_cbranch_execz .LBB4_6833
.LBB4_6832:                             ;   in Loop: Header=BB4_6777 Depth=2
	v_bfe_u32 v98, v10, 24, 3
	v_bfe_u32 v101, v10, 27, 4
	v_ffbh_u32_e32 v99, v98
	v_cmp_eq_u32_e32 vcc_lo, 0, v101
	v_min_u32_e32 v99, 32, v99
	v_subrev_nc_u32_e32 v100, 28, v99
	v_sub_nc_u32_e32 v99, 29, v99
	v_lshlrev_b32_sdwa v100, v100, v10 dst_sel:DWORD dst_unused:UNUSED_PAD src0_sel:DWORD src1_sel:BYTE_3
	v_cndmask_b32_e32 v99, v101, v99, vcc_lo
	v_and_b32_e32 v10, 0x80000000, v10
	v_and_b32_e32 v100, 7, v100
	v_lshl_add_u32 v99, v99, 23, 0x3b800000
	v_cndmask_b32_e32 v98, v98, v100, vcc_lo
	v_lshlrev_b32_e32 v98, 20, v98
	v_or3_b32 v98, v10, v99, v98
.LBB4_6833:                             ;   in Loop: Header=BB4_6777 Depth=2
	s_or_b32 exec_lo, exec_lo, s40
	v_mul_f32_e32 v98, s29, v98
	v_and_b32_e32 v10, 0x7f800000, v98
	v_cmp_ne_u32_e32 vcc_lo, 0x7f800000, v10
	v_mov_b32_e32 v10, 0x8000
	s_and_saveexec_b32 s40, vcc_lo
	s_cbranch_execz .LBB4_6841
; %bb.6834:                             ;   in Loop: Header=BB4_6777 Depth=2
	v_mov_b32_e32 v10, 0
	s_mov_b32 s41, exec_lo
	v_cmpx_ne_u32_e32 0, v98
	s_cbranch_execz .LBB4_6840
; %bb.6835:                             ;   in Loop: Header=BB4_6777 Depth=2
	v_bfe_u32 v10, v98, 23, 8
	v_and_b32_e32 v99, 0x7fffff, v98
	v_sub_nc_u32_e32 v100, 0x78, v10
	v_cmp_gt_u32_e32 vcc_lo, 0x79, v10
	v_or_b32_e32 v101, 0x800000, v99
	v_cndmask_b32_e32 v100, 0, v100, vcc_lo
	v_cmp_eq_u32_e32 vcc_lo, 0, v10
	v_add_nc_u32_e32 v10, 0xffffff89, v10
	v_cndmask_b32_e64 v100, v100, 0x77, vcc_lo
	v_cndmask_b32_e32 v99, v101, v99, vcc_lo
	v_cndmask_b32_e64 v10, v10, 0xffffff8a, vcc_lo
	v_lshl_add_u32 v101, 0x100000, v100, -1
	v_lshrrev_b32_e32 v102, v100, v99
	v_lshlrev_b32_e64 v112, v100, 0x80000
	v_add_nc_u32_e32 v100, v100, v10
	v_and_b32_e32 v99, v101, v99
	v_bfe_u32 v103, v102, 20, 1
	v_cmp_eq_u32_e64 s14, v99, v112
	v_add_nc_u32_e32 v101, -1, v103
	v_cndmask_b32_e64 v99, 0, v101, s14
	v_lshrrev_b32_e32 v101, 23, v102
	s_mov_b32 s14, exec_lo
	v_add_nc_u32_e32 v99, v99, v102
	v_xor_b32_e32 v101, 1, v101
	v_and_b32_e32 v10, 0xfffff, v99
	v_add_nc_u32_e32 v99, v10, v102
                                        ; implicit-def: $vgpr10
	v_cmpx_ne_u32_e64 v100, v101
	s_xor_b32 s14, exec_lo, s14
; %bb.6836:                             ;   in Loop: Header=BB4_6777 Depth=2
	v_cmp_lt_u32_e32 vcc_lo, 0xffffff, v99
	v_sub_nc_u32_e32 v10, v100, v101
	v_cndmask_b32_e64 v100, 0, 1, vcc_lo
	v_add_co_ci_u32_e64 v10, null, 0, v10, vcc_lo
	v_lshrrev_b32_e32 v99, v100, v99
; %bb.6837:                             ;   in Loop: Header=BB4_6777 Depth=2
	s_andn2_saveexec_b32 s14, s14
; %bb.6838:                             ;   in Loop: Header=BB4_6777 Depth=2
	v_bfe_u32 v10, v99, 23, 1
; %bb.6839:                             ;   in Loop: Header=BB4_6777 Depth=2
	s_or_b32 exec_lo, exec_lo, s14
	v_lshrrev_b32_e32 v99, 20, v99
	v_min_i32_e32 v100, 15, v10
	v_cmp_gt_i32_e32 vcc_lo, 16, v10
	v_and_b32_sdwa v98, v98, v82 dst_sel:DWORD dst_unused:UNUSED_PAD src0_sel:BYTE_3 src1_sel:DWORD
	v_lshlrev_b32_e32 v100, 3, v100
	v_cndmask_b32_e32 v99, 7, v99, vcc_lo
	v_and_b32_e32 v100, 0xf8, v100
	v_and_b32_e32 v101, 7, v99
	v_or_b32_e32 v10, v10, v99
	v_or3_b32 v98, v98, v100, v101
	v_cmp_ne_u32_e32 vcc_lo, 0, v10
	v_lshlrev_b32_e32 v98, 8, v98
	v_cndmask_b32_e32 v10, 0, v98, vcc_lo
.LBB4_6840:                             ;   in Loop: Header=BB4_6777 Depth=2
	s_or_b32 exec_lo, exec_lo, s41
.LBB4_6841:                             ;   in Loop: Header=BB4_6777 Depth=2
	s_or_b32 exec_lo, exec_lo, s40
	v_cmp_gt_i16_sdwa s40, v11, v81 src0_sel:BYTE_0 src1_sel:DWORD
	s_mov_b32 s14, 0
	s_and_saveexec_b32 s41, s40
	s_xor_b32 s40, exec_lo, s41
	s_cbranch_execz .LBB4_7015
; %bb.6842:                             ;   in Loop: Header=BB4_6777 Depth=2
	v_cmp_eq_u16_sdwa s42, v11, v82 src0_sel:BYTE_0 src1_sel:DWORD
	s_mov_b32 s14, -1
	s_and_saveexec_b32 s41, s42
; %bb.6843:                             ;   in Loop: Header=BB4_6777 Depth=2
	s_xor_b32 s14, exec_lo, -1
; %bb.6844:                             ;   in Loop: Header=BB4_6777 Depth=2
	s_or_b32 exec_lo, exec_lo, s41
	s_and_b32 s14, s14, exec_lo
	s_or_saveexec_b32 s40, s40
	v_mov_b32_e32 v98, 0x7f800001
	s_xor_b32 exec_lo, exec_lo, s40
	s_cbranch_execnz .LBB4_7016
.LBB4_6845:                             ;   in Loop: Header=BB4_6777 Depth=2
	s_or_b32 exec_lo, exec_lo, s40
	s_and_saveexec_b32 s40, s14
	s_cbranch_execz .LBB4_6847
.LBB4_6846:                             ;   in Loop: Header=BB4_6777 Depth=2
	v_and_b32_e32 v98, 7, v11
	v_bfe_u32 v101, v11, 3, 4
	v_lshlrev_b32_e32 v102, 24, v11
	v_ffbh_u32_e32 v99, v98
	v_cmp_eq_u32_e32 vcc_lo, 0, v101
	v_min_u32_e32 v99, 32, v99
	v_subrev_nc_u32_e32 v100, 28, v99
	v_sub_nc_u32_e32 v99, 29, v99
	v_lshlrev_b32_e32 v100, v100, v11
	v_cndmask_b32_e32 v99, v101, v99, vcc_lo
	v_and_b32_e32 v100, 7, v100
	v_lshl_add_u32 v99, v99, 23, 0x3b800000
	v_cndmask_b32_e32 v98, v98, v100, vcc_lo
	v_and_b32_e32 v100, 0x80000000, v102
	v_lshlrev_b32_e32 v98, 20, v98
	v_or3_b32 v98, v100, v99, v98
.LBB4_6847:                             ;   in Loop: Header=BB4_6777 Depth=2
	s_or_b32 exec_lo, exec_lo, s40
	v_mul_f32_e32 v99, s29, v98
	v_and_b32_e32 v98, 0x7f800000, v99
	v_cmp_ne_u32_e32 vcc_lo, 0x7f800000, v98
	v_mov_b32_e32 v98, 0x80
	s_and_saveexec_b32 s40, vcc_lo
	s_cbranch_execz .LBB4_6855
; %bb.6848:                             ;   in Loop: Header=BB4_6777 Depth=2
	v_mov_b32_e32 v98, 0
	s_mov_b32 s41, exec_lo
	v_cmpx_ne_u32_e32 0, v99
	s_cbranch_execz .LBB4_6854
; %bb.6849:                             ;   in Loop: Header=BB4_6777 Depth=2
	v_bfe_u32 v98, v99, 23, 8
	v_and_b32_e32 v100, 0x7fffff, v99
	v_sub_nc_u32_e32 v101, 0x78, v98
	v_cmp_gt_u32_e32 vcc_lo, 0x79, v98
	v_or_b32_e32 v102, 0x800000, v100
	v_cndmask_b32_e32 v101, 0, v101, vcc_lo
	v_cmp_eq_u32_e32 vcc_lo, 0, v98
	v_add_nc_u32_e32 v98, 0xffffff89, v98
	v_cndmask_b32_e64 v101, v101, 0x77, vcc_lo
	v_cndmask_b32_e32 v100, v102, v100, vcc_lo
	v_cndmask_b32_e64 v98, v98, 0xffffff8a, vcc_lo
	v_lshl_add_u32 v102, 0x100000, v101, -1
	v_lshrrev_b32_e32 v103, v101, v100
	v_lshlrev_b32_e64 v113, v101, 0x80000
	v_add_nc_u32_e32 v101, v101, v98
	v_and_b32_e32 v100, v102, v100
	v_bfe_u32 v112, v103, 20, 1
	v_cmp_eq_u32_e64 s14, v100, v113
	v_add_nc_u32_e32 v102, -1, v112
	v_cndmask_b32_e64 v100, 0, v102, s14
	v_lshrrev_b32_e32 v102, 23, v103
	s_mov_b32 s14, exec_lo
	v_add_nc_u32_e32 v100, v100, v103
	v_xor_b32_e32 v102, 1, v102
	v_and_b32_e32 v98, 0xfffff, v100
	v_add_nc_u32_e32 v100, v98, v103
                                        ; implicit-def: $vgpr98
	v_cmpx_ne_u32_e64 v101, v102
	s_xor_b32 s14, exec_lo, s14
; %bb.6850:                             ;   in Loop: Header=BB4_6777 Depth=2
	v_cmp_lt_u32_e32 vcc_lo, 0xffffff, v100
	v_sub_nc_u32_e32 v98, v101, v102
	v_cndmask_b32_e64 v101, 0, 1, vcc_lo
	v_add_co_ci_u32_e64 v98, null, 0, v98, vcc_lo
	v_lshrrev_b32_e32 v100, v101, v100
; %bb.6851:                             ;   in Loop: Header=BB4_6777 Depth=2
	s_andn2_saveexec_b32 s14, s14
; %bb.6852:                             ;   in Loop: Header=BB4_6777 Depth=2
	v_bfe_u32 v98, v100, 23, 1
; %bb.6853:                             ;   in Loop: Header=BB4_6777 Depth=2
	s_or_b32 exec_lo, exec_lo, s14
	v_lshrrev_b32_e32 v100, 20, v100
	v_min_i32_e32 v101, 15, v98
	v_cmp_gt_i32_e32 vcc_lo, 16, v98
	v_and_b32_sdwa v99, v99, v82 dst_sel:DWORD dst_unused:UNUSED_PAD src0_sel:BYTE_3 src1_sel:DWORD
	v_lshlrev_b32_e32 v101, 3, v101
	v_cndmask_b32_e32 v100, 7, v100, vcc_lo
	v_and_b32_e32 v101, 0xf8, v101
	v_and_b32_e32 v102, 7, v100
	v_or_b32_e32 v98, v98, v100
	v_or3_b32 v99, v101, v99, v102
	v_cmp_ne_u32_e32 vcc_lo, 0, v98
	v_cndmask_b32_e32 v98, 0, v99, vcc_lo
.LBB4_6854:                             ;   in Loop: Header=BB4_6777 Depth=2
	s_or_b32 exec_lo, exec_lo, s41
.LBB4_6855:                             ;   in Loop: Header=BB4_6777 Depth=2
	s_or_b32 exec_lo, exec_lo, s40
	v_cmp_gt_i16_sdwa s40, v11, v81 src0_sel:BYTE_1 src1_sel:DWORD
	s_mov_b32 s14, 0
	s_and_saveexec_b32 s41, s40
	s_xor_b32 s40, exec_lo, s41
	s_cbranch_execz .LBB4_7017
; %bb.6856:                             ;   in Loop: Header=BB4_6777 Depth=2
	v_cmp_eq_u16_sdwa s42, v11, v82 src0_sel:BYTE_1 src1_sel:DWORD
	s_mov_b32 s14, -1
	s_and_saveexec_b32 s41, s42
; %bb.6857:                             ;   in Loop: Header=BB4_6777 Depth=2
	s_xor_b32 s14, exec_lo, -1
; %bb.6858:                             ;   in Loop: Header=BB4_6777 Depth=2
	s_or_b32 exec_lo, exec_lo, s41
	s_and_b32 s14, s14, exec_lo
	s_or_saveexec_b32 s40, s40
	v_mov_b32_e32 v99, 0x7f800001
	s_xor_b32 exec_lo, exec_lo, s40
	s_cbranch_execnz .LBB4_7018
.LBB4_6859:                             ;   in Loop: Header=BB4_6777 Depth=2
	s_or_b32 exec_lo, exec_lo, s40
	s_and_saveexec_b32 s40, s14
	s_cbranch_execz .LBB4_6861
.LBB4_6860:                             ;   in Loop: Header=BB4_6777 Depth=2
	v_and_b32_sdwa v99, v83, v11 dst_sel:DWORD dst_unused:UNUSED_PAD src0_sel:DWORD src1_sel:BYTE_1
	v_and_b32_e32 v100, 7, v99
	v_bfe_u32 v103, v99, 3, 4
	v_ffbh_u32_e32 v101, v100
	v_cmp_eq_u32_e32 vcc_lo, 0, v103
	v_min_u32_e32 v101, 32, v101
	v_subrev_nc_u32_e32 v102, 28, v101
	v_sub_nc_u32_e32 v101, 29, v101
	v_lshlrev_b32_e32 v99, v102, v99
	v_lshlrev_b32_sdwa v102, v84, v11 dst_sel:DWORD dst_unused:UNUSED_PAD src0_sel:DWORD src1_sel:BYTE_1
	v_cndmask_b32_e32 v101, v103, v101, vcc_lo
	v_and_b32_e32 v99, 7, v99
	v_lshl_add_u32 v101, v101, 23, 0x3b800000
	v_cndmask_b32_e32 v99, v100, v99, vcc_lo
	v_and_b32_e32 v100, 0x80000000, v102
	v_lshlrev_b32_e32 v99, 20, v99
	v_or3_b32 v99, v100, v101, v99
.LBB4_6861:                             ;   in Loop: Header=BB4_6777 Depth=2
	s_or_b32 exec_lo, exec_lo, s40
	v_mul_f32_e32 v100, s29, v99
	v_and_b32_e32 v99, 0x7f800000, v100
	v_cmp_ne_u32_e32 vcc_lo, 0x7f800000, v99
	v_mov_b32_e32 v99, 0x8000
	s_and_saveexec_b32 s40, vcc_lo
	s_cbranch_execz .LBB4_6869
; %bb.6862:                             ;   in Loop: Header=BB4_6777 Depth=2
	v_mov_b32_e32 v99, 0
	s_mov_b32 s41, exec_lo
	v_cmpx_ne_u32_e32 0, v100
	s_cbranch_execz .LBB4_6868
; %bb.6863:                             ;   in Loop: Header=BB4_6777 Depth=2
	v_bfe_u32 v99, v100, 23, 8
	v_and_b32_e32 v101, 0x7fffff, v100
	v_sub_nc_u32_e32 v102, 0x78, v99
	v_cmp_gt_u32_e32 vcc_lo, 0x79, v99
	v_or_b32_e32 v103, 0x800000, v101
	v_cndmask_b32_e32 v102, 0, v102, vcc_lo
	v_cmp_eq_u32_e32 vcc_lo, 0, v99
	v_add_nc_u32_e32 v99, 0xffffff89, v99
	v_cndmask_b32_e64 v102, v102, 0x77, vcc_lo
	v_cndmask_b32_e32 v101, v103, v101, vcc_lo
	v_cndmask_b32_e64 v99, v99, 0xffffff8a, vcc_lo
	v_lshl_add_u32 v103, 0x100000, v102, -1
	v_lshrrev_b32_e32 v112, v102, v101
	v_lshlrev_b32_e64 v114, v102, 0x80000
	v_add_nc_u32_e32 v102, v102, v99
	v_and_b32_e32 v101, v103, v101
	v_bfe_u32 v113, v112, 20, 1
	v_cmp_eq_u32_e64 s14, v101, v114
	v_add_nc_u32_e32 v103, -1, v113
	v_cndmask_b32_e64 v101, 0, v103, s14
	v_lshrrev_b32_e32 v103, 23, v112
	s_mov_b32 s14, exec_lo
	v_add_nc_u32_e32 v101, v101, v112
	v_xor_b32_e32 v103, 1, v103
	v_and_b32_e32 v99, 0xfffff, v101
	v_add_nc_u32_e32 v101, v99, v112
                                        ; implicit-def: $vgpr99
	v_cmpx_ne_u32_e64 v102, v103
	s_xor_b32 s14, exec_lo, s14
; %bb.6864:                             ;   in Loop: Header=BB4_6777 Depth=2
	v_cmp_lt_u32_e32 vcc_lo, 0xffffff, v101
	v_sub_nc_u32_e32 v99, v102, v103
	v_cndmask_b32_e64 v102, 0, 1, vcc_lo
	v_add_co_ci_u32_e64 v99, null, 0, v99, vcc_lo
	v_lshrrev_b32_e32 v101, v102, v101
; %bb.6865:                             ;   in Loop: Header=BB4_6777 Depth=2
	s_andn2_saveexec_b32 s14, s14
; %bb.6866:                             ;   in Loop: Header=BB4_6777 Depth=2
	v_bfe_u32 v99, v101, 23, 1
; %bb.6867:                             ;   in Loop: Header=BB4_6777 Depth=2
	s_or_b32 exec_lo, exec_lo, s14
	v_lshrrev_b32_e32 v101, 20, v101
	v_min_i32_e32 v102, 15, v99
	v_cmp_gt_i32_e32 vcc_lo, 16, v99
	v_and_b32_sdwa v100, v100, v82 dst_sel:DWORD dst_unused:UNUSED_PAD src0_sel:BYTE_3 src1_sel:DWORD
	v_lshlrev_b32_e32 v102, 3, v102
	v_cndmask_b32_e32 v101, 7, v101, vcc_lo
	v_and_b32_e32 v102, 0xf8, v102
	v_and_b32_e32 v103, 7, v101
	v_or_b32_e32 v99, v99, v101
	v_or3_b32 v100, v100, v102, v103
	v_cmp_ne_u32_e32 vcc_lo, 0, v99
	v_lshlrev_b32_e32 v100, 8, v100
	v_cndmask_b32_e32 v99, 0, v100, vcc_lo
.LBB4_6868:                             ;   in Loop: Header=BB4_6777 Depth=2
	s_or_b32 exec_lo, exec_lo, s41
.LBB4_6869:                             ;   in Loop: Header=BB4_6777 Depth=2
	s_or_b32 exec_lo, exec_lo, s40
	v_and_b32_sdwa v101, v11, v85 dst_sel:DWORD dst_unused:UNUSED_PAD src0_sel:WORD_1 src1_sel:DWORD
	s_mov_b32 s14, 0
	s_mov_b32 s40, exec_lo
	v_cmpx_lt_i16_e32 0x7f, v101
	s_xor_b32 s40, exec_lo, s40
	s_cbranch_execz .LBB4_7019
; %bb.6870:                             ;   in Loop: Header=BB4_6777 Depth=2
	s_mov_b32 s14, -1
	s_mov_b32 s41, exec_lo
	v_cmpx_eq_u16_e32 0x80, v101
; %bb.6871:                             ;   in Loop: Header=BB4_6777 Depth=2
	s_xor_b32 s14, exec_lo, -1
; %bb.6872:                             ;   in Loop: Header=BB4_6777 Depth=2
	s_or_b32 exec_lo, exec_lo, s41
	s_and_b32 s14, s14, exec_lo
                                        ; implicit-def: $vgpr101
	s_or_saveexec_b32 s40, s40
	v_mov_b32_e32 v100, 0x7f800001
	s_xor_b32 exec_lo, exec_lo, s40
	s_cbranch_execnz .LBB4_7020
.LBB4_6873:                             ;   in Loop: Header=BB4_6777 Depth=2
	s_or_b32 exec_lo, exec_lo, s40
	s_and_saveexec_b32 s40, s14
	s_cbranch_execz .LBB4_6875
.LBB4_6874:                             ;   in Loop: Header=BB4_6777 Depth=2
	v_bfe_u32 v100, v11, 16, 3
	v_bfe_u32 v103, v11, 19, 4
	v_lshlrev_b32_e32 v112, 8, v11
	v_ffbh_u32_e32 v101, v100
	v_cmp_eq_u32_e32 vcc_lo, 0, v103
	v_min_u32_e32 v101, 32, v101
	v_subrev_nc_u32_e32 v102, 28, v101
	v_sub_nc_u32_e32 v101, 29, v101
	v_lshlrev_b32_sdwa v102, v102, v11 dst_sel:DWORD dst_unused:UNUSED_PAD src0_sel:DWORD src1_sel:WORD_1
	v_cndmask_b32_e32 v101, v103, v101, vcc_lo
	v_and_b32_e32 v102, 7, v102
	v_lshl_add_u32 v101, v101, 23, 0x3b800000
	v_cndmask_b32_e32 v100, v100, v102, vcc_lo
	v_and_b32_e32 v102, 0x80000000, v112
	v_lshlrev_b32_e32 v100, 20, v100
	v_or3_b32 v100, v102, v101, v100
.LBB4_6875:                             ;   in Loop: Header=BB4_6777 Depth=2
	s_or_b32 exec_lo, exec_lo, s40
	v_mul_f32_e32 v101, s29, v100
	v_and_b32_e32 v100, 0x7f800000, v101
	v_cmp_ne_u32_e32 vcc_lo, 0x7f800000, v100
	v_mov_b32_e32 v100, 0x80
	s_and_saveexec_b32 s40, vcc_lo
	s_cbranch_execz .LBB4_6883
; %bb.6876:                             ;   in Loop: Header=BB4_6777 Depth=2
	v_mov_b32_e32 v100, 0
	s_mov_b32 s41, exec_lo
	v_cmpx_ne_u32_e32 0, v101
	s_cbranch_execz .LBB4_6882
; %bb.6877:                             ;   in Loop: Header=BB4_6777 Depth=2
	v_bfe_u32 v100, v101, 23, 8
	v_and_b32_e32 v102, 0x7fffff, v101
	v_sub_nc_u32_e32 v103, 0x78, v100
	v_cmp_gt_u32_e32 vcc_lo, 0x79, v100
	v_or_b32_e32 v112, 0x800000, v102
	v_cndmask_b32_e32 v103, 0, v103, vcc_lo
	v_cmp_eq_u32_e32 vcc_lo, 0, v100
	v_add_nc_u32_e32 v100, 0xffffff89, v100
	v_cndmask_b32_e64 v103, v103, 0x77, vcc_lo
	v_cndmask_b32_e32 v102, v112, v102, vcc_lo
	v_cndmask_b32_e64 v100, v100, 0xffffff8a, vcc_lo
	v_lshl_add_u32 v112, 0x100000, v103, -1
	v_lshrrev_b32_e32 v113, v103, v102
	v_lshlrev_b32_e64 v115, v103, 0x80000
	v_add_nc_u32_e32 v103, v103, v100
	v_and_b32_e32 v102, v112, v102
	v_bfe_u32 v114, v113, 20, 1
	v_cmp_eq_u32_e64 s14, v102, v115
	v_add_nc_u32_e32 v112, -1, v114
	v_cndmask_b32_e64 v102, 0, v112, s14
	v_lshrrev_b32_e32 v112, 23, v113
	s_mov_b32 s14, exec_lo
	v_add_nc_u32_e32 v102, v102, v113
	v_xor_b32_e32 v112, 1, v112
	v_and_b32_e32 v100, 0xfffff, v102
	v_add_nc_u32_e32 v102, v100, v113
                                        ; implicit-def: $vgpr100
	v_cmpx_ne_u32_e64 v103, v112
	s_xor_b32 s14, exec_lo, s14
; %bb.6878:                             ;   in Loop: Header=BB4_6777 Depth=2
	v_cmp_lt_u32_e32 vcc_lo, 0xffffff, v102
	v_sub_nc_u32_e32 v100, v103, v112
	v_cndmask_b32_e64 v103, 0, 1, vcc_lo
	v_add_co_ci_u32_e64 v100, null, 0, v100, vcc_lo
	v_lshrrev_b32_e32 v102, v103, v102
; %bb.6879:                             ;   in Loop: Header=BB4_6777 Depth=2
	s_andn2_saveexec_b32 s14, s14
; %bb.6880:                             ;   in Loop: Header=BB4_6777 Depth=2
	v_bfe_u32 v100, v102, 23, 1
; %bb.6881:                             ;   in Loop: Header=BB4_6777 Depth=2
	s_or_b32 exec_lo, exec_lo, s14
	v_lshrrev_b32_e32 v102, 20, v102
	v_min_i32_e32 v103, 15, v100
	v_cmp_gt_i32_e32 vcc_lo, 16, v100
	v_and_b32_sdwa v101, v101, v82 dst_sel:DWORD dst_unused:UNUSED_PAD src0_sel:BYTE_3 src1_sel:DWORD
	v_lshlrev_b32_e32 v103, 3, v103
	v_cndmask_b32_e32 v102, 7, v102, vcc_lo
	v_and_b32_e32 v103, 0xf8, v103
	v_and_b32_e32 v112, 7, v102
	v_or_b32_e32 v100, v100, v102
	v_or3_b32 v101, v103, v101, v112
	v_cmp_ne_u32_e32 vcc_lo, 0, v100
	v_cndmask_b32_e32 v100, 0, v101, vcc_lo
.LBB4_6882:                             ;   in Loop: Header=BB4_6777 Depth=2
	s_or_b32 exec_lo, exec_lo, s41
.LBB4_6883:                             ;   in Loop: Header=BB4_6777 Depth=2
	s_or_b32 exec_lo, exec_lo, s40
	v_cmp_gt_i16_sdwa s40, v11, v81 src0_sel:BYTE_3 src1_sel:DWORD
	s_mov_b32 s14, 0
	s_and_saveexec_b32 s41, s40
	s_xor_b32 s40, exec_lo, s41
	s_cbranch_execz .LBB4_7021
; %bb.6884:                             ;   in Loop: Header=BB4_6777 Depth=2
	v_cmp_eq_u16_sdwa s42, v11, v82 src0_sel:BYTE_3 src1_sel:DWORD
	s_mov_b32 s14, -1
	s_and_saveexec_b32 s41, s42
; %bb.6885:                             ;   in Loop: Header=BB4_6777 Depth=2
	s_xor_b32 s14, exec_lo, -1
; %bb.6886:                             ;   in Loop: Header=BB4_6777 Depth=2
	s_or_b32 exec_lo, exec_lo, s41
	s_and_b32 s14, s14, exec_lo
	s_or_saveexec_b32 s40, s40
	v_mov_b32_e32 v101, 0x7f800001
	s_xor_b32 exec_lo, exec_lo, s40
	s_cbranch_execnz .LBB4_7022
.LBB4_6887:                             ;   in Loop: Header=BB4_6777 Depth=2
	s_or_b32 exec_lo, exec_lo, s40
	s_and_saveexec_b32 s40, s14
	s_cbranch_execz .LBB4_6889
.LBB4_6888:                             ;   in Loop: Header=BB4_6777 Depth=2
	v_bfe_u32 v101, v11, 24, 3
	v_bfe_u32 v112, v11, 27, 4
	v_ffbh_u32_e32 v102, v101
	v_cmp_eq_u32_e32 vcc_lo, 0, v112
	v_min_u32_e32 v102, 32, v102
	v_subrev_nc_u32_e32 v103, 28, v102
	v_sub_nc_u32_e32 v102, 29, v102
	v_lshlrev_b32_sdwa v103, v103, v11 dst_sel:DWORD dst_unused:UNUSED_PAD src0_sel:DWORD src1_sel:BYTE_3
	v_cndmask_b32_e32 v102, v112, v102, vcc_lo
	v_and_b32_e32 v11, 0x80000000, v11
	v_and_b32_e32 v103, 7, v103
	v_lshl_add_u32 v102, v102, 23, 0x3b800000
	v_cndmask_b32_e32 v101, v101, v103, vcc_lo
	v_lshlrev_b32_e32 v101, 20, v101
	v_or3_b32 v101, v11, v102, v101
.LBB4_6889:                             ;   in Loop: Header=BB4_6777 Depth=2
	s_or_b32 exec_lo, exec_lo, s40
	v_mul_f32_e32 v101, s29, v101
	v_and_b32_e32 v11, 0x7f800000, v101
	v_cmp_ne_u32_e32 vcc_lo, 0x7f800000, v11
	v_mov_b32_e32 v11, 0x8000
	s_and_saveexec_b32 s40, vcc_lo
	s_cbranch_execz .LBB4_6897
; %bb.6890:                             ;   in Loop: Header=BB4_6777 Depth=2
	v_mov_b32_e32 v11, 0
	s_mov_b32 s41, exec_lo
	v_cmpx_ne_u32_e32 0, v101
	s_cbranch_execz .LBB4_6896
; %bb.6891:                             ;   in Loop: Header=BB4_6777 Depth=2
	v_bfe_u32 v11, v101, 23, 8
	v_and_b32_e32 v102, 0x7fffff, v101
	v_sub_nc_u32_e32 v103, 0x78, v11
	v_cmp_gt_u32_e32 vcc_lo, 0x79, v11
	v_or_b32_e32 v112, 0x800000, v102
	v_cndmask_b32_e32 v103, 0, v103, vcc_lo
	v_cmp_eq_u32_e32 vcc_lo, 0, v11
	v_add_nc_u32_e32 v11, 0xffffff89, v11
	v_cndmask_b32_e64 v103, v103, 0x77, vcc_lo
	v_cndmask_b32_e32 v102, v112, v102, vcc_lo
	v_cndmask_b32_e64 v11, v11, 0xffffff8a, vcc_lo
	v_lshl_add_u32 v112, 0x100000, v103, -1
	v_lshrrev_b32_e32 v113, v103, v102
	v_lshlrev_b32_e64 v115, v103, 0x80000
	v_add_nc_u32_e32 v103, v103, v11
	v_and_b32_e32 v102, v112, v102
	v_bfe_u32 v114, v113, 20, 1
	v_cmp_eq_u32_e64 s14, v102, v115
	v_add_nc_u32_e32 v112, -1, v114
	v_cndmask_b32_e64 v102, 0, v112, s14
	v_lshrrev_b32_e32 v112, 23, v113
	s_mov_b32 s14, exec_lo
	v_add_nc_u32_e32 v102, v102, v113
	v_xor_b32_e32 v112, 1, v112
	v_and_b32_e32 v11, 0xfffff, v102
	v_add_nc_u32_e32 v102, v11, v113
                                        ; implicit-def: $vgpr11
	v_cmpx_ne_u32_e64 v103, v112
	s_xor_b32 s14, exec_lo, s14
; %bb.6892:                             ;   in Loop: Header=BB4_6777 Depth=2
	v_cmp_lt_u32_e32 vcc_lo, 0xffffff, v102
	v_sub_nc_u32_e32 v11, v103, v112
	v_cndmask_b32_e64 v103, 0, 1, vcc_lo
	v_add_co_ci_u32_e64 v11, null, 0, v11, vcc_lo
	v_lshrrev_b32_e32 v102, v103, v102
; %bb.6893:                             ;   in Loop: Header=BB4_6777 Depth=2
	s_andn2_saveexec_b32 s14, s14
; %bb.6894:                             ;   in Loop: Header=BB4_6777 Depth=2
	v_bfe_u32 v11, v102, 23, 1
; %bb.6895:                             ;   in Loop: Header=BB4_6777 Depth=2
	s_or_b32 exec_lo, exec_lo, s14
	v_lshrrev_b32_e32 v102, 20, v102
	v_min_i32_e32 v103, 15, v11
	v_cmp_gt_i32_e32 vcc_lo, 16, v11
	v_and_b32_sdwa v101, v101, v82 dst_sel:DWORD dst_unused:UNUSED_PAD src0_sel:BYTE_3 src1_sel:DWORD
	v_lshlrev_b32_e32 v103, 3, v103
	v_cndmask_b32_e32 v102, 7, v102, vcc_lo
	v_and_b32_e32 v103, 0xf8, v103
	v_and_b32_e32 v112, 7, v102
	v_or_b32_e32 v11, v11, v102
	v_or3_b32 v101, v101, v103, v112
	v_cmp_ne_u32_e32 vcc_lo, 0, v11
	v_lshlrev_b32_e32 v101, 8, v101
	v_cndmask_b32_e32 v11, 0, v101, vcc_lo
.LBB4_6896:                             ;   in Loop: Header=BB4_6777 Depth=2
	s_or_b32 exec_lo, exec_lo, s41
.LBB4_6897:                             ;   in Loop: Header=BB4_6777 Depth=2
	s_or_b32 exec_lo, exec_lo, s40
	v_cmp_gt_i16_sdwa s40, v12, v81 src0_sel:BYTE_0 src1_sel:DWORD
	s_mov_b32 s14, 0
	s_and_saveexec_b32 s41, s40
	s_xor_b32 s40, exec_lo, s41
	s_cbranch_execz .LBB4_7023
; %bb.6898:                             ;   in Loop: Header=BB4_6777 Depth=2
	v_cmp_eq_u16_sdwa s42, v12, v82 src0_sel:BYTE_0 src1_sel:DWORD
	s_mov_b32 s14, -1
	s_and_saveexec_b32 s41, s42
; %bb.6899:                             ;   in Loop: Header=BB4_6777 Depth=2
	s_xor_b32 s14, exec_lo, -1
; %bb.6900:                             ;   in Loop: Header=BB4_6777 Depth=2
	s_or_b32 exec_lo, exec_lo, s41
	s_and_b32 s14, s14, exec_lo
	s_or_saveexec_b32 s40, s40
	v_mov_b32_e32 v101, 0x7f800001
	s_xor_b32 exec_lo, exec_lo, s40
	s_cbranch_execnz .LBB4_7024
.LBB4_6901:                             ;   in Loop: Header=BB4_6777 Depth=2
	s_or_b32 exec_lo, exec_lo, s40
	s_and_saveexec_b32 s40, s14
	s_cbranch_execz .LBB4_6903
.LBB4_6902:                             ;   in Loop: Header=BB4_6777 Depth=2
	v_and_b32_e32 v101, 7, v12
	v_bfe_u32 v112, v12, 3, 4
	v_lshlrev_b32_e32 v113, 24, v12
	v_ffbh_u32_e32 v102, v101
	v_cmp_eq_u32_e32 vcc_lo, 0, v112
	v_min_u32_e32 v102, 32, v102
	v_subrev_nc_u32_e32 v103, 28, v102
	v_sub_nc_u32_e32 v102, 29, v102
	v_lshlrev_b32_e32 v103, v103, v12
	v_cndmask_b32_e32 v102, v112, v102, vcc_lo
	v_and_b32_e32 v103, 7, v103
	v_lshl_add_u32 v102, v102, 23, 0x3b800000
	v_cndmask_b32_e32 v101, v101, v103, vcc_lo
	v_and_b32_e32 v103, 0x80000000, v113
	v_lshlrev_b32_e32 v101, 20, v101
	v_or3_b32 v101, v103, v102, v101
.LBB4_6903:                             ;   in Loop: Header=BB4_6777 Depth=2
	s_or_b32 exec_lo, exec_lo, s40
	v_mul_f32_e32 v102, s29, v101
	v_and_b32_e32 v101, 0x7f800000, v102
	v_cmp_ne_u32_e32 vcc_lo, 0x7f800000, v101
	v_mov_b32_e32 v101, 0x80
	s_and_saveexec_b32 s40, vcc_lo
	s_cbranch_execz .LBB4_6911
; %bb.6904:                             ;   in Loop: Header=BB4_6777 Depth=2
	v_mov_b32_e32 v101, 0
	s_mov_b32 s41, exec_lo
	v_cmpx_ne_u32_e32 0, v102
	s_cbranch_execz .LBB4_6910
; %bb.6905:                             ;   in Loop: Header=BB4_6777 Depth=2
	v_bfe_u32 v101, v102, 23, 8
	v_and_b32_e32 v103, 0x7fffff, v102
	v_sub_nc_u32_e32 v112, 0x78, v101
	v_cmp_gt_u32_e32 vcc_lo, 0x79, v101
	v_or_b32_e32 v113, 0x800000, v103
	v_cndmask_b32_e32 v112, 0, v112, vcc_lo
	v_cmp_eq_u32_e32 vcc_lo, 0, v101
	v_add_nc_u32_e32 v101, 0xffffff89, v101
	v_cndmask_b32_e64 v112, v112, 0x77, vcc_lo
	v_cndmask_b32_e32 v103, v113, v103, vcc_lo
	v_cndmask_b32_e64 v101, v101, 0xffffff8a, vcc_lo
	v_lshl_add_u32 v113, 0x100000, v112, -1
	v_lshrrev_b32_e32 v114, v112, v103
	v_lshlrev_b32_e64 v116, v112, 0x80000
	v_add_nc_u32_e32 v112, v112, v101
	v_and_b32_e32 v103, v113, v103
	v_bfe_u32 v115, v114, 20, 1
	v_cmp_eq_u32_e64 s14, v103, v116
	v_add_nc_u32_e32 v113, -1, v115
	v_cndmask_b32_e64 v103, 0, v113, s14
	v_lshrrev_b32_e32 v113, 23, v114
	s_mov_b32 s14, exec_lo
	v_add_nc_u32_e32 v103, v103, v114
	v_xor_b32_e32 v113, 1, v113
	v_and_b32_e32 v101, 0xfffff, v103
	v_add_nc_u32_e32 v103, v101, v114
                                        ; implicit-def: $vgpr101
	v_cmpx_ne_u32_e64 v112, v113
	s_xor_b32 s14, exec_lo, s14
; %bb.6906:                             ;   in Loop: Header=BB4_6777 Depth=2
	v_cmp_lt_u32_e32 vcc_lo, 0xffffff, v103
	v_sub_nc_u32_e32 v101, v112, v113
	v_cndmask_b32_e64 v112, 0, 1, vcc_lo
	v_add_co_ci_u32_e64 v101, null, 0, v101, vcc_lo
	v_lshrrev_b32_e32 v103, v112, v103
; %bb.6907:                             ;   in Loop: Header=BB4_6777 Depth=2
	s_andn2_saveexec_b32 s14, s14
; %bb.6908:                             ;   in Loop: Header=BB4_6777 Depth=2
	v_bfe_u32 v101, v103, 23, 1
; %bb.6909:                             ;   in Loop: Header=BB4_6777 Depth=2
	s_or_b32 exec_lo, exec_lo, s14
	v_lshrrev_b32_e32 v103, 20, v103
	v_min_i32_e32 v112, 15, v101
	v_cmp_gt_i32_e32 vcc_lo, 16, v101
	v_and_b32_sdwa v102, v102, v82 dst_sel:DWORD dst_unused:UNUSED_PAD src0_sel:BYTE_3 src1_sel:DWORD
	v_lshlrev_b32_e32 v112, 3, v112
	v_cndmask_b32_e32 v103, 7, v103, vcc_lo
	v_and_b32_e32 v112, 0xf8, v112
	v_and_b32_e32 v113, 7, v103
	v_or_b32_e32 v101, v101, v103
	v_or3_b32 v102, v112, v102, v113
	v_cmp_ne_u32_e32 vcc_lo, 0, v101
	v_cndmask_b32_e32 v101, 0, v102, vcc_lo
.LBB4_6910:                             ;   in Loop: Header=BB4_6777 Depth=2
	s_or_b32 exec_lo, exec_lo, s41
.LBB4_6911:                             ;   in Loop: Header=BB4_6777 Depth=2
	s_or_b32 exec_lo, exec_lo, s40
	v_cmp_gt_i16_sdwa s40, v12, v81 src0_sel:BYTE_1 src1_sel:DWORD
	s_mov_b32 s14, 0
	s_and_saveexec_b32 s41, s40
	s_xor_b32 s40, exec_lo, s41
	s_cbranch_execz .LBB4_7025
; %bb.6912:                             ;   in Loop: Header=BB4_6777 Depth=2
	v_cmp_eq_u16_sdwa s42, v12, v82 src0_sel:BYTE_1 src1_sel:DWORD
	s_mov_b32 s14, -1
	s_and_saveexec_b32 s41, s42
; %bb.6913:                             ;   in Loop: Header=BB4_6777 Depth=2
	s_xor_b32 s14, exec_lo, -1
; %bb.6914:                             ;   in Loop: Header=BB4_6777 Depth=2
	s_or_b32 exec_lo, exec_lo, s41
	s_and_b32 s14, s14, exec_lo
	s_or_saveexec_b32 s40, s40
	v_mov_b32_e32 v102, 0x7f800001
	s_xor_b32 exec_lo, exec_lo, s40
	s_cbranch_execnz .LBB4_7026
.LBB4_6915:                             ;   in Loop: Header=BB4_6777 Depth=2
	s_or_b32 exec_lo, exec_lo, s40
	s_and_saveexec_b32 s40, s14
	s_cbranch_execz .LBB4_6917
.LBB4_6916:                             ;   in Loop: Header=BB4_6777 Depth=2
	v_and_b32_sdwa v102, v83, v12 dst_sel:DWORD dst_unused:UNUSED_PAD src0_sel:DWORD src1_sel:BYTE_1
	v_and_b32_e32 v103, 7, v102
	v_bfe_u32 v114, v102, 3, 4
	v_ffbh_u32_e32 v112, v103
	v_cmp_eq_u32_e32 vcc_lo, 0, v114
	v_min_u32_e32 v112, 32, v112
	v_subrev_nc_u32_e32 v113, 28, v112
	v_sub_nc_u32_e32 v112, 29, v112
	v_lshlrev_b32_e32 v102, v113, v102
	v_lshlrev_b32_sdwa v113, v84, v12 dst_sel:DWORD dst_unused:UNUSED_PAD src0_sel:DWORD src1_sel:BYTE_1
	v_cndmask_b32_e32 v112, v114, v112, vcc_lo
	v_and_b32_e32 v102, 7, v102
	v_lshl_add_u32 v112, v112, 23, 0x3b800000
	v_cndmask_b32_e32 v102, v103, v102, vcc_lo
	v_and_b32_e32 v103, 0x80000000, v113
	v_lshlrev_b32_e32 v102, 20, v102
	v_or3_b32 v102, v103, v112, v102
.LBB4_6917:                             ;   in Loop: Header=BB4_6777 Depth=2
	s_or_b32 exec_lo, exec_lo, s40
	v_mul_f32_e32 v103, s29, v102
	v_and_b32_e32 v102, 0x7f800000, v103
	v_cmp_ne_u32_e32 vcc_lo, 0x7f800000, v102
	v_mov_b32_e32 v102, 0x8000
	s_and_saveexec_b32 s40, vcc_lo
	s_cbranch_execz .LBB4_6925
; %bb.6918:                             ;   in Loop: Header=BB4_6777 Depth=2
	v_mov_b32_e32 v102, 0
	s_mov_b32 s41, exec_lo
	v_cmpx_ne_u32_e32 0, v103
	s_cbranch_execz .LBB4_6924
; %bb.6919:                             ;   in Loop: Header=BB4_6777 Depth=2
	v_bfe_u32 v102, v103, 23, 8
	v_and_b32_e32 v112, 0x7fffff, v103
	v_sub_nc_u32_e32 v113, 0x78, v102
	v_cmp_gt_u32_e32 vcc_lo, 0x79, v102
	v_or_b32_e32 v114, 0x800000, v112
	v_cndmask_b32_e32 v113, 0, v113, vcc_lo
	v_cmp_eq_u32_e32 vcc_lo, 0, v102
	v_add_nc_u32_e32 v102, 0xffffff89, v102
	v_cndmask_b32_e64 v113, v113, 0x77, vcc_lo
	v_cndmask_b32_e32 v112, v114, v112, vcc_lo
	v_cndmask_b32_e64 v102, v102, 0xffffff8a, vcc_lo
	v_lshl_add_u32 v114, 0x100000, v113, -1
	v_lshrrev_b32_e32 v115, v113, v112
	v_lshlrev_b32_e64 v117, v113, 0x80000
	v_add_nc_u32_e32 v113, v113, v102
	v_and_b32_e32 v112, v114, v112
	v_bfe_u32 v116, v115, 20, 1
	v_cmp_eq_u32_e64 s14, v112, v117
	v_add_nc_u32_e32 v114, -1, v116
	v_cndmask_b32_e64 v112, 0, v114, s14
	v_lshrrev_b32_e32 v114, 23, v115
	s_mov_b32 s14, exec_lo
	v_add_nc_u32_e32 v112, v112, v115
	v_xor_b32_e32 v114, 1, v114
	v_and_b32_e32 v102, 0xfffff, v112
	v_add_nc_u32_e32 v112, v102, v115
                                        ; implicit-def: $vgpr102
	v_cmpx_ne_u32_e64 v113, v114
	s_xor_b32 s14, exec_lo, s14
; %bb.6920:                             ;   in Loop: Header=BB4_6777 Depth=2
	v_cmp_lt_u32_e32 vcc_lo, 0xffffff, v112
	v_sub_nc_u32_e32 v102, v113, v114
	v_cndmask_b32_e64 v113, 0, 1, vcc_lo
	v_add_co_ci_u32_e64 v102, null, 0, v102, vcc_lo
	v_lshrrev_b32_e32 v112, v113, v112
; %bb.6921:                             ;   in Loop: Header=BB4_6777 Depth=2
	s_andn2_saveexec_b32 s14, s14
; %bb.6922:                             ;   in Loop: Header=BB4_6777 Depth=2
	v_bfe_u32 v102, v112, 23, 1
; %bb.6923:                             ;   in Loop: Header=BB4_6777 Depth=2
	s_or_b32 exec_lo, exec_lo, s14
	v_lshrrev_b32_e32 v112, 20, v112
	v_min_i32_e32 v113, 15, v102
	v_cmp_gt_i32_e32 vcc_lo, 16, v102
	v_and_b32_sdwa v103, v103, v82 dst_sel:DWORD dst_unused:UNUSED_PAD src0_sel:BYTE_3 src1_sel:DWORD
	v_lshlrev_b32_e32 v113, 3, v113
	v_cndmask_b32_e32 v112, 7, v112, vcc_lo
	v_and_b32_e32 v113, 0xf8, v113
	v_and_b32_e32 v114, 7, v112
	v_or_b32_e32 v102, v102, v112
	v_or3_b32 v103, v103, v113, v114
	v_cmp_ne_u32_e32 vcc_lo, 0, v102
	v_lshlrev_b32_e32 v103, 8, v103
	v_cndmask_b32_e32 v102, 0, v103, vcc_lo
.LBB4_6924:                             ;   in Loop: Header=BB4_6777 Depth=2
	s_or_b32 exec_lo, exec_lo, s41
.LBB4_6925:                             ;   in Loop: Header=BB4_6777 Depth=2
	s_or_b32 exec_lo, exec_lo, s40
	v_and_b32_sdwa v112, v12, v85 dst_sel:DWORD dst_unused:UNUSED_PAD src0_sel:WORD_1 src1_sel:DWORD
	s_mov_b32 s14, 0
	s_mov_b32 s40, exec_lo
	v_cmpx_lt_i16_e32 0x7f, v112
	s_xor_b32 s40, exec_lo, s40
	s_cbranch_execz .LBB4_7027
; %bb.6926:                             ;   in Loop: Header=BB4_6777 Depth=2
	s_mov_b32 s14, -1
	s_mov_b32 s41, exec_lo
	v_cmpx_eq_u16_e32 0x80, v112
; %bb.6927:                             ;   in Loop: Header=BB4_6777 Depth=2
	s_xor_b32 s14, exec_lo, -1
; %bb.6928:                             ;   in Loop: Header=BB4_6777 Depth=2
	s_or_b32 exec_lo, exec_lo, s41
	s_and_b32 s14, s14, exec_lo
                                        ; implicit-def: $vgpr112
	s_or_saveexec_b32 s40, s40
	v_mov_b32_e32 v103, 0x7f800001
	s_xor_b32 exec_lo, exec_lo, s40
	s_cbranch_execnz .LBB4_7028
.LBB4_6929:                             ;   in Loop: Header=BB4_6777 Depth=2
	s_or_b32 exec_lo, exec_lo, s40
	s_and_saveexec_b32 s40, s14
	s_cbranch_execz .LBB4_6931
.LBB4_6930:                             ;   in Loop: Header=BB4_6777 Depth=2
	v_bfe_u32 v103, v12, 16, 3
	v_bfe_u32 v114, v12, 19, 4
	v_lshlrev_b32_e32 v115, 8, v12
	v_ffbh_u32_e32 v112, v103
	v_cmp_eq_u32_e32 vcc_lo, 0, v114
	v_min_u32_e32 v112, 32, v112
	v_subrev_nc_u32_e32 v113, 28, v112
	v_sub_nc_u32_e32 v112, 29, v112
	v_lshlrev_b32_sdwa v113, v113, v12 dst_sel:DWORD dst_unused:UNUSED_PAD src0_sel:DWORD src1_sel:WORD_1
	v_cndmask_b32_e32 v112, v114, v112, vcc_lo
	v_and_b32_e32 v113, 7, v113
	v_lshl_add_u32 v112, v112, 23, 0x3b800000
	v_cndmask_b32_e32 v103, v103, v113, vcc_lo
	v_and_b32_e32 v113, 0x80000000, v115
	v_lshlrev_b32_e32 v103, 20, v103
	v_or3_b32 v103, v113, v112, v103
.LBB4_6931:                             ;   in Loop: Header=BB4_6777 Depth=2
	s_or_b32 exec_lo, exec_lo, s40
	v_mul_f32_e32 v112, s29, v103
	v_and_b32_e32 v103, 0x7f800000, v112
	v_cmp_ne_u32_e32 vcc_lo, 0x7f800000, v103
	v_mov_b32_e32 v103, 0x80
	s_and_saveexec_b32 s40, vcc_lo
	s_cbranch_execz .LBB4_6939
; %bb.6932:                             ;   in Loop: Header=BB4_6777 Depth=2
	v_mov_b32_e32 v103, 0
	s_mov_b32 s41, exec_lo
	v_cmpx_ne_u32_e32 0, v112
	s_cbranch_execz .LBB4_6938
; %bb.6933:                             ;   in Loop: Header=BB4_6777 Depth=2
	v_bfe_u32 v103, v112, 23, 8
	v_and_b32_e32 v113, 0x7fffff, v112
	v_sub_nc_u32_e32 v114, 0x78, v103
	v_cmp_gt_u32_e32 vcc_lo, 0x79, v103
	v_or_b32_e32 v115, 0x800000, v113
	v_cndmask_b32_e32 v114, 0, v114, vcc_lo
	v_cmp_eq_u32_e32 vcc_lo, 0, v103
	v_add_nc_u32_e32 v103, 0xffffff89, v103
	v_cndmask_b32_e64 v114, v114, 0x77, vcc_lo
	v_cndmask_b32_e32 v113, v115, v113, vcc_lo
	v_cndmask_b32_e64 v103, v103, 0xffffff8a, vcc_lo
	v_lshl_add_u32 v115, 0x100000, v114, -1
	v_lshrrev_b32_e32 v116, v114, v113
	v_lshlrev_b32_e64 v118, v114, 0x80000
	v_add_nc_u32_e32 v114, v114, v103
	v_and_b32_e32 v113, v115, v113
	v_bfe_u32 v117, v116, 20, 1
	v_cmp_eq_u32_e64 s14, v113, v118
	v_add_nc_u32_e32 v115, -1, v117
	v_cndmask_b32_e64 v113, 0, v115, s14
	v_lshrrev_b32_e32 v115, 23, v116
	s_mov_b32 s14, exec_lo
	v_add_nc_u32_e32 v113, v113, v116
	v_xor_b32_e32 v115, 1, v115
	v_and_b32_e32 v103, 0xfffff, v113
	v_add_nc_u32_e32 v113, v103, v116
                                        ; implicit-def: $vgpr103
	v_cmpx_ne_u32_e64 v114, v115
	s_xor_b32 s14, exec_lo, s14
; %bb.6934:                             ;   in Loop: Header=BB4_6777 Depth=2
	v_cmp_lt_u32_e32 vcc_lo, 0xffffff, v113
	v_sub_nc_u32_e32 v103, v114, v115
	v_cndmask_b32_e64 v114, 0, 1, vcc_lo
	v_add_co_ci_u32_e64 v103, null, 0, v103, vcc_lo
	v_lshrrev_b32_e32 v113, v114, v113
; %bb.6935:                             ;   in Loop: Header=BB4_6777 Depth=2
	s_andn2_saveexec_b32 s14, s14
; %bb.6936:                             ;   in Loop: Header=BB4_6777 Depth=2
	v_bfe_u32 v103, v113, 23, 1
; %bb.6937:                             ;   in Loop: Header=BB4_6777 Depth=2
	s_or_b32 exec_lo, exec_lo, s14
	v_lshrrev_b32_e32 v113, 20, v113
	v_min_i32_e32 v114, 15, v103
	v_cmp_gt_i32_e32 vcc_lo, 16, v103
	v_and_b32_sdwa v112, v112, v82 dst_sel:DWORD dst_unused:UNUSED_PAD src0_sel:BYTE_3 src1_sel:DWORD
	v_lshlrev_b32_e32 v114, 3, v114
	v_cndmask_b32_e32 v113, 7, v113, vcc_lo
	v_and_b32_e32 v114, 0xf8, v114
	v_and_b32_e32 v115, 7, v113
	v_or_b32_e32 v103, v103, v113
	v_or3_b32 v112, v114, v112, v115
	v_cmp_ne_u32_e32 vcc_lo, 0, v103
	v_cndmask_b32_e32 v103, 0, v112, vcc_lo
.LBB4_6938:                             ;   in Loop: Header=BB4_6777 Depth=2
	s_or_b32 exec_lo, exec_lo, s41
.LBB4_6939:                             ;   in Loop: Header=BB4_6777 Depth=2
	s_or_b32 exec_lo, exec_lo, s40
	v_cmp_gt_i16_sdwa s40, v12, v81 src0_sel:BYTE_3 src1_sel:DWORD
	s_mov_b32 s14, 0
	s_and_saveexec_b32 s41, s40
	s_xor_b32 s40, exec_lo, s41
	s_cbranch_execz .LBB4_7029
; %bb.6940:                             ;   in Loop: Header=BB4_6777 Depth=2
	v_cmp_eq_u16_sdwa s42, v12, v82 src0_sel:BYTE_3 src1_sel:DWORD
	s_mov_b32 s14, -1
	s_and_saveexec_b32 s41, s42
; %bb.6941:                             ;   in Loop: Header=BB4_6777 Depth=2
	s_xor_b32 s14, exec_lo, -1
; %bb.6942:                             ;   in Loop: Header=BB4_6777 Depth=2
	s_or_b32 exec_lo, exec_lo, s41
	s_and_b32 s14, s14, exec_lo
	s_or_saveexec_b32 s40, s40
	v_mov_b32_e32 v112, 0x7f800001
	s_xor_b32 exec_lo, exec_lo, s40
	s_cbranch_execnz .LBB4_7030
.LBB4_6943:                             ;   in Loop: Header=BB4_6777 Depth=2
	s_or_b32 exec_lo, exec_lo, s40
	s_and_saveexec_b32 s40, s14
	s_cbranch_execz .LBB4_6945
.LBB4_6944:                             ;   in Loop: Header=BB4_6777 Depth=2
	v_bfe_u32 v112, v12, 24, 3
	v_bfe_u32 v115, v12, 27, 4
	v_ffbh_u32_e32 v113, v112
	v_cmp_eq_u32_e32 vcc_lo, 0, v115
	v_min_u32_e32 v113, 32, v113
	v_subrev_nc_u32_e32 v114, 28, v113
	v_sub_nc_u32_e32 v113, 29, v113
	v_lshlrev_b32_sdwa v114, v114, v12 dst_sel:DWORD dst_unused:UNUSED_PAD src0_sel:DWORD src1_sel:BYTE_3
	v_cndmask_b32_e32 v113, v115, v113, vcc_lo
	v_and_b32_e32 v12, 0x80000000, v12
	v_and_b32_e32 v114, 7, v114
	v_lshl_add_u32 v113, v113, 23, 0x3b800000
	v_cndmask_b32_e32 v112, v112, v114, vcc_lo
	v_lshlrev_b32_e32 v112, 20, v112
	v_or3_b32 v112, v12, v113, v112
.LBB4_6945:                             ;   in Loop: Header=BB4_6777 Depth=2
	s_or_b32 exec_lo, exec_lo, s40
	v_mul_f32_e32 v112, s29, v112
	v_and_b32_e32 v12, 0x7f800000, v112
	v_cmp_ne_u32_e32 vcc_lo, 0x7f800000, v12
	v_mov_b32_e32 v12, 0x8000
	s_and_saveexec_b32 s40, vcc_lo
	s_cbranch_execz .LBB4_6953
; %bb.6946:                             ;   in Loop: Header=BB4_6777 Depth=2
	v_mov_b32_e32 v12, 0
	s_mov_b32 s41, exec_lo
	v_cmpx_ne_u32_e32 0, v112
	s_cbranch_execz .LBB4_6952
; %bb.6947:                             ;   in Loop: Header=BB4_6777 Depth=2
	v_bfe_u32 v12, v112, 23, 8
	v_and_b32_e32 v113, 0x7fffff, v112
	v_sub_nc_u32_e32 v114, 0x78, v12
	v_cmp_gt_u32_e32 vcc_lo, 0x79, v12
	v_or_b32_e32 v115, 0x800000, v113
	v_cndmask_b32_e32 v114, 0, v114, vcc_lo
	v_cmp_eq_u32_e32 vcc_lo, 0, v12
	v_add_nc_u32_e32 v12, 0xffffff89, v12
	v_cndmask_b32_e64 v114, v114, 0x77, vcc_lo
	v_cndmask_b32_e32 v113, v115, v113, vcc_lo
	v_cndmask_b32_e64 v12, v12, 0xffffff8a, vcc_lo
	v_lshl_add_u32 v115, 0x100000, v114, -1
	v_lshrrev_b32_e32 v116, v114, v113
	v_lshlrev_b32_e64 v118, v114, 0x80000
	v_add_nc_u32_e32 v114, v114, v12
	v_and_b32_e32 v113, v115, v113
	v_bfe_u32 v117, v116, 20, 1
	v_cmp_eq_u32_e64 s14, v113, v118
	v_add_nc_u32_e32 v115, -1, v117
	v_cndmask_b32_e64 v113, 0, v115, s14
	v_lshrrev_b32_e32 v115, 23, v116
	s_mov_b32 s14, exec_lo
	v_add_nc_u32_e32 v113, v113, v116
	v_xor_b32_e32 v115, 1, v115
	v_and_b32_e32 v12, 0xfffff, v113
	v_add_nc_u32_e32 v113, v12, v116
                                        ; implicit-def: $vgpr12
	v_cmpx_ne_u32_e64 v114, v115
	s_xor_b32 s14, exec_lo, s14
; %bb.6948:                             ;   in Loop: Header=BB4_6777 Depth=2
	v_cmp_lt_u32_e32 vcc_lo, 0xffffff, v113
	v_sub_nc_u32_e32 v12, v114, v115
	v_cndmask_b32_e64 v114, 0, 1, vcc_lo
	v_add_co_ci_u32_e64 v12, null, 0, v12, vcc_lo
	v_lshrrev_b32_e32 v113, v114, v113
; %bb.6949:                             ;   in Loop: Header=BB4_6777 Depth=2
	s_andn2_saveexec_b32 s14, s14
; %bb.6950:                             ;   in Loop: Header=BB4_6777 Depth=2
	v_bfe_u32 v12, v113, 23, 1
; %bb.6951:                             ;   in Loop: Header=BB4_6777 Depth=2
	s_or_b32 exec_lo, exec_lo, s14
	v_lshrrev_b32_e32 v113, 20, v113
	v_min_i32_e32 v114, 15, v12
	v_cmp_gt_i32_e32 vcc_lo, 16, v12
	v_and_b32_sdwa v112, v112, v82 dst_sel:DWORD dst_unused:UNUSED_PAD src0_sel:BYTE_3 src1_sel:DWORD
	v_lshlrev_b32_e32 v114, 3, v114
	v_cndmask_b32_e32 v113, 7, v113, vcc_lo
	v_and_b32_e32 v114, 0xf8, v114
	v_and_b32_e32 v115, 7, v113
	v_or_b32_e32 v12, v12, v113
	v_or3_b32 v112, v112, v114, v115
	v_cmp_ne_u32_e32 vcc_lo, 0, v12
	v_lshlrev_b32_e32 v112, 8, v112
	v_cndmask_b32_e32 v12, 0, v112, vcc_lo
.LBB4_6952:                             ;   in Loop: Header=BB4_6777 Depth=2
	s_or_b32 exec_lo, exec_lo, s41
.LBB4_6953:                             ;   in Loop: Header=BB4_6777 Depth=2
	s_or_b32 exec_lo, exec_lo, s40
	v_cmp_gt_i16_sdwa s40, v13, v81 src0_sel:BYTE_0 src1_sel:DWORD
	s_mov_b32 s14, 0
	s_and_saveexec_b32 s41, s40
	s_xor_b32 s40, exec_lo, s41
	s_cbranch_execz .LBB4_7031
; %bb.6954:                             ;   in Loop: Header=BB4_6777 Depth=2
	v_cmp_eq_u16_sdwa s42, v13, v82 src0_sel:BYTE_0 src1_sel:DWORD
	s_mov_b32 s14, -1
	s_and_saveexec_b32 s41, s42
; %bb.6955:                             ;   in Loop: Header=BB4_6777 Depth=2
	s_xor_b32 s14, exec_lo, -1
; %bb.6956:                             ;   in Loop: Header=BB4_6777 Depth=2
	s_or_b32 exec_lo, exec_lo, s41
	s_and_b32 s14, s14, exec_lo
	s_or_saveexec_b32 s40, s40
	v_mov_b32_e32 v112, 0x7f800001
	s_xor_b32 exec_lo, exec_lo, s40
	s_cbranch_execnz .LBB4_7032
.LBB4_6957:                             ;   in Loop: Header=BB4_6777 Depth=2
	s_or_b32 exec_lo, exec_lo, s40
	s_and_saveexec_b32 s40, s14
	s_cbranch_execz .LBB4_6959
.LBB4_6958:                             ;   in Loop: Header=BB4_6777 Depth=2
	v_and_b32_e32 v112, 7, v13
	v_bfe_u32 v115, v13, 3, 4
	v_lshlrev_b32_e32 v116, 24, v13
	v_ffbh_u32_e32 v113, v112
	v_cmp_eq_u32_e32 vcc_lo, 0, v115
	v_min_u32_e32 v113, 32, v113
	v_subrev_nc_u32_e32 v114, 28, v113
	v_sub_nc_u32_e32 v113, 29, v113
	v_lshlrev_b32_e32 v114, v114, v13
	v_cndmask_b32_e32 v113, v115, v113, vcc_lo
	v_and_b32_e32 v114, 7, v114
	v_lshl_add_u32 v113, v113, 23, 0x3b800000
	v_cndmask_b32_e32 v112, v112, v114, vcc_lo
	v_and_b32_e32 v114, 0x80000000, v116
	v_lshlrev_b32_e32 v112, 20, v112
	v_or3_b32 v112, v114, v113, v112
.LBB4_6959:                             ;   in Loop: Header=BB4_6777 Depth=2
	s_or_b32 exec_lo, exec_lo, s40
	v_mul_f32_e32 v113, s29, v112
	v_and_b32_e32 v112, 0x7f800000, v113
	v_cmp_ne_u32_e32 vcc_lo, 0x7f800000, v112
	v_mov_b32_e32 v112, 0x80
	s_and_saveexec_b32 s40, vcc_lo
	s_cbranch_execz .LBB4_6967
; %bb.6960:                             ;   in Loop: Header=BB4_6777 Depth=2
	v_mov_b32_e32 v112, 0
	s_mov_b32 s41, exec_lo
	v_cmpx_ne_u32_e32 0, v113
	s_cbranch_execz .LBB4_6966
; %bb.6961:                             ;   in Loop: Header=BB4_6777 Depth=2
	v_bfe_u32 v112, v113, 23, 8
	v_and_b32_e32 v114, 0x7fffff, v113
	v_sub_nc_u32_e32 v115, 0x78, v112
	v_cmp_gt_u32_e32 vcc_lo, 0x79, v112
	v_or_b32_e32 v116, 0x800000, v114
	v_cndmask_b32_e32 v115, 0, v115, vcc_lo
	v_cmp_eq_u32_e32 vcc_lo, 0, v112
	v_add_nc_u32_e32 v112, 0xffffff89, v112
	v_cndmask_b32_e64 v115, v115, 0x77, vcc_lo
	v_cndmask_b32_e32 v114, v116, v114, vcc_lo
	v_cndmask_b32_e64 v112, v112, 0xffffff8a, vcc_lo
	v_lshl_add_u32 v116, 0x100000, v115, -1
	v_lshrrev_b32_e32 v117, v115, v114
	v_lshlrev_b32_e64 v119, v115, 0x80000
	v_add_nc_u32_e32 v115, v115, v112
	v_and_b32_e32 v114, v116, v114
	v_bfe_u32 v118, v117, 20, 1
	v_cmp_eq_u32_e64 s14, v114, v119
	v_add_nc_u32_e32 v116, -1, v118
	v_cndmask_b32_e64 v114, 0, v116, s14
	v_lshrrev_b32_e32 v116, 23, v117
	s_mov_b32 s14, exec_lo
	v_add_nc_u32_e32 v114, v114, v117
	v_xor_b32_e32 v116, 1, v116
	v_and_b32_e32 v112, 0xfffff, v114
	v_add_nc_u32_e32 v114, v112, v117
                                        ; implicit-def: $vgpr112
	v_cmpx_ne_u32_e64 v115, v116
	s_xor_b32 s14, exec_lo, s14
; %bb.6962:                             ;   in Loop: Header=BB4_6777 Depth=2
	v_cmp_lt_u32_e32 vcc_lo, 0xffffff, v114
	v_sub_nc_u32_e32 v112, v115, v116
	v_cndmask_b32_e64 v115, 0, 1, vcc_lo
	v_add_co_ci_u32_e64 v112, null, 0, v112, vcc_lo
	v_lshrrev_b32_e32 v114, v115, v114
; %bb.6963:                             ;   in Loop: Header=BB4_6777 Depth=2
	s_andn2_saveexec_b32 s14, s14
; %bb.6964:                             ;   in Loop: Header=BB4_6777 Depth=2
	v_bfe_u32 v112, v114, 23, 1
; %bb.6965:                             ;   in Loop: Header=BB4_6777 Depth=2
	s_or_b32 exec_lo, exec_lo, s14
	v_lshrrev_b32_e32 v114, 20, v114
	v_min_i32_e32 v115, 15, v112
	v_cmp_gt_i32_e32 vcc_lo, 16, v112
	v_and_b32_sdwa v113, v113, v82 dst_sel:DWORD dst_unused:UNUSED_PAD src0_sel:BYTE_3 src1_sel:DWORD
	v_lshlrev_b32_e32 v115, 3, v115
	v_cndmask_b32_e32 v114, 7, v114, vcc_lo
	v_and_b32_e32 v115, 0xf8, v115
	v_and_b32_e32 v116, 7, v114
	v_or_b32_e32 v112, v112, v114
	v_or3_b32 v113, v115, v113, v116
	v_cmp_ne_u32_e32 vcc_lo, 0, v112
	v_cndmask_b32_e32 v112, 0, v113, vcc_lo
.LBB4_6966:                             ;   in Loop: Header=BB4_6777 Depth=2
	s_or_b32 exec_lo, exec_lo, s41
.LBB4_6967:                             ;   in Loop: Header=BB4_6777 Depth=2
	s_or_b32 exec_lo, exec_lo, s40
	v_cmp_gt_i16_sdwa s40, v13, v81 src0_sel:BYTE_1 src1_sel:DWORD
	s_mov_b32 s14, 0
	s_and_saveexec_b32 s41, s40
	s_xor_b32 s40, exec_lo, s41
	s_cbranch_execz .LBB4_7033
; %bb.6968:                             ;   in Loop: Header=BB4_6777 Depth=2
	v_cmp_eq_u16_sdwa s42, v13, v82 src0_sel:BYTE_1 src1_sel:DWORD
	s_mov_b32 s14, -1
	s_and_saveexec_b32 s41, s42
; %bb.6969:                             ;   in Loop: Header=BB4_6777 Depth=2
	s_xor_b32 s14, exec_lo, -1
; %bb.6970:                             ;   in Loop: Header=BB4_6777 Depth=2
	s_or_b32 exec_lo, exec_lo, s41
	s_and_b32 s14, s14, exec_lo
	s_or_saveexec_b32 s40, s40
	v_mov_b32_e32 v113, 0x7f800001
	s_xor_b32 exec_lo, exec_lo, s40
	s_cbranch_execnz .LBB4_7034
.LBB4_6971:                             ;   in Loop: Header=BB4_6777 Depth=2
	s_or_b32 exec_lo, exec_lo, s40
	s_and_saveexec_b32 s40, s14
	s_cbranch_execz .LBB4_6973
.LBB4_6972:                             ;   in Loop: Header=BB4_6777 Depth=2
	v_and_b32_sdwa v113, v83, v13 dst_sel:DWORD dst_unused:UNUSED_PAD src0_sel:DWORD src1_sel:BYTE_1
	v_and_b32_e32 v114, 7, v113
	v_bfe_u32 v117, v113, 3, 4
	v_ffbh_u32_e32 v115, v114
	v_cmp_eq_u32_e32 vcc_lo, 0, v117
	v_min_u32_e32 v115, 32, v115
	v_subrev_nc_u32_e32 v116, 28, v115
	v_sub_nc_u32_e32 v115, 29, v115
	v_lshlrev_b32_e32 v113, v116, v113
	v_lshlrev_b32_sdwa v116, v84, v13 dst_sel:DWORD dst_unused:UNUSED_PAD src0_sel:DWORD src1_sel:BYTE_1
	v_cndmask_b32_e32 v115, v117, v115, vcc_lo
	v_and_b32_e32 v113, 7, v113
	v_lshl_add_u32 v115, v115, 23, 0x3b800000
	v_cndmask_b32_e32 v113, v114, v113, vcc_lo
	v_and_b32_e32 v114, 0x80000000, v116
	v_lshlrev_b32_e32 v113, 20, v113
	v_or3_b32 v113, v114, v115, v113
.LBB4_6973:                             ;   in Loop: Header=BB4_6777 Depth=2
	s_or_b32 exec_lo, exec_lo, s40
	v_mul_f32_e32 v114, s29, v113
	v_and_b32_e32 v113, 0x7f800000, v114
	v_cmp_ne_u32_e32 vcc_lo, 0x7f800000, v113
	v_mov_b32_e32 v113, 0x8000
	s_and_saveexec_b32 s40, vcc_lo
	s_cbranch_execz .LBB4_6981
; %bb.6974:                             ;   in Loop: Header=BB4_6777 Depth=2
	v_mov_b32_e32 v113, 0
	s_mov_b32 s41, exec_lo
	v_cmpx_ne_u32_e32 0, v114
	s_cbranch_execz .LBB4_6980
; %bb.6975:                             ;   in Loop: Header=BB4_6777 Depth=2
	v_bfe_u32 v113, v114, 23, 8
	v_and_b32_e32 v115, 0x7fffff, v114
	v_sub_nc_u32_e32 v116, 0x78, v113
	v_cmp_gt_u32_e32 vcc_lo, 0x79, v113
	v_or_b32_e32 v117, 0x800000, v115
	v_cndmask_b32_e32 v116, 0, v116, vcc_lo
	v_cmp_eq_u32_e32 vcc_lo, 0, v113
	v_add_nc_u32_e32 v113, 0xffffff89, v113
	v_cndmask_b32_e64 v116, v116, 0x77, vcc_lo
	v_cndmask_b32_e32 v115, v117, v115, vcc_lo
	v_cndmask_b32_e64 v113, v113, 0xffffff8a, vcc_lo
	v_lshl_add_u32 v117, 0x100000, v116, -1
	v_lshrrev_b32_e32 v118, v116, v115
	v_lshlrev_b32_e64 v40, v116, 0x80000
	v_add_nc_u32_e32 v116, v116, v113
	v_and_b32_e32 v115, v117, v115
	v_bfe_u32 v119, v118, 20, 1
	v_cmp_eq_u32_e64 s14, v115, v40
	v_add_nc_u32_e32 v117, -1, v119
	v_cndmask_b32_e64 v115, 0, v117, s14
	v_lshrrev_b32_e32 v117, 23, v118
	s_mov_b32 s14, exec_lo
	v_add_nc_u32_e32 v115, v115, v118
	v_xor_b32_e32 v117, 1, v117
	v_and_b32_e32 v113, 0xfffff, v115
	v_add_nc_u32_e32 v115, v113, v118
                                        ; implicit-def: $vgpr113
	v_cmpx_ne_u32_e64 v116, v117
	s_xor_b32 s14, exec_lo, s14
; %bb.6976:                             ;   in Loop: Header=BB4_6777 Depth=2
	v_cmp_lt_u32_e32 vcc_lo, 0xffffff, v115
	v_sub_nc_u32_e32 v113, v116, v117
	v_cndmask_b32_e64 v116, 0, 1, vcc_lo
	v_add_co_ci_u32_e64 v113, null, 0, v113, vcc_lo
	v_lshrrev_b32_e32 v115, v116, v115
; %bb.6977:                             ;   in Loop: Header=BB4_6777 Depth=2
	s_andn2_saveexec_b32 s14, s14
; %bb.6978:                             ;   in Loop: Header=BB4_6777 Depth=2
	v_bfe_u32 v113, v115, 23, 1
; %bb.6979:                             ;   in Loop: Header=BB4_6777 Depth=2
	s_or_b32 exec_lo, exec_lo, s14
	v_lshrrev_b32_e32 v115, 20, v115
	v_min_i32_e32 v116, 15, v113
	v_cmp_gt_i32_e32 vcc_lo, 16, v113
	v_and_b32_sdwa v114, v114, v82 dst_sel:DWORD dst_unused:UNUSED_PAD src0_sel:BYTE_3 src1_sel:DWORD
	v_lshlrev_b32_e32 v116, 3, v116
	v_cndmask_b32_e32 v115, 7, v115, vcc_lo
	v_and_b32_e32 v116, 0xf8, v116
	v_and_b32_e32 v117, 7, v115
	v_or_b32_e32 v113, v113, v115
	v_or3_b32 v114, v114, v116, v117
	v_cmp_ne_u32_e32 vcc_lo, 0, v113
	v_lshlrev_b32_e32 v114, 8, v114
	v_cndmask_b32_e32 v113, 0, v114, vcc_lo
.LBB4_6980:                             ;   in Loop: Header=BB4_6777 Depth=2
	s_or_b32 exec_lo, exec_lo, s41
.LBB4_6981:                             ;   in Loop: Header=BB4_6777 Depth=2
	s_or_b32 exec_lo, exec_lo, s40
	v_and_b32_sdwa v115, v13, v85 dst_sel:DWORD dst_unused:UNUSED_PAD src0_sel:WORD_1 src1_sel:DWORD
	s_mov_b32 s14, 0
	s_mov_b32 s40, exec_lo
	v_cmpx_lt_i16_e32 0x7f, v115
	s_xor_b32 s40, exec_lo, s40
	s_cbranch_execz .LBB4_7035
; %bb.6982:                             ;   in Loop: Header=BB4_6777 Depth=2
	s_mov_b32 s14, -1
	s_mov_b32 s41, exec_lo
	v_cmpx_eq_u16_e32 0x80, v115
; %bb.6983:                             ;   in Loop: Header=BB4_6777 Depth=2
	s_xor_b32 s14, exec_lo, -1
; %bb.6984:                             ;   in Loop: Header=BB4_6777 Depth=2
	s_or_b32 exec_lo, exec_lo, s41
	s_and_b32 s14, s14, exec_lo
                                        ; implicit-def: $vgpr115
	s_or_saveexec_b32 s40, s40
	v_mov_b32_e32 v114, 0x7f800001
	s_xor_b32 exec_lo, exec_lo, s40
	s_cbranch_execnz .LBB4_7036
.LBB4_6985:                             ;   in Loop: Header=BB4_6777 Depth=2
	s_or_b32 exec_lo, exec_lo, s40
	s_and_saveexec_b32 s40, s14
	s_cbranch_execz .LBB4_6987
.LBB4_6986:                             ;   in Loop: Header=BB4_6777 Depth=2
	v_bfe_u32 v114, v13, 16, 3
	v_bfe_u32 v117, v13, 19, 4
	v_lshlrev_b32_e32 v118, 8, v13
	v_ffbh_u32_e32 v115, v114
	v_cmp_eq_u32_e32 vcc_lo, 0, v117
	v_min_u32_e32 v115, 32, v115
	v_subrev_nc_u32_e32 v116, 28, v115
	v_sub_nc_u32_e32 v115, 29, v115
	v_lshlrev_b32_sdwa v116, v116, v13 dst_sel:DWORD dst_unused:UNUSED_PAD src0_sel:DWORD src1_sel:WORD_1
	v_cndmask_b32_e32 v115, v117, v115, vcc_lo
	v_and_b32_e32 v116, 7, v116
	v_lshl_add_u32 v115, v115, 23, 0x3b800000
	v_cndmask_b32_e32 v114, v114, v116, vcc_lo
	v_and_b32_e32 v116, 0x80000000, v118
	v_lshlrev_b32_e32 v114, 20, v114
	v_or3_b32 v114, v116, v115, v114
.LBB4_6987:                             ;   in Loop: Header=BB4_6777 Depth=2
	s_or_b32 exec_lo, exec_lo, s40
	v_mul_f32_e32 v115, s29, v114
	v_and_b32_e32 v114, 0x7f800000, v115
	v_cmp_ne_u32_e32 vcc_lo, 0x7f800000, v114
	v_mov_b32_e32 v114, 0x80
	s_and_saveexec_b32 s40, vcc_lo
	s_cbranch_execz .LBB4_6995
; %bb.6988:                             ;   in Loop: Header=BB4_6777 Depth=2
	v_mov_b32_e32 v114, 0
	s_mov_b32 s41, exec_lo
	v_cmpx_ne_u32_e32 0, v115
	s_cbranch_execz .LBB4_6994
; %bb.6989:                             ;   in Loop: Header=BB4_6777 Depth=2
	v_bfe_u32 v114, v115, 23, 8
	v_and_b32_e32 v116, 0x7fffff, v115
	v_sub_nc_u32_e32 v117, 0x78, v114
	v_cmp_gt_u32_e32 vcc_lo, 0x79, v114
	v_or_b32_e32 v118, 0x800000, v116
	v_cndmask_b32_e32 v117, 0, v117, vcc_lo
	v_cmp_eq_u32_e32 vcc_lo, 0, v114
	v_add_nc_u32_e32 v114, 0xffffff89, v114
	v_cndmask_b32_e64 v117, v117, 0x77, vcc_lo
	v_cndmask_b32_e32 v116, v118, v116, vcc_lo
	v_cndmask_b32_e64 v114, v114, 0xffffff8a, vcc_lo
	v_lshl_add_u32 v118, 0x100000, v117, -1
	v_lshrrev_b32_e32 v119, v117, v116
	v_lshlrev_b32_e64 v41, v117, 0x80000
	v_add_nc_u32_e32 v117, v117, v114
	v_and_b32_e32 v116, v118, v116
	v_bfe_u32 v40, v119, 20, 1
	v_cmp_eq_u32_e64 s14, v116, v41
	v_add_nc_u32_e32 v118, -1, v40
	v_cndmask_b32_e64 v116, 0, v118, s14
	v_lshrrev_b32_e32 v118, 23, v119
	s_mov_b32 s14, exec_lo
	v_add_nc_u32_e32 v116, v116, v119
	v_xor_b32_e32 v118, 1, v118
	v_and_b32_e32 v114, 0xfffff, v116
	v_add_nc_u32_e32 v116, v114, v119
                                        ; implicit-def: $vgpr114
	v_cmpx_ne_u32_e64 v117, v118
	s_xor_b32 s14, exec_lo, s14
; %bb.6990:                             ;   in Loop: Header=BB4_6777 Depth=2
	v_cmp_lt_u32_e32 vcc_lo, 0xffffff, v116
	v_sub_nc_u32_e32 v114, v117, v118
	v_cndmask_b32_e64 v117, 0, 1, vcc_lo
	v_add_co_ci_u32_e64 v114, null, 0, v114, vcc_lo
	v_lshrrev_b32_e32 v116, v117, v116
; %bb.6991:                             ;   in Loop: Header=BB4_6777 Depth=2
	s_andn2_saveexec_b32 s14, s14
; %bb.6992:                             ;   in Loop: Header=BB4_6777 Depth=2
	v_bfe_u32 v114, v116, 23, 1
; %bb.6993:                             ;   in Loop: Header=BB4_6777 Depth=2
	s_or_b32 exec_lo, exec_lo, s14
	v_lshrrev_b32_e32 v116, 20, v116
	v_min_i32_e32 v117, 15, v114
	v_cmp_gt_i32_e32 vcc_lo, 16, v114
	v_and_b32_sdwa v115, v115, v82 dst_sel:DWORD dst_unused:UNUSED_PAD src0_sel:BYTE_3 src1_sel:DWORD
	v_lshlrev_b32_e32 v117, 3, v117
	v_cndmask_b32_e32 v116, 7, v116, vcc_lo
	v_and_b32_e32 v117, 0xf8, v117
	v_and_b32_e32 v118, 7, v116
	v_or_b32_e32 v114, v114, v116
	v_or3_b32 v115, v117, v115, v118
	v_cmp_ne_u32_e32 vcc_lo, 0, v114
	v_cndmask_b32_e32 v114, 0, v115, vcc_lo
.LBB4_6994:                             ;   in Loop: Header=BB4_6777 Depth=2
	s_or_b32 exec_lo, exec_lo, s41
.LBB4_6995:                             ;   in Loop: Header=BB4_6777 Depth=2
	s_or_b32 exec_lo, exec_lo, s40
	v_cmp_gt_i16_sdwa s40, v13, v81 src0_sel:BYTE_3 src1_sel:DWORD
	s_mov_b32 s14, 0
	s_and_saveexec_b32 s41, s40
	s_xor_b32 s40, exec_lo, s41
	s_cbranch_execz .LBB4_7037
; %bb.6996:                             ;   in Loop: Header=BB4_6777 Depth=2
	v_cmp_eq_u16_sdwa s42, v13, v82 src0_sel:BYTE_3 src1_sel:DWORD
	s_mov_b32 s14, -1
	s_and_saveexec_b32 s41, s42
; %bb.6997:                             ;   in Loop: Header=BB4_6777 Depth=2
	s_xor_b32 s14, exec_lo, -1
; %bb.6998:                             ;   in Loop: Header=BB4_6777 Depth=2
	s_or_b32 exec_lo, exec_lo, s41
	s_and_b32 s14, s14, exec_lo
	s_or_saveexec_b32 s40, s40
	v_mov_b32_e32 v115, 0x7f800001
	s_xor_b32 exec_lo, exec_lo, s40
	s_cbranch_execnz .LBB4_7038
.LBB4_6999:                             ;   in Loop: Header=BB4_6777 Depth=2
	s_or_b32 exec_lo, exec_lo, s40
	s_and_saveexec_b32 s40, s14
	s_cbranch_execz .LBB4_7001
.LBB4_7000:                             ;   in Loop: Header=BB4_6777 Depth=2
	v_bfe_u32 v115, v13, 24, 3
	v_bfe_u32 v118, v13, 27, 4
	v_ffbh_u32_e32 v116, v115
	v_cmp_eq_u32_e32 vcc_lo, 0, v118
	v_min_u32_e32 v116, 32, v116
	v_subrev_nc_u32_e32 v117, 28, v116
	v_sub_nc_u32_e32 v116, 29, v116
	v_lshlrev_b32_sdwa v117, v117, v13 dst_sel:DWORD dst_unused:UNUSED_PAD src0_sel:DWORD src1_sel:BYTE_3
	v_cndmask_b32_e32 v116, v118, v116, vcc_lo
	v_and_b32_e32 v13, 0x80000000, v13
	v_and_b32_e32 v117, 7, v117
	v_lshl_add_u32 v116, v116, 23, 0x3b800000
	v_cndmask_b32_e32 v115, v115, v117, vcc_lo
	v_lshlrev_b32_e32 v115, 20, v115
	v_or3_b32 v115, v13, v116, v115
.LBB4_7001:                             ;   in Loop: Header=BB4_6777 Depth=2
	s_or_b32 exec_lo, exec_lo, s40
	v_mul_f32_e32 v13, s29, v115
	v_and_b32_e32 v115, 0x7f800000, v13
	v_cmp_ne_u32_e32 vcc_lo, 0x7f800000, v115
	v_mov_b32_e32 v115, 0x8000
	s_and_saveexec_b32 s29, vcc_lo
	s_cbranch_execz .LBB4_6776
; %bb.7002:                             ;   in Loop: Header=BB4_6777 Depth=2
	v_mov_b32_e32 v115, 0
	s_mov_b32 s40, exec_lo
	v_cmpx_ne_u32_e32 0, v13
	s_cbranch_execz .LBB4_6775
; %bb.7003:                             ;   in Loop: Header=BB4_6777 Depth=2
	v_bfe_u32 v115, v13, 23, 8
	v_and_b32_e32 v116, 0x7fffff, v13
	v_sub_nc_u32_e32 v117, 0x78, v115
	v_cmp_gt_u32_e32 vcc_lo, 0x79, v115
	v_or_b32_e32 v118, 0x800000, v116
	v_cndmask_b32_e32 v117, 0, v117, vcc_lo
	v_cmp_eq_u32_e32 vcc_lo, 0, v115
	v_add_nc_u32_e32 v115, 0xffffff89, v115
	v_cndmask_b32_e64 v117, v117, 0x77, vcc_lo
	v_cndmask_b32_e32 v116, v118, v116, vcc_lo
	v_cndmask_b32_e64 v115, v115, 0xffffff8a, vcc_lo
	v_lshl_add_u32 v118, 0x100000, v117, -1
	v_lshrrev_b32_e32 v119, v117, v116
	v_lshlrev_b32_e64 v41, v117, 0x80000
	v_add_nc_u32_e32 v117, v117, v115
	v_and_b32_e32 v116, v118, v116
	v_bfe_u32 v40, v119, 20, 1
	v_cmp_eq_u32_e64 s14, v116, v41
	v_add_nc_u32_e32 v118, -1, v40
	v_cndmask_b32_e64 v116, 0, v118, s14
	v_lshrrev_b32_e32 v118, 23, v119
	s_mov_b32 s14, exec_lo
	v_add_nc_u32_e32 v116, v116, v119
	v_xor_b32_e32 v118, 1, v118
	v_and_b32_e32 v115, 0xfffff, v116
	v_add_nc_u32_e32 v116, v115, v119
                                        ; implicit-def: $vgpr115
	v_cmpx_ne_u32_e64 v117, v118
	s_xor_b32 s14, exec_lo, s14
; %bb.7004:                             ;   in Loop: Header=BB4_6777 Depth=2
	v_cmp_lt_u32_e32 vcc_lo, 0xffffff, v116
	v_sub_nc_u32_e32 v115, v117, v118
	v_cndmask_b32_e64 v117, 0, 1, vcc_lo
	v_add_co_ci_u32_e64 v115, null, 0, v115, vcc_lo
	v_lshrrev_b32_e32 v116, v117, v116
; %bb.7005:                             ;   in Loop: Header=BB4_6777 Depth=2
	s_andn2_saveexec_b32 s14, s14
	s_cbranch_execz .LBB4_6774
; %bb.7006:                             ;   in Loop: Header=BB4_6777 Depth=2
	v_bfe_u32 v115, v116, 23, 1
	s_branch .LBB4_6774
.LBB4_7007:                             ;   in Loop: Header=BB4_6777 Depth=2
	s_or_saveexec_b32 s40, s40
	v_mov_b32_e32 v87, 0x7f800001
	s_xor_b32 exec_lo, exec_lo, s40
	s_cbranch_execz .LBB4_6789
.LBB4_7008:                             ;   in Loop: Header=BB4_6777 Depth=2
	v_cmp_ne_u16_sdwa s41, v10, v15 src0_sel:BYTE_0 src1_sel:DWORD
	v_mov_b32_e32 v87, 0
	s_andn2_b32 s14, s14, exec_lo
	s_and_b32 s41, s41, exec_lo
	s_or_b32 s14, s14, s41
	s_or_b32 exec_lo, exec_lo, s40
	s_and_saveexec_b32 s40, s14
	s_cbranch_execnz .LBB4_6790
	s_branch .LBB4_6791
.LBB4_7009:                             ;   in Loop: Header=BB4_6777 Depth=2
	s_or_saveexec_b32 s40, s40
	v_mov_b32_e32 v96, 0x7f800001
	s_xor_b32 exec_lo, exec_lo, s40
	s_cbranch_execz .LBB4_6803
.LBB4_7010:                             ;   in Loop: Header=BB4_6777 Depth=2
	v_cmp_ne_u16_sdwa s41, v10, v15 src0_sel:BYTE_1 src1_sel:DWORD
	v_mov_b32_e32 v96, 0
	s_andn2_b32 s14, s14, exec_lo
	s_and_b32 s41, s41, exec_lo
	s_or_b32 s14, s14, s41
	s_or_b32 exec_lo, exec_lo, s40
	s_and_saveexec_b32 s40, s14
	s_cbranch_execnz .LBB4_6804
	s_branch .LBB4_6805
.LBB4_7011:                             ;   in Loop: Header=BB4_6777 Depth=2
	s_or_saveexec_b32 s40, s40
	v_mov_b32_e32 v97, 0x7f800001
	s_xor_b32 exec_lo, exec_lo, s40
	s_cbranch_execz .LBB4_6817
.LBB4_7012:                             ;   in Loop: Header=BB4_6777 Depth=2
	v_cmp_ne_u16_e32 vcc_lo, 0, v98
	v_mov_b32_e32 v97, 0
	s_andn2_b32 s14, s14, exec_lo
	s_and_b32 s41, vcc_lo, exec_lo
	s_or_b32 s14, s14, s41
	s_or_b32 exec_lo, exec_lo, s40
	s_and_saveexec_b32 s40, s14
	s_cbranch_execnz .LBB4_6818
	s_branch .LBB4_6819
.LBB4_7013:                             ;   in Loop: Header=BB4_6777 Depth=2
	s_or_saveexec_b32 s40, s40
	v_mov_b32_e32 v98, 0x7f800001
	s_xor_b32 exec_lo, exec_lo, s40
	s_cbranch_execz .LBB4_6831
.LBB4_7014:                             ;   in Loop: Header=BB4_6777 Depth=2
	v_cmp_ne_u16_sdwa s41, v10, v15 src0_sel:BYTE_3 src1_sel:DWORD
	v_mov_b32_e32 v98, 0
	s_andn2_b32 s14, s14, exec_lo
	s_and_b32 s41, s41, exec_lo
	s_or_b32 s14, s14, s41
	s_or_b32 exec_lo, exec_lo, s40
	s_and_saveexec_b32 s40, s14
	s_cbranch_execnz .LBB4_6832
	s_branch .LBB4_6833
.LBB4_7015:                             ;   in Loop: Header=BB4_6777 Depth=2
	s_or_saveexec_b32 s40, s40
	v_mov_b32_e32 v98, 0x7f800001
	s_xor_b32 exec_lo, exec_lo, s40
	s_cbranch_execz .LBB4_6845
.LBB4_7016:                             ;   in Loop: Header=BB4_6777 Depth=2
	v_cmp_ne_u16_sdwa s41, v11, v15 src0_sel:BYTE_0 src1_sel:DWORD
	v_mov_b32_e32 v98, 0
	s_andn2_b32 s14, s14, exec_lo
	s_and_b32 s41, s41, exec_lo
	s_or_b32 s14, s14, s41
	s_or_b32 exec_lo, exec_lo, s40
	s_and_saveexec_b32 s40, s14
	s_cbranch_execnz .LBB4_6846
	s_branch .LBB4_6847
.LBB4_7017:                             ;   in Loop: Header=BB4_6777 Depth=2
	s_or_saveexec_b32 s40, s40
	v_mov_b32_e32 v99, 0x7f800001
	s_xor_b32 exec_lo, exec_lo, s40
	s_cbranch_execz .LBB4_6859
.LBB4_7018:                             ;   in Loop: Header=BB4_6777 Depth=2
	v_cmp_ne_u16_sdwa s41, v11, v15 src0_sel:BYTE_1 src1_sel:DWORD
	v_mov_b32_e32 v99, 0
	s_andn2_b32 s14, s14, exec_lo
	s_and_b32 s41, s41, exec_lo
	s_or_b32 s14, s14, s41
	s_or_b32 exec_lo, exec_lo, s40
	s_and_saveexec_b32 s40, s14
	s_cbranch_execnz .LBB4_6860
	s_branch .LBB4_6861
.LBB4_7019:                             ;   in Loop: Header=BB4_6777 Depth=2
	s_or_saveexec_b32 s40, s40
	v_mov_b32_e32 v100, 0x7f800001
	s_xor_b32 exec_lo, exec_lo, s40
	s_cbranch_execz .LBB4_6873
.LBB4_7020:                             ;   in Loop: Header=BB4_6777 Depth=2
	v_cmp_ne_u16_e32 vcc_lo, 0, v101
	v_mov_b32_e32 v100, 0
	s_andn2_b32 s14, s14, exec_lo
	s_and_b32 s41, vcc_lo, exec_lo
	s_or_b32 s14, s14, s41
	s_or_b32 exec_lo, exec_lo, s40
	s_and_saveexec_b32 s40, s14
	s_cbranch_execnz .LBB4_6874
	s_branch .LBB4_6875
.LBB4_7021:                             ;   in Loop: Header=BB4_6777 Depth=2
	s_or_saveexec_b32 s40, s40
	v_mov_b32_e32 v101, 0x7f800001
	s_xor_b32 exec_lo, exec_lo, s40
	s_cbranch_execz .LBB4_6887
.LBB4_7022:                             ;   in Loop: Header=BB4_6777 Depth=2
	v_cmp_ne_u16_sdwa s41, v11, v15 src0_sel:BYTE_3 src1_sel:DWORD
	v_mov_b32_e32 v101, 0
	s_andn2_b32 s14, s14, exec_lo
	s_and_b32 s41, s41, exec_lo
	s_or_b32 s14, s14, s41
	s_or_b32 exec_lo, exec_lo, s40
	s_and_saveexec_b32 s40, s14
	s_cbranch_execnz .LBB4_6888
	s_branch .LBB4_6889
.LBB4_7023:                             ;   in Loop: Header=BB4_6777 Depth=2
	s_or_saveexec_b32 s40, s40
	v_mov_b32_e32 v101, 0x7f800001
	s_xor_b32 exec_lo, exec_lo, s40
	s_cbranch_execz .LBB4_6901
.LBB4_7024:                             ;   in Loop: Header=BB4_6777 Depth=2
	v_cmp_ne_u16_sdwa s41, v12, v15 src0_sel:BYTE_0 src1_sel:DWORD
	v_mov_b32_e32 v101, 0
	s_andn2_b32 s14, s14, exec_lo
	s_and_b32 s41, s41, exec_lo
	s_or_b32 s14, s14, s41
	s_or_b32 exec_lo, exec_lo, s40
	s_and_saveexec_b32 s40, s14
	s_cbranch_execnz .LBB4_6902
	s_branch .LBB4_6903
.LBB4_7025:                             ;   in Loop: Header=BB4_6777 Depth=2
	s_or_saveexec_b32 s40, s40
	v_mov_b32_e32 v102, 0x7f800001
	s_xor_b32 exec_lo, exec_lo, s40
	s_cbranch_execz .LBB4_6915
.LBB4_7026:                             ;   in Loop: Header=BB4_6777 Depth=2
	v_cmp_ne_u16_sdwa s41, v12, v15 src0_sel:BYTE_1 src1_sel:DWORD
	v_mov_b32_e32 v102, 0
	s_andn2_b32 s14, s14, exec_lo
	s_and_b32 s41, s41, exec_lo
	s_or_b32 s14, s14, s41
	s_or_b32 exec_lo, exec_lo, s40
	s_and_saveexec_b32 s40, s14
	s_cbranch_execnz .LBB4_6916
	s_branch .LBB4_6917
.LBB4_7027:                             ;   in Loop: Header=BB4_6777 Depth=2
	s_or_saveexec_b32 s40, s40
	v_mov_b32_e32 v103, 0x7f800001
	s_xor_b32 exec_lo, exec_lo, s40
	s_cbranch_execz .LBB4_6929
.LBB4_7028:                             ;   in Loop: Header=BB4_6777 Depth=2
	v_cmp_ne_u16_e32 vcc_lo, 0, v112
	v_mov_b32_e32 v103, 0
	s_andn2_b32 s14, s14, exec_lo
	s_and_b32 s41, vcc_lo, exec_lo
	s_or_b32 s14, s14, s41
	s_or_b32 exec_lo, exec_lo, s40
	s_and_saveexec_b32 s40, s14
	s_cbranch_execnz .LBB4_6930
	s_branch .LBB4_6931
.LBB4_7029:                             ;   in Loop: Header=BB4_6777 Depth=2
	s_or_saveexec_b32 s40, s40
	v_mov_b32_e32 v112, 0x7f800001
	s_xor_b32 exec_lo, exec_lo, s40
	s_cbranch_execz .LBB4_6943
.LBB4_7030:                             ;   in Loop: Header=BB4_6777 Depth=2
	v_cmp_ne_u16_sdwa s41, v12, v15 src0_sel:BYTE_3 src1_sel:DWORD
	v_mov_b32_e32 v112, 0
	s_andn2_b32 s14, s14, exec_lo
	s_and_b32 s41, s41, exec_lo
	s_or_b32 s14, s14, s41
	s_or_b32 exec_lo, exec_lo, s40
	s_and_saveexec_b32 s40, s14
	s_cbranch_execnz .LBB4_6944
	s_branch .LBB4_6945
.LBB4_7031:                             ;   in Loop: Header=BB4_6777 Depth=2
	s_or_saveexec_b32 s40, s40
	v_mov_b32_e32 v112, 0x7f800001
	s_xor_b32 exec_lo, exec_lo, s40
	s_cbranch_execz .LBB4_6957
.LBB4_7032:                             ;   in Loop: Header=BB4_6777 Depth=2
	v_cmp_ne_u16_sdwa s41, v13, v15 src0_sel:BYTE_0 src1_sel:DWORD
	v_mov_b32_e32 v112, 0
	s_andn2_b32 s14, s14, exec_lo
	s_and_b32 s41, s41, exec_lo
	s_or_b32 s14, s14, s41
	s_or_b32 exec_lo, exec_lo, s40
	s_and_saveexec_b32 s40, s14
	s_cbranch_execnz .LBB4_6958
	s_branch .LBB4_6959
.LBB4_7033:                             ;   in Loop: Header=BB4_6777 Depth=2
	s_or_saveexec_b32 s40, s40
	v_mov_b32_e32 v113, 0x7f800001
	s_xor_b32 exec_lo, exec_lo, s40
	s_cbranch_execz .LBB4_6971
.LBB4_7034:                             ;   in Loop: Header=BB4_6777 Depth=2
	v_cmp_ne_u16_sdwa s41, v13, v15 src0_sel:BYTE_1 src1_sel:DWORD
	v_mov_b32_e32 v113, 0
	s_andn2_b32 s14, s14, exec_lo
	s_and_b32 s41, s41, exec_lo
	s_or_b32 s14, s14, s41
	s_or_b32 exec_lo, exec_lo, s40
	s_and_saveexec_b32 s40, s14
	s_cbranch_execnz .LBB4_6972
	s_branch .LBB4_6973
.LBB4_7035:                             ;   in Loop: Header=BB4_6777 Depth=2
	s_or_saveexec_b32 s40, s40
	v_mov_b32_e32 v114, 0x7f800001
	s_xor_b32 exec_lo, exec_lo, s40
	s_cbranch_execz .LBB4_6985
.LBB4_7036:                             ;   in Loop: Header=BB4_6777 Depth=2
	v_cmp_ne_u16_e32 vcc_lo, 0, v115
	v_mov_b32_e32 v114, 0
	s_andn2_b32 s14, s14, exec_lo
	s_and_b32 s41, vcc_lo, exec_lo
	s_or_b32 s14, s14, s41
	s_or_b32 exec_lo, exec_lo, s40
	s_and_saveexec_b32 s40, s14
	s_cbranch_execnz .LBB4_6986
	s_branch .LBB4_6987
.LBB4_7037:                             ;   in Loop: Header=BB4_6777 Depth=2
	s_or_saveexec_b32 s40, s40
	v_mov_b32_e32 v115, 0x7f800001
	s_xor_b32 exec_lo, exec_lo, s40
	s_cbranch_execz .LBB4_6999
.LBB4_7038:                             ;   in Loop: Header=BB4_6777 Depth=2
	v_cmp_ne_u16_sdwa s41, v13, v15 src0_sel:BYTE_3 src1_sel:DWORD
	v_mov_b32_e32 v115, 0
	s_andn2_b32 s14, s14, exec_lo
	s_and_b32 s41, s41, exec_lo
	s_or_b32 s14, s14, s41
	s_or_b32 exec_lo, exec_lo, s40
	s_and_saveexec_b32 s40, s14
	s_cbranch_execnz .LBB4_7000
	s_branch .LBB4_7001
.LBB4_7039:                             ;   in Loop: Header=BB4_5663 Depth=1
	s_or_b32 exec_lo, exec_lo, s26
.LBB4_7040:                             ;   in Loop: Header=BB4_5663 Depth=1
	s_or_b32 exec_lo, exec_lo, s25
	v_cmp_lt_i32_e32 vcc_lo, 0, v52
	v_and_b32_e32 v10, 15, v86
	v_and_b32_e32 v11, 0x1f0, v86
	v_cndmask_b32_e32 v12, 0, v64, vcc_lo
	v_cndmask_b32_e64 v13, v51, v10, s13
	v_cndmask_b32_e64 v10, 0, v11, s13
	v_sub_nc_u32_e32 v11, v12, v52
	v_cmp_ne_u32_e32 vcc_lo, 0, v13
	v_and_or_b32 v12, 0x3ffffe00, v86, v10
	v_lshl_add_u32 v50, v11, 5, v50
	s_and_b32 s13, vcc_lo, exec_lo
.LBB4_7041:                             ;   in Loop: Header=BB4_5663 Depth=1
	s_or_b32 exec_lo, exec_lo, s24
	s_and_saveexec_b32 s14, s13
	s_cbranch_execz .LBB4_7338
.LBB4_7042:                             ;   in Loop: Header=BB4_5663 Depth=1
	v_ashrrev_i32_e32 v10, 31, v50
	v_lshrrev_b32_e32 v11, 9, v13
	s_mov_b32 s24, exec_lo
	v_lshrrev_b32_e32 v10, 27, v10
	v_add_nc_u32_e32 v10, v50, v10
	v_ashrrev_i32_e32 v51, 5, v10
	v_sub_nc_u32_e32 v52, v11, v51
	v_cmpx_lt_i32_e32 0, v52
	s_cbranch_execz .LBB4_7310
; %bb.7043:                             ;   in Loop: Header=BB4_5663 Depth=1
	v_and_b32_e32 v10, 0xffffffe0, v10
	v_lshlrev_b32_e32 v11, 9, v51
	s_mov_b32 s25, 0
	v_sub_nc_u32_e32 v10, v50, v10
	v_add3_u32 v53, v12, v10, v11
	v_ashrrev_i32_e32 v54, 31, v53
	s_branch .LBB4_7047
.LBB4_7044:                             ;   in Loop: Header=BB4_7047 Depth=2
	s_or_b32 exec_lo, exec_lo, s13
	v_lshrrev_b32_e32 v55, 20, v55
	v_cmp_gt_i32_e32 vcc_lo, 16, v11
	v_min_i32_e32 v118, 15, v11
	v_and_b32_sdwa v10, v10, v82 dst_sel:DWORD dst_unused:UNUSED_PAD src0_sel:BYTE_3 src1_sel:DWORD
	v_cndmask_b32_e32 v55, 7, v55, vcc_lo
	v_lshlrev_b32_e32 v118, 3, v118
	v_and_b32_e32 v119, 7, v55
	v_or_b32_e32 v11, v11, v55
	v_or3_b32 v10, v118, v10, v119
	v_cmp_ne_u32_e32 vcc_lo, 0, v11
	v_cndmask_b32_e32 v11, 0, v10, vcc_lo
.LBB4_7045:                             ;   in Loop: Header=BB4_7047 Depth=2
	s_or_b32 exec_lo, exec_lo, s27
.LBB4_7046:                             ;   in Loop: Header=BB4_7047 Depth=2
	s_or_b32 exec_lo, exec_lo, s26
	v_sub_nc_u32_e32 v52, v52, v64
	v_add_co_u32 v118, vcc_lo, v53, v48
	v_add_co_ci_u32_e64 v119, null, v54, v49, vcc_lo
	v_add_co_u32 v37, vcc_lo, v37, v67
	v_add_co_ci_u32_e64 v38, null, 0, v38, vcc_lo
	v_cmp_gt_i32_e32 vcc_lo, 1, v52
	v_add_co_u32 v48, s13, v48, v67
	v_add_co_ci_u32_e64 v49, null, 0, v49, s13
	s_or_b32 s25, vcc_lo, s25
	flat_store_byte v[118:119], v87 glc slc
	flat_store_byte v[118:119], v96 offset:32 glc slc
	flat_store_byte v[118:119], v97 offset:64 glc slc
	;; [unrolled: 1-line block ×15, first 2 shown]
	s_andn2_b32 exec_lo, exec_lo, s25
	s_cbranch_execz .LBB4_7309
.LBB4_7047:                             ;   Parent Loop BB4_5663 Depth=1
                                        ; =>  This Inner Loop Header: Depth=2
	s_trap 2
	ds_read_b64 v[10:11], v0
	s_waitcnt lgkmcnt(0)
	v_readfirstlane_b32 s13, v10
	s_and_b32 s26, s13, 0xff
	s_cmpk_lt_i32 s26, 0x80
	s_cbranch_scc1 .LBB4_7051
; %bb.7048:                             ;   in Loop: Header=BB4_7047 Depth=2
	s_and_b32 s27, 0xffff, s26
	s_cmpk_eq_i32 s27, 0x80
	s_mov_b32 s27, -1
	s_cbranch_scc0 .LBB4_7050
; %bb.7049:                             ;   in Loop: Header=BB4_7047 Depth=2
	s_mov_b32 s27, 0
.LBB4_7050:                             ;   in Loop: Header=BB4_7047 Depth=2
	s_mov_b32 s28, 0x7f800001
	s_branch .LBB4_7053
.LBB4_7051:                             ;   in Loop: Header=BB4_7047 Depth=2
	s_mov_b32 s27, 0
	s_mov_b32 s28, 0x7f800001
	s_cbranch_execz .LBB4_7053
; %bb.7052:                             ;   in Loop: Header=BB4_7047 Depth=2
	s_and_b32 s26, 0xffff, s26
	s_mov_b32 s28, 0
	s_cmp_lg_u32 s26, 0
	s_cselect_b32 s27, -1, 0
.LBB4_7053:                             ;   in Loop: Header=BB4_7047 Depth=2
	v_mov_b32_e32 v55, s28
	s_andn2_b32 vcc_lo, exec_lo, s27
	s_cbranch_vccnz .LBB4_7055
; %bb.7054:                             ;   in Loop: Header=BB4_7047 Depth=2
	s_and_b32 s26, s13, 7
	s_bfe_u32 s28, s13, 0x40003
	s_flbit_i32_b32 s27, s26
	v_lshlrev_b32_e32 v10, 24, v10
	s_min_u32 s27, s27, 32
	s_sub_i32 s29, s27, 28
	s_sub_i32 s27, 29, s27
	s_lshl_b32 s13, s13, s29
	v_and_b32_e32 v10, 0x80000000, v10
	s_and_b32 s13, s13, 7
	s_cmp_eq_u32 s28, 0
	s_cselect_b32 s27, s27, s28
	s_cselect_b32 s13, s13, s26
	s_lshl_b32 s26, s27, 23
	s_lshl_b32 s13, s13, 20
	s_add_i32 s26, s26, 0x3b800000
	v_or_b32_e32 v10, s26, v10
	v_or_b32_e32 v55, s13, v10
.LBB4_7055:                             ;   in Loop: Header=BB4_7047 Depth=2
	v_add_co_u32 v10, vcc_lo, v53, v37
	v_add_co_ci_u32_e64 v11, null, v54, v38, vcc_lo
	s_mov_b32 s13, 0
	s_mov_b32 s26, exec_lo
	flat_load_ubyte v87, v[10:11] slc
	s_waitcnt vmcnt(0) lgkmcnt(0)
	v_cmpx_lt_i16_e32 0x7f, v87
	s_xor_b32 s26, exec_lo, s26
	s_cbranch_execz .LBB4_7277
; %bb.7056:                             ;   in Loop: Header=BB4_7047 Depth=2
	s_mov_b32 s13, -1
	s_mov_b32 s27, exec_lo
	v_cmpx_eq_u16_e32 0x80, v87
; %bb.7057:                             ;   in Loop: Header=BB4_7047 Depth=2
	s_xor_b32 s13, exec_lo, -1
; %bb.7058:                             ;   in Loop: Header=BB4_7047 Depth=2
	s_or_b32 exec_lo, exec_lo, s27
	s_and_b32 s13, s13, exec_lo
	s_or_saveexec_b32 s26, s26
	v_mov_b32_e32 v96, 0x7f800001
	s_xor_b32 exec_lo, exec_lo, s26
	s_cbranch_execnz .LBB4_7278
.LBB4_7059:                             ;   in Loop: Header=BB4_7047 Depth=2
	s_or_b32 exec_lo, exec_lo, s26
	s_and_saveexec_b32 s26, s13
	s_cbranch_execz .LBB4_7061
.LBB4_7060:                             ;   in Loop: Header=BB4_7047 Depth=2
	v_and_b32_e32 v96, 0xffff, v87
	v_lshlrev_b32_e32 v87, 24, v87
	v_and_b32_e32 v97, 7, v96
	v_bfe_u32 v100, v96, 3, 4
	v_and_b32_e32 v87, 0x80000000, v87
	v_ffbh_u32_e32 v98, v97
	v_cmp_eq_u32_e32 vcc_lo, 0, v100
	v_min_u32_e32 v98, 32, v98
	v_subrev_nc_u32_e32 v99, 28, v98
	v_sub_nc_u32_e32 v98, 29, v98
	v_lshlrev_b32_e32 v96, v99, v96
	v_cndmask_b32_e32 v98, v100, v98, vcc_lo
	v_and_b32_e32 v96, 7, v96
	v_cndmask_b32_e32 v96, v97, v96, vcc_lo
	v_lshl_add_u32 v97, v98, 23, 0x3b800000
	v_lshlrev_b32_e32 v96, 20, v96
	v_or3_b32 v96, v87, v97, v96
.LBB4_7061:                             ;   in Loop: Header=BB4_7047 Depth=2
	s_or_b32 exec_lo, exec_lo, s26
	v_mul_f32_e32 v96, v55, v96
	v_and_b32_e32 v87, 0x7f800000, v96
	v_cmp_ne_u32_e32 vcc_lo, 0x7f800000, v87
	v_mov_b32_e32 v87, 0x80
	s_and_saveexec_b32 s26, vcc_lo
	s_cbranch_execz .LBB4_7069
; %bb.7062:                             ;   in Loop: Header=BB4_7047 Depth=2
	v_mov_b32_e32 v87, 0
	s_mov_b32 s27, exec_lo
	v_cmpx_ne_u32_e32 0, v96
	s_cbranch_execz .LBB4_7068
; %bb.7063:                             ;   in Loop: Header=BB4_7047 Depth=2
	v_bfe_u32 v87, v96, 23, 8
	v_and_b32_e32 v97, 0x7fffff, v96
	v_sub_nc_u32_e32 v98, 0x78, v87
	v_cmp_gt_u32_e32 vcc_lo, 0x79, v87
	v_or_b32_e32 v99, 0x800000, v97
	v_cndmask_b32_e32 v98, 0, v98, vcc_lo
	v_cmp_eq_u32_e32 vcc_lo, 0, v87
	v_add_nc_u32_e32 v87, 0xffffff89, v87
	v_cndmask_b32_e64 v98, v98, 0x77, vcc_lo
	v_cndmask_b32_e32 v97, v99, v97, vcc_lo
	v_cndmask_b32_e64 v87, v87, 0xffffff8a, vcc_lo
	v_lshl_add_u32 v99, 0x100000, v98, -1
	v_lshrrev_b32_e32 v100, v98, v97
	v_lshlrev_b32_e64 v102, v98, 0x80000
	v_add_nc_u32_e32 v98, v98, v87
	v_and_b32_e32 v97, v99, v97
	v_bfe_u32 v101, v100, 20, 1
	v_cmp_eq_u32_e64 s13, v97, v102
	v_add_nc_u32_e32 v99, -1, v101
	v_cndmask_b32_e64 v97, 0, v99, s13
	v_lshrrev_b32_e32 v99, 23, v100
	s_mov_b32 s13, exec_lo
	v_add_nc_u32_e32 v97, v97, v100
	v_xor_b32_e32 v99, 1, v99
	v_and_b32_e32 v87, 0xfffff, v97
	v_add_nc_u32_e32 v97, v87, v100
                                        ; implicit-def: $vgpr87
	v_cmpx_ne_u32_e64 v98, v99
	s_xor_b32 s13, exec_lo, s13
; %bb.7064:                             ;   in Loop: Header=BB4_7047 Depth=2
	v_cmp_lt_u32_e32 vcc_lo, 0xffffff, v97
	v_sub_nc_u32_e32 v87, v98, v99
	v_cndmask_b32_e64 v98, 0, 1, vcc_lo
	v_add_co_ci_u32_e64 v87, null, 0, v87, vcc_lo
	v_lshrrev_b32_e32 v97, v98, v97
; %bb.7065:                             ;   in Loop: Header=BB4_7047 Depth=2
	s_andn2_saveexec_b32 s13, s13
; %bb.7066:                             ;   in Loop: Header=BB4_7047 Depth=2
	v_bfe_u32 v87, v97, 23, 1
; %bb.7067:                             ;   in Loop: Header=BB4_7047 Depth=2
	s_or_b32 exec_lo, exec_lo, s13
	v_lshrrev_b32_e32 v97, 20, v97
	v_cmp_gt_i32_e32 vcc_lo, 16, v87
	v_min_i32_e32 v98, 15, v87
	v_and_b32_sdwa v96, v96, v82 dst_sel:DWORD dst_unused:UNUSED_PAD src0_sel:BYTE_3 src1_sel:DWORD
	v_cndmask_b32_e32 v97, 7, v97, vcc_lo
	v_lshlrev_b32_e32 v98, 3, v98
	v_and_b32_e32 v99, 7, v97
	v_or_b32_e32 v87, v87, v97
	v_or3_b32 v96, v98, v96, v99
	v_cmp_ne_u32_e32 vcc_lo, 0, v87
	v_cndmask_b32_e32 v87, 0, v96, vcc_lo
.LBB4_7068:                             ;   in Loop: Header=BB4_7047 Depth=2
	s_or_b32 exec_lo, exec_lo, s27
.LBB4_7069:                             ;   in Loop: Header=BB4_7047 Depth=2
	s_or_b32 exec_lo, exec_lo, s26
	flat_load_ubyte v96, v[10:11] offset:32 slc
	s_mov_b32 s13, 0
	s_mov_b32 s26, exec_lo
	s_waitcnt vmcnt(0) lgkmcnt(0)
	v_cmpx_lt_i16_e32 0x7f, v96
	s_xor_b32 s26, exec_lo, s26
	s_cbranch_execz .LBB4_7279
; %bb.7070:                             ;   in Loop: Header=BB4_7047 Depth=2
	s_mov_b32 s13, -1
	s_mov_b32 s27, exec_lo
	v_cmpx_eq_u16_e32 0x80, v96
; %bb.7071:                             ;   in Loop: Header=BB4_7047 Depth=2
	s_xor_b32 s13, exec_lo, -1
; %bb.7072:                             ;   in Loop: Header=BB4_7047 Depth=2
	s_or_b32 exec_lo, exec_lo, s27
	s_and_b32 s13, s13, exec_lo
	s_or_saveexec_b32 s26, s26
	v_mov_b32_e32 v97, 0x7f800001
	s_xor_b32 exec_lo, exec_lo, s26
	s_cbranch_execnz .LBB4_7280
.LBB4_7073:                             ;   in Loop: Header=BB4_7047 Depth=2
	s_or_b32 exec_lo, exec_lo, s26
	s_and_saveexec_b32 s26, s13
	s_cbranch_execz .LBB4_7075
.LBB4_7074:                             ;   in Loop: Header=BB4_7047 Depth=2
	v_and_b32_e32 v97, 0xffff, v96
	v_lshlrev_b32_e32 v96, 24, v96
	v_and_b32_e32 v98, 7, v97
	v_bfe_u32 v101, v97, 3, 4
	v_and_b32_e32 v96, 0x80000000, v96
	v_ffbh_u32_e32 v99, v98
	v_cmp_eq_u32_e32 vcc_lo, 0, v101
	v_min_u32_e32 v99, 32, v99
	v_subrev_nc_u32_e32 v100, 28, v99
	v_sub_nc_u32_e32 v99, 29, v99
	v_lshlrev_b32_e32 v97, v100, v97
	v_cndmask_b32_e32 v99, v101, v99, vcc_lo
	v_and_b32_e32 v97, 7, v97
	v_cndmask_b32_e32 v97, v98, v97, vcc_lo
	v_lshl_add_u32 v98, v99, 23, 0x3b800000
	v_lshlrev_b32_e32 v97, 20, v97
	v_or3_b32 v97, v96, v98, v97
.LBB4_7075:                             ;   in Loop: Header=BB4_7047 Depth=2
	s_or_b32 exec_lo, exec_lo, s26
	v_mul_f32_e32 v97, v55, v97
	v_and_b32_e32 v96, 0x7f800000, v97
	v_cmp_ne_u32_e32 vcc_lo, 0x7f800000, v96
	v_mov_b32_e32 v96, 0x80
	s_and_saveexec_b32 s26, vcc_lo
	s_cbranch_execz .LBB4_7083
; %bb.7076:                             ;   in Loop: Header=BB4_7047 Depth=2
	v_mov_b32_e32 v96, 0
	s_mov_b32 s27, exec_lo
	v_cmpx_ne_u32_e32 0, v97
	s_cbranch_execz .LBB4_7082
; %bb.7077:                             ;   in Loop: Header=BB4_7047 Depth=2
	v_bfe_u32 v96, v97, 23, 8
	v_and_b32_e32 v98, 0x7fffff, v97
	v_sub_nc_u32_e32 v99, 0x78, v96
	v_cmp_gt_u32_e32 vcc_lo, 0x79, v96
	v_or_b32_e32 v100, 0x800000, v98
	v_cndmask_b32_e32 v99, 0, v99, vcc_lo
	v_cmp_eq_u32_e32 vcc_lo, 0, v96
	v_add_nc_u32_e32 v96, 0xffffff89, v96
	v_cndmask_b32_e64 v99, v99, 0x77, vcc_lo
	v_cndmask_b32_e32 v98, v100, v98, vcc_lo
	v_cndmask_b32_e64 v96, v96, 0xffffff8a, vcc_lo
	v_lshl_add_u32 v100, 0x100000, v99, -1
	v_lshrrev_b32_e32 v101, v99, v98
	v_lshlrev_b32_e64 v103, v99, 0x80000
	v_add_nc_u32_e32 v99, v99, v96
	v_and_b32_e32 v98, v100, v98
	v_bfe_u32 v102, v101, 20, 1
	v_cmp_eq_u32_e64 s13, v98, v103
	v_add_nc_u32_e32 v100, -1, v102
	v_cndmask_b32_e64 v98, 0, v100, s13
	v_lshrrev_b32_e32 v100, 23, v101
	s_mov_b32 s13, exec_lo
	v_add_nc_u32_e32 v98, v98, v101
	v_xor_b32_e32 v100, 1, v100
	v_and_b32_e32 v96, 0xfffff, v98
	v_add_nc_u32_e32 v98, v96, v101
                                        ; implicit-def: $vgpr96
	v_cmpx_ne_u32_e64 v99, v100
	s_xor_b32 s13, exec_lo, s13
; %bb.7078:                             ;   in Loop: Header=BB4_7047 Depth=2
	v_cmp_lt_u32_e32 vcc_lo, 0xffffff, v98
	v_sub_nc_u32_e32 v96, v99, v100
	v_cndmask_b32_e64 v99, 0, 1, vcc_lo
	v_add_co_ci_u32_e64 v96, null, 0, v96, vcc_lo
	v_lshrrev_b32_e32 v98, v99, v98
; %bb.7079:                             ;   in Loop: Header=BB4_7047 Depth=2
	s_andn2_saveexec_b32 s13, s13
; %bb.7080:                             ;   in Loop: Header=BB4_7047 Depth=2
	v_bfe_u32 v96, v98, 23, 1
; %bb.7081:                             ;   in Loop: Header=BB4_7047 Depth=2
	s_or_b32 exec_lo, exec_lo, s13
	v_lshrrev_b32_e32 v98, 20, v98
	v_cmp_gt_i32_e32 vcc_lo, 16, v96
	v_min_i32_e32 v99, 15, v96
	v_and_b32_sdwa v97, v97, v82 dst_sel:DWORD dst_unused:UNUSED_PAD src0_sel:BYTE_3 src1_sel:DWORD
	v_cndmask_b32_e32 v98, 7, v98, vcc_lo
	v_lshlrev_b32_e32 v99, 3, v99
	v_and_b32_e32 v100, 7, v98
	v_or_b32_e32 v96, v96, v98
	v_or3_b32 v97, v99, v97, v100
	v_cmp_ne_u32_e32 vcc_lo, 0, v96
	v_cndmask_b32_e32 v96, 0, v97, vcc_lo
.LBB4_7082:                             ;   in Loop: Header=BB4_7047 Depth=2
	s_or_b32 exec_lo, exec_lo, s27
.LBB4_7083:                             ;   in Loop: Header=BB4_7047 Depth=2
	s_or_b32 exec_lo, exec_lo, s26
	flat_load_ubyte v97, v[10:11] offset:64 slc
	s_mov_b32 s13, 0
	s_mov_b32 s26, exec_lo
	s_waitcnt vmcnt(0) lgkmcnt(0)
	v_cmpx_lt_i16_e32 0x7f, v97
	s_xor_b32 s26, exec_lo, s26
	s_cbranch_execz .LBB4_7281
; %bb.7084:                             ;   in Loop: Header=BB4_7047 Depth=2
	s_mov_b32 s13, -1
	s_mov_b32 s27, exec_lo
	v_cmpx_eq_u16_e32 0x80, v97
; %bb.7085:                             ;   in Loop: Header=BB4_7047 Depth=2
	s_xor_b32 s13, exec_lo, -1
; %bb.7086:                             ;   in Loop: Header=BB4_7047 Depth=2
	s_or_b32 exec_lo, exec_lo, s27
	s_and_b32 s13, s13, exec_lo
	s_or_saveexec_b32 s26, s26
	v_mov_b32_e32 v98, 0x7f800001
	s_xor_b32 exec_lo, exec_lo, s26
	s_cbranch_execnz .LBB4_7282
.LBB4_7087:                             ;   in Loop: Header=BB4_7047 Depth=2
	s_or_b32 exec_lo, exec_lo, s26
	s_and_saveexec_b32 s26, s13
	s_cbranch_execz .LBB4_7089
.LBB4_7088:                             ;   in Loop: Header=BB4_7047 Depth=2
	v_and_b32_e32 v98, 0xffff, v97
	v_lshlrev_b32_e32 v97, 24, v97
	v_and_b32_e32 v99, 7, v98
	v_bfe_u32 v102, v98, 3, 4
	v_and_b32_e32 v97, 0x80000000, v97
	v_ffbh_u32_e32 v100, v99
	v_cmp_eq_u32_e32 vcc_lo, 0, v102
	v_min_u32_e32 v100, 32, v100
	v_subrev_nc_u32_e32 v101, 28, v100
	v_sub_nc_u32_e32 v100, 29, v100
	v_lshlrev_b32_e32 v98, v101, v98
	v_cndmask_b32_e32 v100, v102, v100, vcc_lo
	v_and_b32_e32 v98, 7, v98
	v_cndmask_b32_e32 v98, v99, v98, vcc_lo
	v_lshl_add_u32 v99, v100, 23, 0x3b800000
	v_lshlrev_b32_e32 v98, 20, v98
	v_or3_b32 v98, v97, v99, v98
.LBB4_7089:                             ;   in Loop: Header=BB4_7047 Depth=2
	s_or_b32 exec_lo, exec_lo, s26
	v_mul_f32_e32 v98, v55, v98
	v_and_b32_e32 v97, 0x7f800000, v98
	v_cmp_ne_u32_e32 vcc_lo, 0x7f800000, v97
	v_mov_b32_e32 v97, 0x80
	s_and_saveexec_b32 s26, vcc_lo
	s_cbranch_execz .LBB4_7097
; %bb.7090:                             ;   in Loop: Header=BB4_7047 Depth=2
	v_mov_b32_e32 v97, 0
	s_mov_b32 s27, exec_lo
	v_cmpx_ne_u32_e32 0, v98
	s_cbranch_execz .LBB4_7096
; %bb.7091:                             ;   in Loop: Header=BB4_7047 Depth=2
	v_bfe_u32 v97, v98, 23, 8
	v_and_b32_e32 v99, 0x7fffff, v98
	v_sub_nc_u32_e32 v100, 0x78, v97
	v_cmp_gt_u32_e32 vcc_lo, 0x79, v97
	v_or_b32_e32 v101, 0x800000, v99
	v_cndmask_b32_e32 v100, 0, v100, vcc_lo
	v_cmp_eq_u32_e32 vcc_lo, 0, v97
	v_add_nc_u32_e32 v97, 0xffffff89, v97
	v_cndmask_b32_e64 v100, v100, 0x77, vcc_lo
	v_cndmask_b32_e32 v99, v101, v99, vcc_lo
	v_cndmask_b32_e64 v97, v97, 0xffffff8a, vcc_lo
	v_lshl_add_u32 v101, 0x100000, v100, -1
	v_lshrrev_b32_e32 v102, v100, v99
	v_lshlrev_b32_e64 v112, v100, 0x80000
	v_add_nc_u32_e32 v100, v100, v97
	v_and_b32_e32 v99, v101, v99
	v_bfe_u32 v103, v102, 20, 1
	v_cmp_eq_u32_e64 s13, v99, v112
	v_add_nc_u32_e32 v101, -1, v103
	v_cndmask_b32_e64 v99, 0, v101, s13
	v_lshrrev_b32_e32 v101, 23, v102
	s_mov_b32 s13, exec_lo
	v_add_nc_u32_e32 v99, v99, v102
	v_xor_b32_e32 v101, 1, v101
	v_and_b32_e32 v97, 0xfffff, v99
	v_add_nc_u32_e32 v99, v97, v102
                                        ; implicit-def: $vgpr97
	v_cmpx_ne_u32_e64 v100, v101
	s_xor_b32 s13, exec_lo, s13
; %bb.7092:                             ;   in Loop: Header=BB4_7047 Depth=2
	v_cmp_lt_u32_e32 vcc_lo, 0xffffff, v99
	v_sub_nc_u32_e32 v97, v100, v101
	v_cndmask_b32_e64 v100, 0, 1, vcc_lo
	v_add_co_ci_u32_e64 v97, null, 0, v97, vcc_lo
	v_lshrrev_b32_e32 v99, v100, v99
; %bb.7093:                             ;   in Loop: Header=BB4_7047 Depth=2
	s_andn2_saveexec_b32 s13, s13
; %bb.7094:                             ;   in Loop: Header=BB4_7047 Depth=2
	v_bfe_u32 v97, v99, 23, 1
; %bb.7095:                             ;   in Loop: Header=BB4_7047 Depth=2
	s_or_b32 exec_lo, exec_lo, s13
	v_lshrrev_b32_e32 v99, 20, v99
	v_cmp_gt_i32_e32 vcc_lo, 16, v97
	v_min_i32_e32 v100, 15, v97
	v_and_b32_sdwa v98, v98, v82 dst_sel:DWORD dst_unused:UNUSED_PAD src0_sel:BYTE_3 src1_sel:DWORD
	v_cndmask_b32_e32 v99, 7, v99, vcc_lo
	v_lshlrev_b32_e32 v100, 3, v100
	v_and_b32_e32 v101, 7, v99
	v_or_b32_e32 v97, v97, v99
	v_or3_b32 v98, v100, v98, v101
	v_cmp_ne_u32_e32 vcc_lo, 0, v97
	v_cndmask_b32_e32 v97, 0, v98, vcc_lo
.LBB4_7096:                             ;   in Loop: Header=BB4_7047 Depth=2
	s_or_b32 exec_lo, exec_lo, s27
.LBB4_7097:                             ;   in Loop: Header=BB4_7047 Depth=2
	s_or_b32 exec_lo, exec_lo, s26
	flat_load_ubyte v98, v[10:11] offset:96 slc
	s_mov_b32 s13, 0
	s_mov_b32 s26, exec_lo
	s_waitcnt vmcnt(0) lgkmcnt(0)
	v_cmpx_lt_i16_e32 0x7f, v98
	s_xor_b32 s26, exec_lo, s26
	s_cbranch_execz .LBB4_7283
; %bb.7098:                             ;   in Loop: Header=BB4_7047 Depth=2
	s_mov_b32 s13, -1
	s_mov_b32 s27, exec_lo
	v_cmpx_eq_u16_e32 0x80, v98
; %bb.7099:                             ;   in Loop: Header=BB4_7047 Depth=2
	s_xor_b32 s13, exec_lo, -1
; %bb.7100:                             ;   in Loop: Header=BB4_7047 Depth=2
	s_or_b32 exec_lo, exec_lo, s27
	s_and_b32 s13, s13, exec_lo
	s_or_saveexec_b32 s26, s26
	v_mov_b32_e32 v99, 0x7f800001
	s_xor_b32 exec_lo, exec_lo, s26
	s_cbranch_execnz .LBB4_7284
.LBB4_7101:                             ;   in Loop: Header=BB4_7047 Depth=2
	s_or_b32 exec_lo, exec_lo, s26
	s_and_saveexec_b32 s26, s13
	s_cbranch_execz .LBB4_7103
.LBB4_7102:                             ;   in Loop: Header=BB4_7047 Depth=2
	v_and_b32_e32 v99, 0xffff, v98
	v_lshlrev_b32_e32 v98, 24, v98
	v_and_b32_e32 v100, 7, v99
	v_bfe_u32 v103, v99, 3, 4
	v_and_b32_e32 v98, 0x80000000, v98
	v_ffbh_u32_e32 v101, v100
	v_cmp_eq_u32_e32 vcc_lo, 0, v103
	v_min_u32_e32 v101, 32, v101
	v_subrev_nc_u32_e32 v102, 28, v101
	v_sub_nc_u32_e32 v101, 29, v101
	v_lshlrev_b32_e32 v99, v102, v99
	v_cndmask_b32_e32 v101, v103, v101, vcc_lo
	v_and_b32_e32 v99, 7, v99
	v_cndmask_b32_e32 v99, v100, v99, vcc_lo
	v_lshl_add_u32 v100, v101, 23, 0x3b800000
	v_lshlrev_b32_e32 v99, 20, v99
	v_or3_b32 v99, v98, v100, v99
.LBB4_7103:                             ;   in Loop: Header=BB4_7047 Depth=2
	s_or_b32 exec_lo, exec_lo, s26
	v_mul_f32_e32 v99, v55, v99
	v_and_b32_e32 v98, 0x7f800000, v99
	v_cmp_ne_u32_e32 vcc_lo, 0x7f800000, v98
	v_mov_b32_e32 v98, 0x80
	s_and_saveexec_b32 s26, vcc_lo
	s_cbranch_execz .LBB4_7111
; %bb.7104:                             ;   in Loop: Header=BB4_7047 Depth=2
	v_mov_b32_e32 v98, 0
	s_mov_b32 s27, exec_lo
	v_cmpx_ne_u32_e32 0, v99
	s_cbranch_execz .LBB4_7110
; %bb.7105:                             ;   in Loop: Header=BB4_7047 Depth=2
	v_bfe_u32 v98, v99, 23, 8
	v_and_b32_e32 v100, 0x7fffff, v99
	v_sub_nc_u32_e32 v101, 0x78, v98
	v_cmp_gt_u32_e32 vcc_lo, 0x79, v98
	v_or_b32_e32 v102, 0x800000, v100
	v_cndmask_b32_e32 v101, 0, v101, vcc_lo
	v_cmp_eq_u32_e32 vcc_lo, 0, v98
	v_add_nc_u32_e32 v98, 0xffffff89, v98
	v_cndmask_b32_e64 v101, v101, 0x77, vcc_lo
	v_cndmask_b32_e32 v100, v102, v100, vcc_lo
	v_cndmask_b32_e64 v98, v98, 0xffffff8a, vcc_lo
	v_lshl_add_u32 v102, 0x100000, v101, -1
	v_lshrrev_b32_e32 v103, v101, v100
	v_lshlrev_b32_e64 v113, v101, 0x80000
	v_add_nc_u32_e32 v101, v101, v98
	v_and_b32_e32 v100, v102, v100
	v_bfe_u32 v112, v103, 20, 1
	v_cmp_eq_u32_e64 s13, v100, v113
	v_add_nc_u32_e32 v102, -1, v112
	v_cndmask_b32_e64 v100, 0, v102, s13
	v_lshrrev_b32_e32 v102, 23, v103
	s_mov_b32 s13, exec_lo
	v_add_nc_u32_e32 v100, v100, v103
	v_xor_b32_e32 v102, 1, v102
	v_and_b32_e32 v98, 0xfffff, v100
	v_add_nc_u32_e32 v100, v98, v103
                                        ; implicit-def: $vgpr98
	v_cmpx_ne_u32_e64 v101, v102
	s_xor_b32 s13, exec_lo, s13
; %bb.7106:                             ;   in Loop: Header=BB4_7047 Depth=2
	v_cmp_lt_u32_e32 vcc_lo, 0xffffff, v100
	v_sub_nc_u32_e32 v98, v101, v102
	v_cndmask_b32_e64 v101, 0, 1, vcc_lo
	v_add_co_ci_u32_e64 v98, null, 0, v98, vcc_lo
	v_lshrrev_b32_e32 v100, v101, v100
; %bb.7107:                             ;   in Loop: Header=BB4_7047 Depth=2
	s_andn2_saveexec_b32 s13, s13
; %bb.7108:                             ;   in Loop: Header=BB4_7047 Depth=2
	v_bfe_u32 v98, v100, 23, 1
; %bb.7109:                             ;   in Loop: Header=BB4_7047 Depth=2
	s_or_b32 exec_lo, exec_lo, s13
	v_lshrrev_b32_e32 v100, 20, v100
	v_cmp_gt_i32_e32 vcc_lo, 16, v98
	v_min_i32_e32 v101, 15, v98
	v_and_b32_sdwa v99, v99, v82 dst_sel:DWORD dst_unused:UNUSED_PAD src0_sel:BYTE_3 src1_sel:DWORD
	v_cndmask_b32_e32 v100, 7, v100, vcc_lo
	v_lshlrev_b32_e32 v101, 3, v101
	v_and_b32_e32 v102, 7, v100
	v_or_b32_e32 v98, v98, v100
	v_or3_b32 v99, v101, v99, v102
	v_cmp_ne_u32_e32 vcc_lo, 0, v98
	v_cndmask_b32_e32 v98, 0, v99, vcc_lo
.LBB4_7110:                             ;   in Loop: Header=BB4_7047 Depth=2
	s_or_b32 exec_lo, exec_lo, s27
.LBB4_7111:                             ;   in Loop: Header=BB4_7047 Depth=2
	s_or_b32 exec_lo, exec_lo, s26
	flat_load_ubyte v99, v[10:11] offset:128 slc
	s_mov_b32 s13, 0
	s_mov_b32 s26, exec_lo
	s_waitcnt vmcnt(0) lgkmcnt(0)
	v_cmpx_lt_i16_e32 0x7f, v99
	s_xor_b32 s26, exec_lo, s26
	s_cbranch_execz .LBB4_7285
; %bb.7112:                             ;   in Loop: Header=BB4_7047 Depth=2
	s_mov_b32 s13, -1
	s_mov_b32 s27, exec_lo
	v_cmpx_eq_u16_e32 0x80, v99
; %bb.7113:                             ;   in Loop: Header=BB4_7047 Depth=2
	s_xor_b32 s13, exec_lo, -1
; %bb.7114:                             ;   in Loop: Header=BB4_7047 Depth=2
	s_or_b32 exec_lo, exec_lo, s27
	s_and_b32 s13, s13, exec_lo
	s_or_saveexec_b32 s26, s26
	v_mov_b32_e32 v100, 0x7f800001
	s_xor_b32 exec_lo, exec_lo, s26
	s_cbranch_execnz .LBB4_7286
.LBB4_7115:                             ;   in Loop: Header=BB4_7047 Depth=2
	s_or_b32 exec_lo, exec_lo, s26
	s_and_saveexec_b32 s26, s13
	s_cbranch_execz .LBB4_7117
.LBB4_7116:                             ;   in Loop: Header=BB4_7047 Depth=2
	v_and_b32_e32 v100, 0xffff, v99
	v_lshlrev_b32_e32 v99, 24, v99
	v_and_b32_e32 v101, 7, v100
	v_bfe_u32 v112, v100, 3, 4
	v_and_b32_e32 v99, 0x80000000, v99
	v_ffbh_u32_e32 v102, v101
	v_cmp_eq_u32_e32 vcc_lo, 0, v112
	v_min_u32_e32 v102, 32, v102
	v_subrev_nc_u32_e32 v103, 28, v102
	v_sub_nc_u32_e32 v102, 29, v102
	v_lshlrev_b32_e32 v100, v103, v100
	v_cndmask_b32_e32 v102, v112, v102, vcc_lo
	v_and_b32_e32 v100, 7, v100
	v_cndmask_b32_e32 v100, v101, v100, vcc_lo
	v_lshl_add_u32 v101, v102, 23, 0x3b800000
	v_lshlrev_b32_e32 v100, 20, v100
	v_or3_b32 v100, v99, v101, v100
.LBB4_7117:                             ;   in Loop: Header=BB4_7047 Depth=2
	s_or_b32 exec_lo, exec_lo, s26
	v_mul_f32_e32 v100, v55, v100
	v_and_b32_e32 v99, 0x7f800000, v100
	v_cmp_ne_u32_e32 vcc_lo, 0x7f800000, v99
	v_mov_b32_e32 v99, 0x80
	s_and_saveexec_b32 s26, vcc_lo
	s_cbranch_execz .LBB4_7125
; %bb.7118:                             ;   in Loop: Header=BB4_7047 Depth=2
	v_mov_b32_e32 v99, 0
	s_mov_b32 s27, exec_lo
	v_cmpx_ne_u32_e32 0, v100
	s_cbranch_execz .LBB4_7124
; %bb.7119:                             ;   in Loop: Header=BB4_7047 Depth=2
	v_bfe_u32 v99, v100, 23, 8
	v_and_b32_e32 v101, 0x7fffff, v100
	v_sub_nc_u32_e32 v102, 0x78, v99
	v_cmp_gt_u32_e32 vcc_lo, 0x79, v99
	v_or_b32_e32 v103, 0x800000, v101
	v_cndmask_b32_e32 v102, 0, v102, vcc_lo
	v_cmp_eq_u32_e32 vcc_lo, 0, v99
	v_add_nc_u32_e32 v99, 0xffffff89, v99
	v_cndmask_b32_e64 v102, v102, 0x77, vcc_lo
	v_cndmask_b32_e32 v101, v103, v101, vcc_lo
	v_cndmask_b32_e64 v99, v99, 0xffffff8a, vcc_lo
	v_lshl_add_u32 v103, 0x100000, v102, -1
	v_lshrrev_b32_e32 v112, v102, v101
	v_lshlrev_b32_e64 v114, v102, 0x80000
	v_add_nc_u32_e32 v102, v102, v99
	v_and_b32_e32 v101, v103, v101
	v_bfe_u32 v113, v112, 20, 1
	v_cmp_eq_u32_e64 s13, v101, v114
	v_add_nc_u32_e32 v103, -1, v113
	v_cndmask_b32_e64 v101, 0, v103, s13
	v_lshrrev_b32_e32 v103, 23, v112
	s_mov_b32 s13, exec_lo
	v_add_nc_u32_e32 v101, v101, v112
	v_xor_b32_e32 v103, 1, v103
	v_and_b32_e32 v99, 0xfffff, v101
	v_add_nc_u32_e32 v101, v99, v112
                                        ; implicit-def: $vgpr99
	v_cmpx_ne_u32_e64 v102, v103
	s_xor_b32 s13, exec_lo, s13
; %bb.7120:                             ;   in Loop: Header=BB4_7047 Depth=2
	v_cmp_lt_u32_e32 vcc_lo, 0xffffff, v101
	v_sub_nc_u32_e32 v99, v102, v103
	v_cndmask_b32_e64 v102, 0, 1, vcc_lo
	v_add_co_ci_u32_e64 v99, null, 0, v99, vcc_lo
	v_lshrrev_b32_e32 v101, v102, v101
; %bb.7121:                             ;   in Loop: Header=BB4_7047 Depth=2
	s_andn2_saveexec_b32 s13, s13
; %bb.7122:                             ;   in Loop: Header=BB4_7047 Depth=2
	v_bfe_u32 v99, v101, 23, 1
; %bb.7123:                             ;   in Loop: Header=BB4_7047 Depth=2
	s_or_b32 exec_lo, exec_lo, s13
	v_lshrrev_b32_e32 v101, 20, v101
	v_cmp_gt_i32_e32 vcc_lo, 16, v99
	v_min_i32_e32 v102, 15, v99
	v_and_b32_sdwa v100, v100, v82 dst_sel:DWORD dst_unused:UNUSED_PAD src0_sel:BYTE_3 src1_sel:DWORD
	v_cndmask_b32_e32 v101, 7, v101, vcc_lo
	v_lshlrev_b32_e32 v102, 3, v102
	v_and_b32_e32 v103, 7, v101
	v_or_b32_e32 v99, v99, v101
	v_or3_b32 v100, v102, v100, v103
	v_cmp_ne_u32_e32 vcc_lo, 0, v99
	v_cndmask_b32_e32 v99, 0, v100, vcc_lo
.LBB4_7124:                             ;   in Loop: Header=BB4_7047 Depth=2
	s_or_b32 exec_lo, exec_lo, s27
.LBB4_7125:                             ;   in Loop: Header=BB4_7047 Depth=2
	s_or_b32 exec_lo, exec_lo, s26
	flat_load_ubyte v100, v[10:11] offset:160 slc
	s_mov_b32 s13, 0
	s_mov_b32 s26, exec_lo
	s_waitcnt vmcnt(0) lgkmcnt(0)
	v_cmpx_lt_i16_e32 0x7f, v100
	s_xor_b32 s26, exec_lo, s26
	s_cbranch_execz .LBB4_7287
; %bb.7126:                             ;   in Loop: Header=BB4_7047 Depth=2
	s_mov_b32 s13, -1
	s_mov_b32 s27, exec_lo
	v_cmpx_eq_u16_e32 0x80, v100
; %bb.7127:                             ;   in Loop: Header=BB4_7047 Depth=2
	s_xor_b32 s13, exec_lo, -1
; %bb.7128:                             ;   in Loop: Header=BB4_7047 Depth=2
	s_or_b32 exec_lo, exec_lo, s27
	s_and_b32 s13, s13, exec_lo
	s_or_saveexec_b32 s26, s26
	v_mov_b32_e32 v101, 0x7f800001
	s_xor_b32 exec_lo, exec_lo, s26
	s_cbranch_execnz .LBB4_7288
.LBB4_7129:                             ;   in Loop: Header=BB4_7047 Depth=2
	s_or_b32 exec_lo, exec_lo, s26
	s_and_saveexec_b32 s26, s13
	s_cbranch_execz .LBB4_7131
.LBB4_7130:                             ;   in Loop: Header=BB4_7047 Depth=2
	v_and_b32_e32 v101, 0xffff, v100
	v_lshlrev_b32_e32 v100, 24, v100
	v_and_b32_e32 v102, 7, v101
	v_bfe_u32 v113, v101, 3, 4
	v_and_b32_e32 v100, 0x80000000, v100
	v_ffbh_u32_e32 v103, v102
	v_cmp_eq_u32_e32 vcc_lo, 0, v113
	v_min_u32_e32 v103, 32, v103
	v_subrev_nc_u32_e32 v112, 28, v103
	v_sub_nc_u32_e32 v103, 29, v103
	v_lshlrev_b32_e32 v101, v112, v101
	v_cndmask_b32_e32 v103, v113, v103, vcc_lo
	v_and_b32_e32 v101, 7, v101
	v_cndmask_b32_e32 v101, v102, v101, vcc_lo
	v_lshl_add_u32 v102, v103, 23, 0x3b800000
	v_lshlrev_b32_e32 v101, 20, v101
	v_or3_b32 v101, v100, v102, v101
.LBB4_7131:                             ;   in Loop: Header=BB4_7047 Depth=2
	s_or_b32 exec_lo, exec_lo, s26
	v_mul_f32_e32 v101, v55, v101
	v_and_b32_e32 v100, 0x7f800000, v101
	v_cmp_ne_u32_e32 vcc_lo, 0x7f800000, v100
	v_mov_b32_e32 v100, 0x80
	s_and_saveexec_b32 s26, vcc_lo
	s_cbranch_execz .LBB4_7139
; %bb.7132:                             ;   in Loop: Header=BB4_7047 Depth=2
	v_mov_b32_e32 v100, 0
	s_mov_b32 s27, exec_lo
	v_cmpx_ne_u32_e32 0, v101
	s_cbranch_execz .LBB4_7138
; %bb.7133:                             ;   in Loop: Header=BB4_7047 Depth=2
	v_bfe_u32 v100, v101, 23, 8
	v_and_b32_e32 v102, 0x7fffff, v101
	v_sub_nc_u32_e32 v103, 0x78, v100
	v_cmp_gt_u32_e32 vcc_lo, 0x79, v100
	v_or_b32_e32 v112, 0x800000, v102
	v_cndmask_b32_e32 v103, 0, v103, vcc_lo
	v_cmp_eq_u32_e32 vcc_lo, 0, v100
	v_add_nc_u32_e32 v100, 0xffffff89, v100
	v_cndmask_b32_e64 v103, v103, 0x77, vcc_lo
	v_cndmask_b32_e32 v102, v112, v102, vcc_lo
	v_cndmask_b32_e64 v100, v100, 0xffffff8a, vcc_lo
	v_lshl_add_u32 v112, 0x100000, v103, -1
	v_lshrrev_b32_e32 v113, v103, v102
	v_lshlrev_b32_e64 v115, v103, 0x80000
	v_add_nc_u32_e32 v103, v103, v100
	v_and_b32_e32 v102, v112, v102
	v_bfe_u32 v114, v113, 20, 1
	v_cmp_eq_u32_e64 s13, v102, v115
	v_add_nc_u32_e32 v112, -1, v114
	v_cndmask_b32_e64 v102, 0, v112, s13
	v_lshrrev_b32_e32 v112, 23, v113
	s_mov_b32 s13, exec_lo
	v_add_nc_u32_e32 v102, v102, v113
	v_xor_b32_e32 v112, 1, v112
	v_and_b32_e32 v100, 0xfffff, v102
	v_add_nc_u32_e32 v102, v100, v113
                                        ; implicit-def: $vgpr100
	v_cmpx_ne_u32_e64 v103, v112
	s_xor_b32 s13, exec_lo, s13
; %bb.7134:                             ;   in Loop: Header=BB4_7047 Depth=2
	v_cmp_lt_u32_e32 vcc_lo, 0xffffff, v102
	v_sub_nc_u32_e32 v100, v103, v112
	v_cndmask_b32_e64 v103, 0, 1, vcc_lo
	v_add_co_ci_u32_e64 v100, null, 0, v100, vcc_lo
	v_lshrrev_b32_e32 v102, v103, v102
; %bb.7135:                             ;   in Loop: Header=BB4_7047 Depth=2
	s_andn2_saveexec_b32 s13, s13
; %bb.7136:                             ;   in Loop: Header=BB4_7047 Depth=2
	v_bfe_u32 v100, v102, 23, 1
; %bb.7137:                             ;   in Loop: Header=BB4_7047 Depth=2
	s_or_b32 exec_lo, exec_lo, s13
	v_lshrrev_b32_e32 v102, 20, v102
	v_cmp_gt_i32_e32 vcc_lo, 16, v100
	v_min_i32_e32 v103, 15, v100
	v_and_b32_sdwa v101, v101, v82 dst_sel:DWORD dst_unused:UNUSED_PAD src0_sel:BYTE_3 src1_sel:DWORD
	v_cndmask_b32_e32 v102, 7, v102, vcc_lo
	v_lshlrev_b32_e32 v103, 3, v103
	v_and_b32_e32 v112, 7, v102
	v_or_b32_e32 v100, v100, v102
	v_or3_b32 v101, v103, v101, v112
	v_cmp_ne_u32_e32 vcc_lo, 0, v100
	v_cndmask_b32_e32 v100, 0, v101, vcc_lo
.LBB4_7138:                             ;   in Loop: Header=BB4_7047 Depth=2
	s_or_b32 exec_lo, exec_lo, s27
.LBB4_7139:                             ;   in Loop: Header=BB4_7047 Depth=2
	s_or_b32 exec_lo, exec_lo, s26
	flat_load_ubyte v101, v[10:11] offset:192 slc
	s_mov_b32 s13, 0
	s_mov_b32 s26, exec_lo
	s_waitcnt vmcnt(0) lgkmcnt(0)
	v_cmpx_lt_i16_e32 0x7f, v101
	s_xor_b32 s26, exec_lo, s26
	s_cbranch_execz .LBB4_7289
; %bb.7140:                             ;   in Loop: Header=BB4_7047 Depth=2
	s_mov_b32 s13, -1
	s_mov_b32 s27, exec_lo
	v_cmpx_eq_u16_e32 0x80, v101
; %bb.7141:                             ;   in Loop: Header=BB4_7047 Depth=2
	s_xor_b32 s13, exec_lo, -1
; %bb.7142:                             ;   in Loop: Header=BB4_7047 Depth=2
	s_or_b32 exec_lo, exec_lo, s27
	s_and_b32 s13, s13, exec_lo
	s_or_saveexec_b32 s26, s26
	v_mov_b32_e32 v102, 0x7f800001
	s_xor_b32 exec_lo, exec_lo, s26
	s_cbranch_execnz .LBB4_7290
.LBB4_7143:                             ;   in Loop: Header=BB4_7047 Depth=2
	s_or_b32 exec_lo, exec_lo, s26
	s_and_saveexec_b32 s26, s13
	s_cbranch_execz .LBB4_7145
.LBB4_7144:                             ;   in Loop: Header=BB4_7047 Depth=2
	v_and_b32_e32 v102, 0xffff, v101
	v_lshlrev_b32_e32 v101, 24, v101
	v_and_b32_e32 v103, 7, v102
	v_bfe_u32 v114, v102, 3, 4
	v_and_b32_e32 v101, 0x80000000, v101
	v_ffbh_u32_e32 v112, v103
	v_cmp_eq_u32_e32 vcc_lo, 0, v114
	v_min_u32_e32 v112, 32, v112
	v_subrev_nc_u32_e32 v113, 28, v112
	v_sub_nc_u32_e32 v112, 29, v112
	v_lshlrev_b32_e32 v102, v113, v102
	v_cndmask_b32_e32 v112, v114, v112, vcc_lo
	v_and_b32_e32 v102, 7, v102
	v_cndmask_b32_e32 v102, v103, v102, vcc_lo
	v_lshl_add_u32 v103, v112, 23, 0x3b800000
	v_lshlrev_b32_e32 v102, 20, v102
	v_or3_b32 v102, v101, v103, v102
.LBB4_7145:                             ;   in Loop: Header=BB4_7047 Depth=2
	s_or_b32 exec_lo, exec_lo, s26
	v_mul_f32_e32 v102, v55, v102
	v_and_b32_e32 v101, 0x7f800000, v102
	v_cmp_ne_u32_e32 vcc_lo, 0x7f800000, v101
	v_mov_b32_e32 v101, 0x80
	s_and_saveexec_b32 s26, vcc_lo
	s_cbranch_execz .LBB4_7153
; %bb.7146:                             ;   in Loop: Header=BB4_7047 Depth=2
	v_mov_b32_e32 v101, 0
	s_mov_b32 s27, exec_lo
	v_cmpx_ne_u32_e32 0, v102
	s_cbranch_execz .LBB4_7152
; %bb.7147:                             ;   in Loop: Header=BB4_7047 Depth=2
	v_bfe_u32 v101, v102, 23, 8
	v_and_b32_e32 v103, 0x7fffff, v102
	v_sub_nc_u32_e32 v112, 0x78, v101
	v_cmp_gt_u32_e32 vcc_lo, 0x79, v101
	v_or_b32_e32 v113, 0x800000, v103
	v_cndmask_b32_e32 v112, 0, v112, vcc_lo
	v_cmp_eq_u32_e32 vcc_lo, 0, v101
	v_add_nc_u32_e32 v101, 0xffffff89, v101
	v_cndmask_b32_e64 v112, v112, 0x77, vcc_lo
	v_cndmask_b32_e32 v103, v113, v103, vcc_lo
	v_cndmask_b32_e64 v101, v101, 0xffffff8a, vcc_lo
	v_lshl_add_u32 v113, 0x100000, v112, -1
	v_lshrrev_b32_e32 v114, v112, v103
	v_lshlrev_b32_e64 v116, v112, 0x80000
	v_add_nc_u32_e32 v112, v112, v101
	v_and_b32_e32 v103, v113, v103
	v_bfe_u32 v115, v114, 20, 1
	v_cmp_eq_u32_e64 s13, v103, v116
	v_add_nc_u32_e32 v113, -1, v115
	v_cndmask_b32_e64 v103, 0, v113, s13
	v_lshrrev_b32_e32 v113, 23, v114
	s_mov_b32 s13, exec_lo
	v_add_nc_u32_e32 v103, v103, v114
	v_xor_b32_e32 v113, 1, v113
	v_and_b32_e32 v101, 0xfffff, v103
	v_add_nc_u32_e32 v103, v101, v114
                                        ; implicit-def: $vgpr101
	v_cmpx_ne_u32_e64 v112, v113
	s_xor_b32 s13, exec_lo, s13
; %bb.7148:                             ;   in Loop: Header=BB4_7047 Depth=2
	v_cmp_lt_u32_e32 vcc_lo, 0xffffff, v103
	v_sub_nc_u32_e32 v101, v112, v113
	v_cndmask_b32_e64 v112, 0, 1, vcc_lo
	v_add_co_ci_u32_e64 v101, null, 0, v101, vcc_lo
	v_lshrrev_b32_e32 v103, v112, v103
; %bb.7149:                             ;   in Loop: Header=BB4_7047 Depth=2
	s_andn2_saveexec_b32 s13, s13
; %bb.7150:                             ;   in Loop: Header=BB4_7047 Depth=2
	v_bfe_u32 v101, v103, 23, 1
; %bb.7151:                             ;   in Loop: Header=BB4_7047 Depth=2
	s_or_b32 exec_lo, exec_lo, s13
	v_lshrrev_b32_e32 v103, 20, v103
	v_cmp_gt_i32_e32 vcc_lo, 16, v101
	v_min_i32_e32 v112, 15, v101
	v_and_b32_sdwa v102, v102, v82 dst_sel:DWORD dst_unused:UNUSED_PAD src0_sel:BYTE_3 src1_sel:DWORD
	v_cndmask_b32_e32 v103, 7, v103, vcc_lo
	v_lshlrev_b32_e32 v112, 3, v112
	v_and_b32_e32 v113, 7, v103
	v_or_b32_e32 v101, v101, v103
	v_or3_b32 v102, v112, v102, v113
	v_cmp_ne_u32_e32 vcc_lo, 0, v101
	v_cndmask_b32_e32 v101, 0, v102, vcc_lo
.LBB4_7152:                             ;   in Loop: Header=BB4_7047 Depth=2
	s_or_b32 exec_lo, exec_lo, s27
.LBB4_7153:                             ;   in Loop: Header=BB4_7047 Depth=2
	s_or_b32 exec_lo, exec_lo, s26
	flat_load_ubyte v102, v[10:11] offset:224 slc
	s_mov_b32 s13, 0
	s_mov_b32 s26, exec_lo
	s_waitcnt vmcnt(0) lgkmcnt(0)
	v_cmpx_lt_i16_e32 0x7f, v102
	s_xor_b32 s26, exec_lo, s26
	s_cbranch_execz .LBB4_7291
; %bb.7154:                             ;   in Loop: Header=BB4_7047 Depth=2
	s_mov_b32 s13, -1
	s_mov_b32 s27, exec_lo
	v_cmpx_eq_u16_e32 0x80, v102
; %bb.7155:                             ;   in Loop: Header=BB4_7047 Depth=2
	s_xor_b32 s13, exec_lo, -1
; %bb.7156:                             ;   in Loop: Header=BB4_7047 Depth=2
	s_or_b32 exec_lo, exec_lo, s27
	s_and_b32 s13, s13, exec_lo
	s_or_saveexec_b32 s26, s26
	v_mov_b32_e32 v103, 0x7f800001
	s_xor_b32 exec_lo, exec_lo, s26
	s_cbranch_execnz .LBB4_7292
.LBB4_7157:                             ;   in Loop: Header=BB4_7047 Depth=2
	s_or_b32 exec_lo, exec_lo, s26
	s_and_saveexec_b32 s26, s13
	s_cbranch_execz .LBB4_7159
.LBB4_7158:                             ;   in Loop: Header=BB4_7047 Depth=2
	v_and_b32_e32 v103, 0xffff, v102
	v_lshlrev_b32_e32 v102, 24, v102
	v_and_b32_e32 v112, 7, v103
	v_bfe_u32 v115, v103, 3, 4
	v_and_b32_e32 v102, 0x80000000, v102
	v_ffbh_u32_e32 v113, v112
	v_cmp_eq_u32_e32 vcc_lo, 0, v115
	v_min_u32_e32 v113, 32, v113
	v_subrev_nc_u32_e32 v114, 28, v113
	v_sub_nc_u32_e32 v113, 29, v113
	v_lshlrev_b32_e32 v103, v114, v103
	v_cndmask_b32_e32 v113, v115, v113, vcc_lo
	v_and_b32_e32 v103, 7, v103
	v_cndmask_b32_e32 v103, v112, v103, vcc_lo
	v_lshl_add_u32 v112, v113, 23, 0x3b800000
	v_lshlrev_b32_e32 v103, 20, v103
	v_or3_b32 v103, v102, v112, v103
.LBB4_7159:                             ;   in Loop: Header=BB4_7047 Depth=2
	s_or_b32 exec_lo, exec_lo, s26
	v_mul_f32_e32 v103, v55, v103
	v_and_b32_e32 v102, 0x7f800000, v103
	v_cmp_ne_u32_e32 vcc_lo, 0x7f800000, v102
	v_mov_b32_e32 v102, 0x80
	s_and_saveexec_b32 s26, vcc_lo
	s_cbranch_execz .LBB4_7167
; %bb.7160:                             ;   in Loop: Header=BB4_7047 Depth=2
	v_mov_b32_e32 v102, 0
	s_mov_b32 s27, exec_lo
	v_cmpx_ne_u32_e32 0, v103
	s_cbranch_execz .LBB4_7166
; %bb.7161:                             ;   in Loop: Header=BB4_7047 Depth=2
	v_bfe_u32 v102, v103, 23, 8
	v_and_b32_e32 v112, 0x7fffff, v103
	v_sub_nc_u32_e32 v113, 0x78, v102
	v_cmp_gt_u32_e32 vcc_lo, 0x79, v102
	v_or_b32_e32 v114, 0x800000, v112
	v_cndmask_b32_e32 v113, 0, v113, vcc_lo
	v_cmp_eq_u32_e32 vcc_lo, 0, v102
	v_add_nc_u32_e32 v102, 0xffffff89, v102
	v_cndmask_b32_e64 v113, v113, 0x77, vcc_lo
	v_cndmask_b32_e32 v112, v114, v112, vcc_lo
	v_cndmask_b32_e64 v102, v102, 0xffffff8a, vcc_lo
	v_lshl_add_u32 v114, 0x100000, v113, -1
	v_lshrrev_b32_e32 v115, v113, v112
	v_lshlrev_b32_e64 v117, v113, 0x80000
	v_add_nc_u32_e32 v113, v113, v102
	v_and_b32_e32 v112, v114, v112
	v_bfe_u32 v116, v115, 20, 1
	v_cmp_eq_u32_e64 s13, v112, v117
	v_add_nc_u32_e32 v114, -1, v116
	v_cndmask_b32_e64 v112, 0, v114, s13
	v_lshrrev_b32_e32 v114, 23, v115
	s_mov_b32 s13, exec_lo
	v_add_nc_u32_e32 v112, v112, v115
	v_xor_b32_e32 v114, 1, v114
	v_and_b32_e32 v102, 0xfffff, v112
	v_add_nc_u32_e32 v112, v102, v115
                                        ; implicit-def: $vgpr102
	v_cmpx_ne_u32_e64 v113, v114
	s_xor_b32 s13, exec_lo, s13
; %bb.7162:                             ;   in Loop: Header=BB4_7047 Depth=2
	v_cmp_lt_u32_e32 vcc_lo, 0xffffff, v112
	v_sub_nc_u32_e32 v102, v113, v114
	v_cndmask_b32_e64 v113, 0, 1, vcc_lo
	v_add_co_ci_u32_e64 v102, null, 0, v102, vcc_lo
	v_lshrrev_b32_e32 v112, v113, v112
; %bb.7163:                             ;   in Loop: Header=BB4_7047 Depth=2
	s_andn2_saveexec_b32 s13, s13
; %bb.7164:                             ;   in Loop: Header=BB4_7047 Depth=2
	v_bfe_u32 v102, v112, 23, 1
; %bb.7165:                             ;   in Loop: Header=BB4_7047 Depth=2
	s_or_b32 exec_lo, exec_lo, s13
	v_lshrrev_b32_e32 v112, 20, v112
	v_cmp_gt_i32_e32 vcc_lo, 16, v102
	v_min_i32_e32 v113, 15, v102
	v_and_b32_sdwa v103, v103, v82 dst_sel:DWORD dst_unused:UNUSED_PAD src0_sel:BYTE_3 src1_sel:DWORD
	v_cndmask_b32_e32 v112, 7, v112, vcc_lo
	v_lshlrev_b32_e32 v113, 3, v113
	v_and_b32_e32 v114, 7, v112
	v_or_b32_e32 v102, v102, v112
	v_or3_b32 v103, v113, v103, v114
	v_cmp_ne_u32_e32 vcc_lo, 0, v102
	v_cndmask_b32_e32 v102, 0, v103, vcc_lo
.LBB4_7166:                             ;   in Loop: Header=BB4_7047 Depth=2
	s_or_b32 exec_lo, exec_lo, s27
.LBB4_7167:                             ;   in Loop: Header=BB4_7047 Depth=2
	s_or_b32 exec_lo, exec_lo, s26
	flat_load_ubyte v103, v[10:11] offset:256 slc
	s_mov_b32 s13, 0
	s_mov_b32 s26, exec_lo
	s_waitcnt vmcnt(0) lgkmcnt(0)
	v_cmpx_lt_i16_e32 0x7f, v103
	s_xor_b32 s26, exec_lo, s26
	s_cbranch_execz .LBB4_7293
; %bb.7168:                             ;   in Loop: Header=BB4_7047 Depth=2
	s_mov_b32 s13, -1
	s_mov_b32 s27, exec_lo
	v_cmpx_eq_u16_e32 0x80, v103
; %bb.7169:                             ;   in Loop: Header=BB4_7047 Depth=2
	s_xor_b32 s13, exec_lo, -1
; %bb.7170:                             ;   in Loop: Header=BB4_7047 Depth=2
	s_or_b32 exec_lo, exec_lo, s27
	s_and_b32 s13, s13, exec_lo
	s_or_saveexec_b32 s26, s26
	v_mov_b32_e32 v112, 0x7f800001
	s_xor_b32 exec_lo, exec_lo, s26
	s_cbranch_execnz .LBB4_7294
.LBB4_7171:                             ;   in Loop: Header=BB4_7047 Depth=2
	s_or_b32 exec_lo, exec_lo, s26
	s_and_saveexec_b32 s26, s13
	s_cbranch_execz .LBB4_7173
.LBB4_7172:                             ;   in Loop: Header=BB4_7047 Depth=2
	v_and_b32_e32 v112, 0xffff, v103
	v_lshlrev_b32_e32 v103, 24, v103
	v_and_b32_e32 v113, 7, v112
	v_bfe_u32 v116, v112, 3, 4
	v_and_b32_e32 v103, 0x80000000, v103
	v_ffbh_u32_e32 v114, v113
	v_cmp_eq_u32_e32 vcc_lo, 0, v116
	v_min_u32_e32 v114, 32, v114
	v_subrev_nc_u32_e32 v115, 28, v114
	v_sub_nc_u32_e32 v114, 29, v114
	v_lshlrev_b32_e32 v112, v115, v112
	v_cndmask_b32_e32 v114, v116, v114, vcc_lo
	v_and_b32_e32 v112, 7, v112
	v_cndmask_b32_e32 v112, v113, v112, vcc_lo
	v_lshl_add_u32 v113, v114, 23, 0x3b800000
	v_lshlrev_b32_e32 v112, 20, v112
	v_or3_b32 v112, v103, v113, v112
.LBB4_7173:                             ;   in Loop: Header=BB4_7047 Depth=2
	s_or_b32 exec_lo, exec_lo, s26
	v_mul_f32_e32 v112, v55, v112
	v_and_b32_e32 v103, 0x7f800000, v112
	v_cmp_ne_u32_e32 vcc_lo, 0x7f800000, v103
	v_mov_b32_e32 v103, 0x80
	s_and_saveexec_b32 s26, vcc_lo
	s_cbranch_execz .LBB4_7181
; %bb.7174:                             ;   in Loop: Header=BB4_7047 Depth=2
	v_mov_b32_e32 v103, 0
	s_mov_b32 s27, exec_lo
	v_cmpx_ne_u32_e32 0, v112
	s_cbranch_execz .LBB4_7180
; %bb.7175:                             ;   in Loop: Header=BB4_7047 Depth=2
	v_bfe_u32 v103, v112, 23, 8
	v_and_b32_e32 v113, 0x7fffff, v112
	v_sub_nc_u32_e32 v114, 0x78, v103
	v_cmp_gt_u32_e32 vcc_lo, 0x79, v103
	v_or_b32_e32 v115, 0x800000, v113
	v_cndmask_b32_e32 v114, 0, v114, vcc_lo
	v_cmp_eq_u32_e32 vcc_lo, 0, v103
	v_add_nc_u32_e32 v103, 0xffffff89, v103
	v_cndmask_b32_e64 v114, v114, 0x77, vcc_lo
	v_cndmask_b32_e32 v113, v115, v113, vcc_lo
	v_cndmask_b32_e64 v103, v103, 0xffffff8a, vcc_lo
	v_lshl_add_u32 v115, 0x100000, v114, -1
	v_lshrrev_b32_e32 v116, v114, v113
	v_lshlrev_b32_e64 v118, v114, 0x80000
	v_add_nc_u32_e32 v114, v114, v103
	v_and_b32_e32 v113, v115, v113
	v_bfe_u32 v117, v116, 20, 1
	v_cmp_eq_u32_e64 s13, v113, v118
	v_add_nc_u32_e32 v115, -1, v117
	v_cndmask_b32_e64 v113, 0, v115, s13
	v_lshrrev_b32_e32 v115, 23, v116
	s_mov_b32 s13, exec_lo
	v_add_nc_u32_e32 v113, v113, v116
	v_xor_b32_e32 v115, 1, v115
	v_and_b32_e32 v103, 0xfffff, v113
	v_add_nc_u32_e32 v113, v103, v116
                                        ; implicit-def: $vgpr103
	v_cmpx_ne_u32_e64 v114, v115
	s_xor_b32 s13, exec_lo, s13
; %bb.7176:                             ;   in Loop: Header=BB4_7047 Depth=2
	v_cmp_lt_u32_e32 vcc_lo, 0xffffff, v113
	v_sub_nc_u32_e32 v103, v114, v115
	v_cndmask_b32_e64 v114, 0, 1, vcc_lo
	v_add_co_ci_u32_e64 v103, null, 0, v103, vcc_lo
	v_lshrrev_b32_e32 v113, v114, v113
; %bb.7177:                             ;   in Loop: Header=BB4_7047 Depth=2
	s_andn2_saveexec_b32 s13, s13
; %bb.7178:                             ;   in Loop: Header=BB4_7047 Depth=2
	v_bfe_u32 v103, v113, 23, 1
; %bb.7179:                             ;   in Loop: Header=BB4_7047 Depth=2
	s_or_b32 exec_lo, exec_lo, s13
	v_lshrrev_b32_e32 v113, 20, v113
	v_cmp_gt_i32_e32 vcc_lo, 16, v103
	v_min_i32_e32 v114, 15, v103
	v_and_b32_sdwa v112, v112, v82 dst_sel:DWORD dst_unused:UNUSED_PAD src0_sel:BYTE_3 src1_sel:DWORD
	v_cndmask_b32_e32 v113, 7, v113, vcc_lo
	v_lshlrev_b32_e32 v114, 3, v114
	v_and_b32_e32 v115, 7, v113
	v_or_b32_e32 v103, v103, v113
	v_or3_b32 v112, v114, v112, v115
	v_cmp_ne_u32_e32 vcc_lo, 0, v103
	v_cndmask_b32_e32 v103, 0, v112, vcc_lo
.LBB4_7180:                             ;   in Loop: Header=BB4_7047 Depth=2
	s_or_b32 exec_lo, exec_lo, s27
.LBB4_7181:                             ;   in Loop: Header=BB4_7047 Depth=2
	s_or_b32 exec_lo, exec_lo, s26
	flat_load_ubyte v112, v[10:11] offset:288 slc
	s_mov_b32 s13, 0
	s_mov_b32 s26, exec_lo
	s_waitcnt vmcnt(0) lgkmcnt(0)
	v_cmpx_lt_i16_e32 0x7f, v112
	s_xor_b32 s26, exec_lo, s26
	s_cbranch_execz .LBB4_7295
; %bb.7182:                             ;   in Loop: Header=BB4_7047 Depth=2
	s_mov_b32 s13, -1
	s_mov_b32 s27, exec_lo
	v_cmpx_eq_u16_e32 0x80, v112
; %bb.7183:                             ;   in Loop: Header=BB4_7047 Depth=2
	s_xor_b32 s13, exec_lo, -1
; %bb.7184:                             ;   in Loop: Header=BB4_7047 Depth=2
	s_or_b32 exec_lo, exec_lo, s27
	s_and_b32 s13, s13, exec_lo
	s_or_saveexec_b32 s26, s26
	v_mov_b32_e32 v113, 0x7f800001
	s_xor_b32 exec_lo, exec_lo, s26
	s_cbranch_execnz .LBB4_7296
.LBB4_7185:                             ;   in Loop: Header=BB4_7047 Depth=2
	s_or_b32 exec_lo, exec_lo, s26
	s_and_saveexec_b32 s26, s13
	s_cbranch_execz .LBB4_7187
.LBB4_7186:                             ;   in Loop: Header=BB4_7047 Depth=2
	v_and_b32_e32 v113, 0xffff, v112
	v_lshlrev_b32_e32 v112, 24, v112
	v_and_b32_e32 v114, 7, v113
	v_bfe_u32 v117, v113, 3, 4
	v_and_b32_e32 v112, 0x80000000, v112
	v_ffbh_u32_e32 v115, v114
	v_cmp_eq_u32_e32 vcc_lo, 0, v117
	v_min_u32_e32 v115, 32, v115
	v_subrev_nc_u32_e32 v116, 28, v115
	v_sub_nc_u32_e32 v115, 29, v115
	v_lshlrev_b32_e32 v113, v116, v113
	v_cndmask_b32_e32 v115, v117, v115, vcc_lo
	v_and_b32_e32 v113, 7, v113
	v_cndmask_b32_e32 v113, v114, v113, vcc_lo
	v_lshl_add_u32 v114, v115, 23, 0x3b800000
	v_lshlrev_b32_e32 v113, 20, v113
	v_or3_b32 v113, v112, v114, v113
.LBB4_7187:                             ;   in Loop: Header=BB4_7047 Depth=2
	s_or_b32 exec_lo, exec_lo, s26
	v_mul_f32_e32 v113, v55, v113
	v_and_b32_e32 v112, 0x7f800000, v113
	v_cmp_ne_u32_e32 vcc_lo, 0x7f800000, v112
	v_mov_b32_e32 v112, 0x80
	s_and_saveexec_b32 s26, vcc_lo
	s_cbranch_execz .LBB4_7195
; %bb.7188:                             ;   in Loop: Header=BB4_7047 Depth=2
	v_mov_b32_e32 v112, 0
	s_mov_b32 s27, exec_lo
	v_cmpx_ne_u32_e32 0, v113
	s_cbranch_execz .LBB4_7194
; %bb.7189:                             ;   in Loop: Header=BB4_7047 Depth=2
	v_bfe_u32 v112, v113, 23, 8
	v_and_b32_e32 v114, 0x7fffff, v113
	v_sub_nc_u32_e32 v115, 0x78, v112
	v_cmp_gt_u32_e32 vcc_lo, 0x79, v112
	v_or_b32_e32 v116, 0x800000, v114
	v_cndmask_b32_e32 v115, 0, v115, vcc_lo
	v_cmp_eq_u32_e32 vcc_lo, 0, v112
	v_add_nc_u32_e32 v112, 0xffffff89, v112
	v_cndmask_b32_e64 v115, v115, 0x77, vcc_lo
	v_cndmask_b32_e32 v114, v116, v114, vcc_lo
	v_cndmask_b32_e64 v112, v112, 0xffffff8a, vcc_lo
	v_lshl_add_u32 v116, 0x100000, v115, -1
	v_lshrrev_b32_e32 v117, v115, v114
	v_lshlrev_b32_e64 v119, v115, 0x80000
	v_add_nc_u32_e32 v115, v115, v112
	v_and_b32_e32 v114, v116, v114
	v_bfe_u32 v118, v117, 20, 1
	v_cmp_eq_u32_e64 s13, v114, v119
	v_add_nc_u32_e32 v116, -1, v118
	v_cndmask_b32_e64 v114, 0, v116, s13
	v_lshrrev_b32_e32 v116, 23, v117
	s_mov_b32 s13, exec_lo
	v_add_nc_u32_e32 v114, v114, v117
	v_xor_b32_e32 v116, 1, v116
	v_and_b32_e32 v112, 0xfffff, v114
	v_add_nc_u32_e32 v114, v112, v117
                                        ; implicit-def: $vgpr112
	v_cmpx_ne_u32_e64 v115, v116
	s_xor_b32 s13, exec_lo, s13
; %bb.7190:                             ;   in Loop: Header=BB4_7047 Depth=2
	v_cmp_lt_u32_e32 vcc_lo, 0xffffff, v114
	v_sub_nc_u32_e32 v112, v115, v116
	v_cndmask_b32_e64 v115, 0, 1, vcc_lo
	v_add_co_ci_u32_e64 v112, null, 0, v112, vcc_lo
	v_lshrrev_b32_e32 v114, v115, v114
; %bb.7191:                             ;   in Loop: Header=BB4_7047 Depth=2
	s_andn2_saveexec_b32 s13, s13
; %bb.7192:                             ;   in Loop: Header=BB4_7047 Depth=2
	v_bfe_u32 v112, v114, 23, 1
; %bb.7193:                             ;   in Loop: Header=BB4_7047 Depth=2
	s_or_b32 exec_lo, exec_lo, s13
	v_lshrrev_b32_e32 v114, 20, v114
	v_cmp_gt_i32_e32 vcc_lo, 16, v112
	v_min_i32_e32 v115, 15, v112
	v_and_b32_sdwa v113, v113, v82 dst_sel:DWORD dst_unused:UNUSED_PAD src0_sel:BYTE_3 src1_sel:DWORD
	v_cndmask_b32_e32 v114, 7, v114, vcc_lo
	v_lshlrev_b32_e32 v115, 3, v115
	v_and_b32_e32 v116, 7, v114
	v_or_b32_e32 v112, v112, v114
	v_or3_b32 v113, v115, v113, v116
	v_cmp_ne_u32_e32 vcc_lo, 0, v112
	v_cndmask_b32_e32 v112, 0, v113, vcc_lo
.LBB4_7194:                             ;   in Loop: Header=BB4_7047 Depth=2
	s_or_b32 exec_lo, exec_lo, s27
.LBB4_7195:                             ;   in Loop: Header=BB4_7047 Depth=2
	s_or_b32 exec_lo, exec_lo, s26
	flat_load_ubyte v113, v[10:11] offset:320 slc
	s_mov_b32 s13, 0
	s_mov_b32 s26, exec_lo
	s_waitcnt vmcnt(0) lgkmcnt(0)
	v_cmpx_lt_i16_e32 0x7f, v113
	s_xor_b32 s26, exec_lo, s26
	s_cbranch_execz .LBB4_7297
; %bb.7196:                             ;   in Loop: Header=BB4_7047 Depth=2
	s_mov_b32 s13, -1
	s_mov_b32 s27, exec_lo
	v_cmpx_eq_u16_e32 0x80, v113
; %bb.7197:                             ;   in Loop: Header=BB4_7047 Depth=2
	s_xor_b32 s13, exec_lo, -1
; %bb.7198:                             ;   in Loop: Header=BB4_7047 Depth=2
	s_or_b32 exec_lo, exec_lo, s27
	s_and_b32 s13, s13, exec_lo
	s_or_saveexec_b32 s26, s26
	v_mov_b32_e32 v114, 0x7f800001
	s_xor_b32 exec_lo, exec_lo, s26
	s_cbranch_execnz .LBB4_7298
.LBB4_7199:                             ;   in Loop: Header=BB4_7047 Depth=2
	s_or_b32 exec_lo, exec_lo, s26
	s_and_saveexec_b32 s26, s13
	s_cbranch_execz .LBB4_7201
.LBB4_7200:                             ;   in Loop: Header=BB4_7047 Depth=2
	v_and_b32_e32 v114, 0xffff, v113
	v_lshlrev_b32_e32 v113, 24, v113
	v_and_b32_e32 v115, 7, v114
	v_bfe_u32 v118, v114, 3, 4
	v_and_b32_e32 v113, 0x80000000, v113
	v_ffbh_u32_e32 v116, v115
	v_cmp_eq_u32_e32 vcc_lo, 0, v118
	v_min_u32_e32 v116, 32, v116
	v_subrev_nc_u32_e32 v117, 28, v116
	v_sub_nc_u32_e32 v116, 29, v116
	v_lshlrev_b32_e32 v114, v117, v114
	v_cndmask_b32_e32 v116, v118, v116, vcc_lo
	v_and_b32_e32 v114, 7, v114
	v_cndmask_b32_e32 v114, v115, v114, vcc_lo
	v_lshl_add_u32 v115, v116, 23, 0x3b800000
	v_lshlrev_b32_e32 v114, 20, v114
	v_or3_b32 v114, v113, v115, v114
.LBB4_7201:                             ;   in Loop: Header=BB4_7047 Depth=2
	s_or_b32 exec_lo, exec_lo, s26
	v_mul_f32_e32 v114, v55, v114
	v_and_b32_e32 v113, 0x7f800000, v114
	v_cmp_ne_u32_e32 vcc_lo, 0x7f800000, v113
	v_mov_b32_e32 v113, 0x80
	s_and_saveexec_b32 s26, vcc_lo
	s_cbranch_execz .LBB4_7209
; %bb.7202:                             ;   in Loop: Header=BB4_7047 Depth=2
	v_mov_b32_e32 v113, 0
	s_mov_b32 s27, exec_lo
	v_cmpx_ne_u32_e32 0, v114
	s_cbranch_execz .LBB4_7208
; %bb.7203:                             ;   in Loop: Header=BB4_7047 Depth=2
	v_bfe_u32 v113, v114, 23, 8
	v_and_b32_e32 v115, 0x7fffff, v114
	v_sub_nc_u32_e32 v116, 0x78, v113
	v_cmp_gt_u32_e32 vcc_lo, 0x79, v113
	v_or_b32_e32 v117, 0x800000, v115
	v_cndmask_b32_e32 v116, 0, v116, vcc_lo
	v_cmp_eq_u32_e32 vcc_lo, 0, v113
	v_add_nc_u32_e32 v113, 0xffffff89, v113
	v_cndmask_b32_e64 v116, v116, 0x77, vcc_lo
	v_cndmask_b32_e32 v115, v117, v115, vcc_lo
	v_cndmask_b32_e64 v113, v113, 0xffffff8a, vcc_lo
	v_lshl_add_u32 v117, 0x100000, v116, -1
	v_lshrrev_b32_e32 v118, v116, v115
	v_lshlrev_b32_e64 v40, v116, 0x80000
	v_add_nc_u32_e32 v116, v116, v113
	v_and_b32_e32 v115, v117, v115
	v_bfe_u32 v119, v118, 20, 1
	v_cmp_eq_u32_e64 s13, v115, v40
	v_add_nc_u32_e32 v117, -1, v119
	v_cndmask_b32_e64 v115, 0, v117, s13
	v_lshrrev_b32_e32 v117, 23, v118
	s_mov_b32 s13, exec_lo
	v_add_nc_u32_e32 v115, v115, v118
	v_xor_b32_e32 v117, 1, v117
	v_and_b32_e32 v113, 0xfffff, v115
	v_add_nc_u32_e32 v115, v113, v118
                                        ; implicit-def: $vgpr113
	v_cmpx_ne_u32_e64 v116, v117
	s_xor_b32 s13, exec_lo, s13
; %bb.7204:                             ;   in Loop: Header=BB4_7047 Depth=2
	v_cmp_lt_u32_e32 vcc_lo, 0xffffff, v115
	v_sub_nc_u32_e32 v113, v116, v117
	v_cndmask_b32_e64 v116, 0, 1, vcc_lo
	v_add_co_ci_u32_e64 v113, null, 0, v113, vcc_lo
	v_lshrrev_b32_e32 v115, v116, v115
; %bb.7205:                             ;   in Loop: Header=BB4_7047 Depth=2
	s_andn2_saveexec_b32 s13, s13
; %bb.7206:                             ;   in Loop: Header=BB4_7047 Depth=2
	v_bfe_u32 v113, v115, 23, 1
; %bb.7207:                             ;   in Loop: Header=BB4_7047 Depth=2
	s_or_b32 exec_lo, exec_lo, s13
	v_lshrrev_b32_e32 v115, 20, v115
	v_cmp_gt_i32_e32 vcc_lo, 16, v113
	v_min_i32_e32 v116, 15, v113
	v_and_b32_sdwa v114, v114, v82 dst_sel:DWORD dst_unused:UNUSED_PAD src0_sel:BYTE_3 src1_sel:DWORD
	v_cndmask_b32_e32 v115, 7, v115, vcc_lo
	v_lshlrev_b32_e32 v116, 3, v116
	v_and_b32_e32 v117, 7, v115
	v_or_b32_e32 v113, v113, v115
	v_or3_b32 v114, v116, v114, v117
	v_cmp_ne_u32_e32 vcc_lo, 0, v113
	v_cndmask_b32_e32 v113, 0, v114, vcc_lo
.LBB4_7208:                             ;   in Loop: Header=BB4_7047 Depth=2
	s_or_b32 exec_lo, exec_lo, s27
.LBB4_7209:                             ;   in Loop: Header=BB4_7047 Depth=2
	s_or_b32 exec_lo, exec_lo, s26
	flat_load_ubyte v114, v[10:11] offset:352 slc
	s_mov_b32 s13, 0
	s_mov_b32 s26, exec_lo
	s_waitcnt vmcnt(0) lgkmcnt(0)
	v_cmpx_lt_i16_e32 0x7f, v114
	s_xor_b32 s26, exec_lo, s26
	s_cbranch_execz .LBB4_7299
; %bb.7210:                             ;   in Loop: Header=BB4_7047 Depth=2
	s_mov_b32 s13, -1
	s_mov_b32 s27, exec_lo
	v_cmpx_eq_u16_e32 0x80, v114
; %bb.7211:                             ;   in Loop: Header=BB4_7047 Depth=2
	s_xor_b32 s13, exec_lo, -1
; %bb.7212:                             ;   in Loop: Header=BB4_7047 Depth=2
	s_or_b32 exec_lo, exec_lo, s27
	s_and_b32 s13, s13, exec_lo
	s_or_saveexec_b32 s26, s26
	v_mov_b32_e32 v115, 0x7f800001
	s_xor_b32 exec_lo, exec_lo, s26
	s_cbranch_execnz .LBB4_7300
.LBB4_7213:                             ;   in Loop: Header=BB4_7047 Depth=2
	s_or_b32 exec_lo, exec_lo, s26
	s_and_saveexec_b32 s26, s13
	s_cbranch_execz .LBB4_7215
.LBB4_7214:                             ;   in Loop: Header=BB4_7047 Depth=2
	v_and_b32_e32 v115, 0xffff, v114
	v_lshlrev_b32_e32 v114, 24, v114
	v_and_b32_e32 v116, 7, v115
	v_bfe_u32 v119, v115, 3, 4
	v_and_b32_e32 v114, 0x80000000, v114
	v_ffbh_u32_e32 v117, v116
	v_cmp_eq_u32_e32 vcc_lo, 0, v119
	v_min_u32_e32 v117, 32, v117
	v_subrev_nc_u32_e32 v118, 28, v117
	v_sub_nc_u32_e32 v117, 29, v117
	v_lshlrev_b32_e32 v115, v118, v115
	v_cndmask_b32_e32 v117, v119, v117, vcc_lo
	v_and_b32_e32 v115, 7, v115
	v_cndmask_b32_e32 v115, v116, v115, vcc_lo
	v_lshl_add_u32 v116, v117, 23, 0x3b800000
	v_lshlrev_b32_e32 v115, 20, v115
	v_or3_b32 v115, v114, v116, v115
.LBB4_7215:                             ;   in Loop: Header=BB4_7047 Depth=2
	s_or_b32 exec_lo, exec_lo, s26
	v_mul_f32_e32 v115, v55, v115
	v_and_b32_e32 v114, 0x7f800000, v115
	v_cmp_ne_u32_e32 vcc_lo, 0x7f800000, v114
	v_mov_b32_e32 v114, 0x80
	s_and_saveexec_b32 s26, vcc_lo
	s_cbranch_execz .LBB4_7223
; %bb.7216:                             ;   in Loop: Header=BB4_7047 Depth=2
	v_mov_b32_e32 v114, 0
	s_mov_b32 s27, exec_lo
	v_cmpx_ne_u32_e32 0, v115
	s_cbranch_execz .LBB4_7222
; %bb.7217:                             ;   in Loop: Header=BB4_7047 Depth=2
	v_bfe_u32 v114, v115, 23, 8
	v_and_b32_e32 v116, 0x7fffff, v115
	v_sub_nc_u32_e32 v117, 0x78, v114
	v_cmp_gt_u32_e32 vcc_lo, 0x79, v114
	v_or_b32_e32 v118, 0x800000, v116
	v_cndmask_b32_e32 v117, 0, v117, vcc_lo
	v_cmp_eq_u32_e32 vcc_lo, 0, v114
	v_add_nc_u32_e32 v114, 0xffffff89, v114
	v_cndmask_b32_e64 v117, v117, 0x77, vcc_lo
	v_cndmask_b32_e32 v116, v118, v116, vcc_lo
	v_cndmask_b32_e64 v114, v114, 0xffffff8a, vcc_lo
	v_lshl_add_u32 v118, 0x100000, v117, -1
	v_lshrrev_b32_e32 v119, v117, v116
	v_lshlrev_b32_e64 v41, v117, 0x80000
	v_add_nc_u32_e32 v117, v117, v114
	v_and_b32_e32 v116, v118, v116
	v_bfe_u32 v40, v119, 20, 1
	v_cmp_eq_u32_e64 s13, v116, v41
	v_add_nc_u32_e32 v118, -1, v40
	v_cndmask_b32_e64 v116, 0, v118, s13
	v_lshrrev_b32_e32 v118, 23, v119
	s_mov_b32 s13, exec_lo
	v_add_nc_u32_e32 v116, v116, v119
	v_xor_b32_e32 v118, 1, v118
	v_and_b32_e32 v114, 0xfffff, v116
	v_add_nc_u32_e32 v116, v114, v119
                                        ; implicit-def: $vgpr114
	v_cmpx_ne_u32_e64 v117, v118
	s_xor_b32 s13, exec_lo, s13
; %bb.7218:                             ;   in Loop: Header=BB4_7047 Depth=2
	v_cmp_lt_u32_e32 vcc_lo, 0xffffff, v116
	v_sub_nc_u32_e32 v114, v117, v118
	v_cndmask_b32_e64 v117, 0, 1, vcc_lo
	v_add_co_ci_u32_e64 v114, null, 0, v114, vcc_lo
	v_lshrrev_b32_e32 v116, v117, v116
; %bb.7219:                             ;   in Loop: Header=BB4_7047 Depth=2
	s_andn2_saveexec_b32 s13, s13
; %bb.7220:                             ;   in Loop: Header=BB4_7047 Depth=2
	v_bfe_u32 v114, v116, 23, 1
; %bb.7221:                             ;   in Loop: Header=BB4_7047 Depth=2
	s_or_b32 exec_lo, exec_lo, s13
	v_lshrrev_b32_e32 v116, 20, v116
	v_cmp_gt_i32_e32 vcc_lo, 16, v114
	v_min_i32_e32 v117, 15, v114
	v_and_b32_sdwa v115, v115, v82 dst_sel:DWORD dst_unused:UNUSED_PAD src0_sel:BYTE_3 src1_sel:DWORD
	v_cndmask_b32_e32 v116, 7, v116, vcc_lo
	v_lshlrev_b32_e32 v117, 3, v117
	v_and_b32_e32 v118, 7, v116
	v_or_b32_e32 v114, v114, v116
	v_or3_b32 v115, v117, v115, v118
	v_cmp_ne_u32_e32 vcc_lo, 0, v114
	v_cndmask_b32_e32 v114, 0, v115, vcc_lo
.LBB4_7222:                             ;   in Loop: Header=BB4_7047 Depth=2
	s_or_b32 exec_lo, exec_lo, s27
.LBB4_7223:                             ;   in Loop: Header=BB4_7047 Depth=2
	s_or_b32 exec_lo, exec_lo, s26
	flat_load_ubyte v115, v[10:11] offset:384 slc
	s_mov_b32 s13, 0
	s_mov_b32 s26, exec_lo
	s_waitcnt vmcnt(0) lgkmcnt(0)
	v_cmpx_lt_i16_e32 0x7f, v115
	s_xor_b32 s26, exec_lo, s26
	s_cbranch_execz .LBB4_7301
; %bb.7224:                             ;   in Loop: Header=BB4_7047 Depth=2
	s_mov_b32 s13, -1
	s_mov_b32 s27, exec_lo
	v_cmpx_eq_u16_e32 0x80, v115
; %bb.7225:                             ;   in Loop: Header=BB4_7047 Depth=2
	s_xor_b32 s13, exec_lo, -1
; %bb.7226:                             ;   in Loop: Header=BB4_7047 Depth=2
	s_or_b32 exec_lo, exec_lo, s27
	s_and_b32 s13, s13, exec_lo
	s_or_saveexec_b32 s26, s26
	v_mov_b32_e32 v116, 0x7f800001
	s_xor_b32 exec_lo, exec_lo, s26
	s_cbranch_execnz .LBB4_7302
.LBB4_7227:                             ;   in Loop: Header=BB4_7047 Depth=2
	s_or_b32 exec_lo, exec_lo, s26
	s_and_saveexec_b32 s26, s13
	s_cbranch_execz .LBB4_7229
.LBB4_7228:                             ;   in Loop: Header=BB4_7047 Depth=2
	v_and_b32_e32 v116, 0xffff, v115
	v_lshlrev_b32_e32 v115, 24, v115
	v_and_b32_e32 v117, 7, v116
	v_bfe_u32 v40, v116, 3, 4
	v_and_b32_e32 v115, 0x80000000, v115
	v_ffbh_u32_e32 v118, v117
	v_cmp_eq_u32_e32 vcc_lo, 0, v40
	v_min_u32_e32 v118, 32, v118
	v_subrev_nc_u32_e32 v119, 28, v118
	v_sub_nc_u32_e32 v118, 29, v118
	v_lshlrev_b32_e32 v116, v119, v116
	v_cndmask_b32_e32 v118, v40, v118, vcc_lo
	v_and_b32_e32 v116, 7, v116
	v_cndmask_b32_e32 v116, v117, v116, vcc_lo
	v_lshl_add_u32 v117, v118, 23, 0x3b800000
	v_lshlrev_b32_e32 v116, 20, v116
	v_or3_b32 v116, v115, v117, v116
.LBB4_7229:                             ;   in Loop: Header=BB4_7047 Depth=2
	s_or_b32 exec_lo, exec_lo, s26
	v_mul_f32_e32 v116, v55, v116
	v_and_b32_e32 v115, 0x7f800000, v116
	v_cmp_ne_u32_e32 vcc_lo, 0x7f800000, v115
	v_mov_b32_e32 v115, 0x80
	s_and_saveexec_b32 s26, vcc_lo
	s_cbranch_execz .LBB4_7237
; %bb.7230:                             ;   in Loop: Header=BB4_7047 Depth=2
	v_mov_b32_e32 v115, 0
	s_mov_b32 s27, exec_lo
	v_cmpx_ne_u32_e32 0, v116
	s_cbranch_execz .LBB4_7236
; %bb.7231:                             ;   in Loop: Header=BB4_7047 Depth=2
	v_bfe_u32 v115, v116, 23, 8
	v_and_b32_e32 v117, 0x7fffff, v116
	v_sub_nc_u32_e32 v118, 0x78, v115
	v_cmp_gt_u32_e32 vcc_lo, 0x79, v115
	v_or_b32_e32 v119, 0x800000, v117
	v_cndmask_b32_e32 v118, 0, v118, vcc_lo
	v_cmp_eq_u32_e32 vcc_lo, 0, v115
	v_add_nc_u32_e32 v115, 0xffffff89, v115
	v_cndmask_b32_e64 v118, v118, 0x77, vcc_lo
	v_cndmask_b32_e32 v117, v119, v117, vcc_lo
	v_cndmask_b32_e64 v115, v115, 0xffffff8a, vcc_lo
	v_lshl_add_u32 v119, 0x100000, v118, -1
	v_lshrrev_b32_e32 v40, v118, v117
	v_lshlrev_b32_e64 v42, v118, 0x80000
	v_add_nc_u32_e32 v118, v118, v115
	v_and_b32_e32 v117, v119, v117
	v_bfe_u32 v41, v40, 20, 1
	v_cmp_eq_u32_e64 s13, v117, v42
	v_add_nc_u32_e32 v119, -1, v41
	v_cndmask_b32_e64 v117, 0, v119, s13
	v_lshrrev_b32_e32 v119, 23, v40
	s_mov_b32 s13, exec_lo
	v_add_nc_u32_e32 v117, v117, v40
	v_xor_b32_e32 v119, 1, v119
	v_and_b32_e32 v115, 0xfffff, v117
	v_add_nc_u32_e32 v117, v115, v40
                                        ; implicit-def: $vgpr115
	v_cmpx_ne_u32_e64 v118, v119
	s_xor_b32 s13, exec_lo, s13
; %bb.7232:                             ;   in Loop: Header=BB4_7047 Depth=2
	v_cmp_lt_u32_e32 vcc_lo, 0xffffff, v117
	v_sub_nc_u32_e32 v115, v118, v119
	v_cndmask_b32_e64 v118, 0, 1, vcc_lo
	v_add_co_ci_u32_e64 v115, null, 0, v115, vcc_lo
	v_lshrrev_b32_e32 v117, v118, v117
; %bb.7233:                             ;   in Loop: Header=BB4_7047 Depth=2
	s_andn2_saveexec_b32 s13, s13
; %bb.7234:                             ;   in Loop: Header=BB4_7047 Depth=2
	v_bfe_u32 v115, v117, 23, 1
; %bb.7235:                             ;   in Loop: Header=BB4_7047 Depth=2
	s_or_b32 exec_lo, exec_lo, s13
	v_lshrrev_b32_e32 v117, 20, v117
	v_cmp_gt_i32_e32 vcc_lo, 16, v115
	v_min_i32_e32 v118, 15, v115
	v_and_b32_sdwa v116, v116, v82 dst_sel:DWORD dst_unused:UNUSED_PAD src0_sel:BYTE_3 src1_sel:DWORD
	v_cndmask_b32_e32 v117, 7, v117, vcc_lo
	v_lshlrev_b32_e32 v118, 3, v118
	v_and_b32_e32 v119, 7, v117
	v_or_b32_e32 v115, v115, v117
	v_or3_b32 v116, v118, v116, v119
	v_cmp_ne_u32_e32 vcc_lo, 0, v115
	v_cndmask_b32_e32 v115, 0, v116, vcc_lo
.LBB4_7236:                             ;   in Loop: Header=BB4_7047 Depth=2
	s_or_b32 exec_lo, exec_lo, s27
.LBB4_7237:                             ;   in Loop: Header=BB4_7047 Depth=2
	s_or_b32 exec_lo, exec_lo, s26
	flat_load_ubyte v116, v[10:11] offset:416 slc
	s_mov_b32 s13, 0
	s_mov_b32 s26, exec_lo
	s_waitcnt vmcnt(0) lgkmcnt(0)
	v_cmpx_lt_i16_e32 0x7f, v116
	s_xor_b32 s26, exec_lo, s26
	s_cbranch_execz .LBB4_7303
; %bb.7238:                             ;   in Loop: Header=BB4_7047 Depth=2
	s_mov_b32 s13, -1
	s_mov_b32 s27, exec_lo
	v_cmpx_eq_u16_e32 0x80, v116
; %bb.7239:                             ;   in Loop: Header=BB4_7047 Depth=2
	s_xor_b32 s13, exec_lo, -1
; %bb.7240:                             ;   in Loop: Header=BB4_7047 Depth=2
	s_or_b32 exec_lo, exec_lo, s27
	s_and_b32 s13, s13, exec_lo
	s_or_saveexec_b32 s26, s26
	v_mov_b32_e32 v117, 0x7f800001
	s_xor_b32 exec_lo, exec_lo, s26
	s_cbranch_execnz .LBB4_7304
.LBB4_7241:                             ;   in Loop: Header=BB4_7047 Depth=2
	s_or_b32 exec_lo, exec_lo, s26
	s_and_saveexec_b32 s26, s13
	s_cbranch_execz .LBB4_7243
.LBB4_7242:                             ;   in Loop: Header=BB4_7047 Depth=2
	v_and_b32_e32 v117, 0xffff, v116
	v_lshlrev_b32_e32 v116, 24, v116
	v_and_b32_e32 v118, 7, v117
	v_bfe_u32 v41, v117, 3, 4
	v_and_b32_e32 v116, 0x80000000, v116
	v_ffbh_u32_e32 v119, v118
	v_cmp_eq_u32_e32 vcc_lo, 0, v41
	v_min_u32_e32 v119, 32, v119
	v_subrev_nc_u32_e32 v40, 28, v119
	v_sub_nc_u32_e32 v119, 29, v119
	v_lshlrev_b32_e32 v117, v40, v117
	v_cndmask_b32_e32 v119, v41, v119, vcc_lo
	v_and_b32_e32 v117, 7, v117
	v_cndmask_b32_e32 v117, v118, v117, vcc_lo
	v_lshl_add_u32 v118, v119, 23, 0x3b800000
	v_lshlrev_b32_e32 v117, 20, v117
	v_or3_b32 v117, v116, v118, v117
.LBB4_7243:                             ;   in Loop: Header=BB4_7047 Depth=2
	s_or_b32 exec_lo, exec_lo, s26
	v_mul_f32_e32 v117, v55, v117
	v_and_b32_e32 v116, 0x7f800000, v117
	v_cmp_ne_u32_e32 vcc_lo, 0x7f800000, v116
	v_mov_b32_e32 v116, 0x80
	s_and_saveexec_b32 s26, vcc_lo
	s_cbranch_execz .LBB4_7251
; %bb.7244:                             ;   in Loop: Header=BB4_7047 Depth=2
	v_mov_b32_e32 v116, 0
	s_mov_b32 s27, exec_lo
	v_cmpx_ne_u32_e32 0, v117
	s_cbranch_execz .LBB4_7250
; %bb.7245:                             ;   in Loop: Header=BB4_7047 Depth=2
	v_bfe_u32 v116, v117, 23, 8
	v_and_b32_e32 v118, 0x7fffff, v117
	v_sub_nc_u32_e32 v119, 0x78, v116
	v_cmp_gt_u32_e32 vcc_lo, 0x79, v116
	v_or_b32_e32 v40, 0x800000, v118
	v_cndmask_b32_e32 v119, 0, v119, vcc_lo
	v_cmp_eq_u32_e32 vcc_lo, 0, v116
	v_add_nc_u32_e32 v116, 0xffffff89, v116
	v_cndmask_b32_e64 v119, v119, 0x77, vcc_lo
	v_cndmask_b32_e32 v118, v40, v118, vcc_lo
	v_cndmask_b32_e64 v116, v116, 0xffffff8a, vcc_lo
	v_lshl_add_u32 v40, 0x100000, v119, -1
	v_lshrrev_b32_e32 v41, v119, v118
	v_lshlrev_b32_e64 v43, v119, 0x80000
	v_add_nc_u32_e32 v119, v119, v116
	v_and_b32_e32 v118, v40, v118
	v_bfe_u32 v42, v41, 20, 1
	v_cmp_eq_u32_e64 s13, v118, v43
	v_add_nc_u32_e32 v40, -1, v42
	v_cndmask_b32_e64 v118, 0, v40, s13
	v_lshrrev_b32_e32 v40, 23, v41
	s_mov_b32 s13, exec_lo
	v_add_nc_u32_e32 v118, v118, v41
	v_xor_b32_e32 v40, 1, v40
	v_and_b32_e32 v116, 0xfffff, v118
	v_add_nc_u32_e32 v118, v116, v41
                                        ; implicit-def: $vgpr116
	v_cmpx_ne_u32_e64 v119, v40
	s_xor_b32 s13, exec_lo, s13
; %bb.7246:                             ;   in Loop: Header=BB4_7047 Depth=2
	v_cmp_lt_u32_e32 vcc_lo, 0xffffff, v118
	v_sub_nc_u32_e32 v116, v119, v40
	v_cndmask_b32_e64 v119, 0, 1, vcc_lo
	v_add_co_ci_u32_e64 v116, null, 0, v116, vcc_lo
	v_lshrrev_b32_e32 v118, v119, v118
; %bb.7247:                             ;   in Loop: Header=BB4_7047 Depth=2
	s_andn2_saveexec_b32 s13, s13
; %bb.7248:                             ;   in Loop: Header=BB4_7047 Depth=2
	v_bfe_u32 v116, v118, 23, 1
; %bb.7249:                             ;   in Loop: Header=BB4_7047 Depth=2
	s_or_b32 exec_lo, exec_lo, s13
	v_lshrrev_b32_e32 v118, 20, v118
	v_cmp_gt_i32_e32 vcc_lo, 16, v116
	v_min_i32_e32 v119, 15, v116
	v_and_b32_sdwa v117, v117, v82 dst_sel:DWORD dst_unused:UNUSED_PAD src0_sel:BYTE_3 src1_sel:DWORD
	v_cndmask_b32_e32 v118, 7, v118, vcc_lo
	v_lshlrev_b32_e32 v119, 3, v119
	v_and_b32_e32 v40, 7, v118
	v_or_b32_e32 v116, v116, v118
	v_or3_b32 v117, v119, v117, v40
	v_cmp_ne_u32_e32 vcc_lo, 0, v116
	v_cndmask_b32_e32 v116, 0, v117, vcc_lo
.LBB4_7250:                             ;   in Loop: Header=BB4_7047 Depth=2
	s_or_b32 exec_lo, exec_lo, s27
.LBB4_7251:                             ;   in Loop: Header=BB4_7047 Depth=2
	s_or_b32 exec_lo, exec_lo, s26
	flat_load_ubyte v117, v[10:11] offset:448 slc
	s_mov_b32 s13, 0
	s_mov_b32 s26, exec_lo
	s_waitcnt vmcnt(0) lgkmcnt(0)
	v_cmpx_lt_i16_e32 0x7f, v117
	s_xor_b32 s26, exec_lo, s26
	s_cbranch_execz .LBB4_7305
; %bb.7252:                             ;   in Loop: Header=BB4_7047 Depth=2
	s_mov_b32 s13, -1
	s_mov_b32 s27, exec_lo
	v_cmpx_eq_u16_e32 0x80, v117
; %bb.7253:                             ;   in Loop: Header=BB4_7047 Depth=2
	s_xor_b32 s13, exec_lo, -1
; %bb.7254:                             ;   in Loop: Header=BB4_7047 Depth=2
	s_or_b32 exec_lo, exec_lo, s27
	s_and_b32 s13, s13, exec_lo
	s_or_saveexec_b32 s26, s26
	v_mov_b32_e32 v118, 0x7f800001
	s_xor_b32 exec_lo, exec_lo, s26
	s_cbranch_execnz .LBB4_7306
.LBB4_7255:                             ;   in Loop: Header=BB4_7047 Depth=2
	s_or_b32 exec_lo, exec_lo, s26
	s_and_saveexec_b32 s26, s13
	s_cbranch_execz .LBB4_7257
.LBB4_7256:                             ;   in Loop: Header=BB4_7047 Depth=2
	v_and_b32_e32 v118, 0xffff, v117
	v_lshlrev_b32_e32 v117, 24, v117
	v_and_b32_e32 v119, 7, v118
	v_bfe_u32 v42, v118, 3, 4
	v_and_b32_e32 v117, 0x80000000, v117
	v_ffbh_u32_e32 v40, v119
	v_cmp_eq_u32_e32 vcc_lo, 0, v42
	v_min_u32_e32 v40, 32, v40
	v_subrev_nc_u32_e32 v41, 28, v40
	v_sub_nc_u32_e32 v40, 29, v40
	v_lshlrev_b32_e32 v118, v41, v118
	v_cndmask_b32_e32 v40, v42, v40, vcc_lo
	v_and_b32_e32 v118, 7, v118
	v_cndmask_b32_e32 v118, v119, v118, vcc_lo
	v_lshl_add_u32 v119, v40, 23, 0x3b800000
	v_lshlrev_b32_e32 v118, 20, v118
	v_or3_b32 v118, v117, v119, v118
.LBB4_7257:                             ;   in Loop: Header=BB4_7047 Depth=2
	s_or_b32 exec_lo, exec_lo, s26
	v_mul_f32_e32 v118, v55, v118
	v_and_b32_e32 v117, 0x7f800000, v118
	v_cmp_ne_u32_e32 vcc_lo, 0x7f800000, v117
	v_mov_b32_e32 v117, 0x80
	s_and_saveexec_b32 s26, vcc_lo
	s_cbranch_execz .LBB4_7265
; %bb.7258:                             ;   in Loop: Header=BB4_7047 Depth=2
	v_mov_b32_e32 v117, 0
	s_mov_b32 s27, exec_lo
	v_cmpx_ne_u32_e32 0, v118
	s_cbranch_execz .LBB4_7264
; %bb.7259:                             ;   in Loop: Header=BB4_7047 Depth=2
	v_bfe_u32 v117, v118, 23, 8
	v_and_b32_e32 v119, 0x7fffff, v118
	v_sub_nc_u32_e32 v40, 0x78, v117
	v_cmp_gt_u32_e32 vcc_lo, 0x79, v117
	v_or_b32_e32 v41, 0x800000, v119
	v_cndmask_b32_e32 v40, 0, v40, vcc_lo
	v_cmp_eq_u32_e32 vcc_lo, 0, v117
	v_add_nc_u32_e32 v117, 0xffffff89, v117
	v_cndmask_b32_e64 v40, v40, 0x77, vcc_lo
	v_cndmask_b32_e32 v119, v41, v119, vcc_lo
	v_cndmask_b32_e64 v117, v117, 0xffffff8a, vcc_lo
	v_lshl_add_u32 v41, 0x100000, v40, -1
	v_lshrrev_b32_e32 v42, v40, v119
	v_lshlrev_b32_e64 v44, v40, 0x80000
	v_add_nc_u32_e32 v40, v40, v117
	v_and_b32_e32 v119, v41, v119
	v_bfe_u32 v43, v42, 20, 1
	v_cmp_eq_u32_e64 s13, v119, v44
	v_add_nc_u32_e32 v41, -1, v43
	v_cndmask_b32_e64 v119, 0, v41, s13
	v_lshrrev_b32_e32 v41, 23, v42
	s_mov_b32 s13, exec_lo
	v_add_nc_u32_e32 v119, v119, v42
	v_xor_b32_e32 v41, 1, v41
	v_and_b32_e32 v117, 0xfffff, v119
	v_add_nc_u32_e32 v119, v117, v42
                                        ; implicit-def: $vgpr117
	v_cmpx_ne_u32_e64 v40, v41
	s_xor_b32 s13, exec_lo, s13
; %bb.7260:                             ;   in Loop: Header=BB4_7047 Depth=2
	v_cmp_lt_u32_e32 vcc_lo, 0xffffff, v119
	v_sub_nc_u32_e32 v117, v40, v41
	v_cndmask_b32_e64 v40, 0, 1, vcc_lo
	v_add_co_ci_u32_e64 v117, null, 0, v117, vcc_lo
	v_lshrrev_b32_e32 v119, v40, v119
; %bb.7261:                             ;   in Loop: Header=BB4_7047 Depth=2
	s_andn2_saveexec_b32 s13, s13
; %bb.7262:                             ;   in Loop: Header=BB4_7047 Depth=2
	v_bfe_u32 v117, v119, 23, 1
; %bb.7263:                             ;   in Loop: Header=BB4_7047 Depth=2
	s_or_b32 exec_lo, exec_lo, s13
	v_lshrrev_b32_e32 v119, 20, v119
	v_cmp_gt_i32_e32 vcc_lo, 16, v117
	v_min_i32_e32 v40, 15, v117
	v_and_b32_sdwa v118, v118, v82 dst_sel:DWORD dst_unused:UNUSED_PAD src0_sel:BYTE_3 src1_sel:DWORD
	v_cndmask_b32_e32 v119, 7, v119, vcc_lo
	v_lshlrev_b32_e32 v40, 3, v40
	v_and_b32_e32 v41, 7, v119
	v_or_b32_e32 v117, v117, v119
	v_or3_b32 v118, v40, v118, v41
	v_cmp_ne_u32_e32 vcc_lo, 0, v117
	v_cndmask_b32_e32 v117, 0, v118, vcc_lo
.LBB4_7264:                             ;   in Loop: Header=BB4_7047 Depth=2
	s_or_b32 exec_lo, exec_lo, s27
.LBB4_7265:                             ;   in Loop: Header=BB4_7047 Depth=2
	s_or_b32 exec_lo, exec_lo, s26
	flat_load_ubyte v10, v[10:11] offset:480 slc
	s_mov_b32 s13, 0
	s_mov_b32 s26, exec_lo
	s_waitcnt vmcnt(0) lgkmcnt(0)
	v_cmpx_lt_i16_e32 0x7f, v10
	s_xor_b32 s26, exec_lo, s26
	s_cbranch_execz .LBB4_7307
; %bb.7266:                             ;   in Loop: Header=BB4_7047 Depth=2
	s_mov_b32 s13, -1
	s_mov_b32 s27, exec_lo
	v_cmpx_eq_u16_e32 0x80, v10
; %bb.7267:                             ;   in Loop: Header=BB4_7047 Depth=2
	s_xor_b32 s13, exec_lo, -1
; %bb.7268:                             ;   in Loop: Header=BB4_7047 Depth=2
	s_or_b32 exec_lo, exec_lo, s27
	s_and_b32 s13, s13, exec_lo
	s_or_saveexec_b32 s26, s26
	v_mov_b32_e32 v11, 0x7f800001
	s_xor_b32 exec_lo, exec_lo, s26
	s_cbranch_execnz .LBB4_7308
.LBB4_7269:                             ;   in Loop: Header=BB4_7047 Depth=2
	s_or_b32 exec_lo, exec_lo, s26
	s_and_saveexec_b32 s26, s13
	s_cbranch_execz .LBB4_7271
.LBB4_7270:                             ;   in Loop: Header=BB4_7047 Depth=2
	v_and_b32_e32 v11, 0xffff, v10
	v_lshlrev_b32_e32 v10, 24, v10
	v_and_b32_e32 v118, 7, v11
	v_bfe_u32 v41, v11, 3, 4
	v_and_b32_e32 v10, 0x80000000, v10
	v_ffbh_u32_e32 v119, v118
	v_cmp_eq_u32_e32 vcc_lo, 0, v41
	v_min_u32_e32 v119, 32, v119
	v_subrev_nc_u32_e32 v40, 28, v119
	v_sub_nc_u32_e32 v119, 29, v119
	v_lshlrev_b32_e32 v11, v40, v11
	v_cndmask_b32_e32 v119, v41, v119, vcc_lo
	v_and_b32_e32 v11, 7, v11
	v_cndmask_b32_e32 v11, v118, v11, vcc_lo
	v_lshl_add_u32 v118, v119, 23, 0x3b800000
	v_lshlrev_b32_e32 v11, 20, v11
	v_or3_b32 v11, v10, v118, v11
.LBB4_7271:                             ;   in Loop: Header=BB4_7047 Depth=2
	s_or_b32 exec_lo, exec_lo, s26
	v_mul_f32_e32 v10, v55, v11
	v_and_b32_e32 v11, 0x7f800000, v10
	v_cmp_ne_u32_e32 vcc_lo, 0x7f800000, v11
	v_mov_b32_e32 v11, 0x80
	s_and_saveexec_b32 s26, vcc_lo
	s_cbranch_execz .LBB4_7046
; %bb.7272:                             ;   in Loop: Header=BB4_7047 Depth=2
	v_mov_b32_e32 v11, 0
	s_mov_b32 s27, exec_lo
	v_cmpx_ne_u32_e32 0, v10
	s_cbranch_execz .LBB4_7045
; %bb.7273:                             ;   in Loop: Header=BB4_7047 Depth=2
	v_bfe_u32 v11, v10, 23, 8
	v_and_b32_e32 v55, 0x7fffff, v10
	v_sub_nc_u32_e32 v118, 0x78, v11
	v_cmp_gt_u32_e32 vcc_lo, 0x79, v11
	v_or_b32_e32 v119, 0x800000, v55
	v_cndmask_b32_e32 v118, 0, v118, vcc_lo
	v_cmp_eq_u32_e32 vcc_lo, 0, v11
	v_add_nc_u32_e32 v11, 0xffffff89, v11
	v_cndmask_b32_e64 v118, v118, 0x77, vcc_lo
	v_cndmask_b32_e32 v55, v119, v55, vcc_lo
	v_cndmask_b32_e64 v11, v11, 0xffffff8a, vcc_lo
	v_lshl_add_u32 v119, 0x100000, v118, -1
	v_lshrrev_b32_e32 v40, v118, v55
	v_lshlrev_b32_e64 v42, v118, 0x80000
	v_add_nc_u32_e32 v118, v118, v11
	v_and_b32_e32 v55, v119, v55
	v_bfe_u32 v41, v40, 20, 1
	v_cmp_eq_u32_e64 s13, v55, v42
	v_add_nc_u32_e32 v119, -1, v41
	v_cndmask_b32_e64 v55, 0, v119, s13
	v_lshrrev_b32_e32 v119, 23, v40
	s_mov_b32 s13, exec_lo
	v_add_nc_u32_e32 v55, v55, v40
	v_xor_b32_e32 v119, 1, v119
	v_and_b32_e32 v11, 0xfffff, v55
	v_add_nc_u32_e32 v55, v11, v40
                                        ; implicit-def: $vgpr11
	v_cmpx_ne_u32_e64 v118, v119
	s_xor_b32 s13, exec_lo, s13
; %bb.7274:                             ;   in Loop: Header=BB4_7047 Depth=2
	v_cmp_lt_u32_e32 vcc_lo, 0xffffff, v55
	v_sub_nc_u32_e32 v11, v118, v119
	v_cndmask_b32_e64 v118, 0, 1, vcc_lo
	v_add_co_ci_u32_e64 v11, null, 0, v11, vcc_lo
	v_lshrrev_b32_e32 v55, v118, v55
; %bb.7275:                             ;   in Loop: Header=BB4_7047 Depth=2
	s_andn2_saveexec_b32 s13, s13
	s_cbranch_execz .LBB4_7044
; %bb.7276:                             ;   in Loop: Header=BB4_7047 Depth=2
	v_bfe_u32 v11, v55, 23, 1
	s_branch .LBB4_7044
.LBB4_7277:                             ;   in Loop: Header=BB4_7047 Depth=2
	s_or_saveexec_b32 s26, s26
	v_mov_b32_e32 v96, 0x7f800001
	s_xor_b32 exec_lo, exec_lo, s26
	s_cbranch_execz .LBB4_7059
.LBB4_7278:                             ;   in Loop: Header=BB4_7047 Depth=2
	v_cmp_ne_u16_e32 vcc_lo, 0, v87
	v_mov_b32_e32 v96, 0
	s_andn2_b32 s13, s13, exec_lo
	s_and_b32 s27, vcc_lo, exec_lo
	s_or_b32 s13, s13, s27
	s_or_b32 exec_lo, exec_lo, s26
	s_and_saveexec_b32 s26, s13
	s_cbranch_execnz .LBB4_7060
	s_branch .LBB4_7061
.LBB4_7279:                             ;   in Loop: Header=BB4_7047 Depth=2
	s_or_saveexec_b32 s26, s26
	v_mov_b32_e32 v97, 0x7f800001
	s_xor_b32 exec_lo, exec_lo, s26
	s_cbranch_execz .LBB4_7073
.LBB4_7280:                             ;   in Loop: Header=BB4_7047 Depth=2
	v_cmp_ne_u16_e32 vcc_lo, 0, v96
	v_mov_b32_e32 v97, 0
	s_andn2_b32 s13, s13, exec_lo
	s_and_b32 s27, vcc_lo, exec_lo
	s_or_b32 s13, s13, s27
	s_or_b32 exec_lo, exec_lo, s26
	s_and_saveexec_b32 s26, s13
	s_cbranch_execnz .LBB4_7074
	s_branch .LBB4_7075
.LBB4_7281:                             ;   in Loop: Header=BB4_7047 Depth=2
	s_or_saveexec_b32 s26, s26
	v_mov_b32_e32 v98, 0x7f800001
	s_xor_b32 exec_lo, exec_lo, s26
	s_cbranch_execz .LBB4_7087
.LBB4_7282:                             ;   in Loop: Header=BB4_7047 Depth=2
	v_cmp_ne_u16_e32 vcc_lo, 0, v97
	v_mov_b32_e32 v98, 0
	s_andn2_b32 s13, s13, exec_lo
	s_and_b32 s27, vcc_lo, exec_lo
	s_or_b32 s13, s13, s27
	s_or_b32 exec_lo, exec_lo, s26
	s_and_saveexec_b32 s26, s13
	s_cbranch_execnz .LBB4_7088
	s_branch .LBB4_7089
.LBB4_7283:                             ;   in Loop: Header=BB4_7047 Depth=2
	s_or_saveexec_b32 s26, s26
	v_mov_b32_e32 v99, 0x7f800001
	s_xor_b32 exec_lo, exec_lo, s26
	s_cbranch_execz .LBB4_7101
.LBB4_7284:                             ;   in Loop: Header=BB4_7047 Depth=2
	v_cmp_ne_u16_e32 vcc_lo, 0, v98
	v_mov_b32_e32 v99, 0
	s_andn2_b32 s13, s13, exec_lo
	s_and_b32 s27, vcc_lo, exec_lo
	s_or_b32 s13, s13, s27
	s_or_b32 exec_lo, exec_lo, s26
	s_and_saveexec_b32 s26, s13
	s_cbranch_execnz .LBB4_7102
	s_branch .LBB4_7103
.LBB4_7285:                             ;   in Loop: Header=BB4_7047 Depth=2
	s_or_saveexec_b32 s26, s26
	v_mov_b32_e32 v100, 0x7f800001
	s_xor_b32 exec_lo, exec_lo, s26
	s_cbranch_execz .LBB4_7115
.LBB4_7286:                             ;   in Loop: Header=BB4_7047 Depth=2
	v_cmp_ne_u16_e32 vcc_lo, 0, v99
	v_mov_b32_e32 v100, 0
	s_andn2_b32 s13, s13, exec_lo
	s_and_b32 s27, vcc_lo, exec_lo
	s_or_b32 s13, s13, s27
	s_or_b32 exec_lo, exec_lo, s26
	s_and_saveexec_b32 s26, s13
	s_cbranch_execnz .LBB4_7116
	s_branch .LBB4_7117
.LBB4_7287:                             ;   in Loop: Header=BB4_7047 Depth=2
	s_or_saveexec_b32 s26, s26
	v_mov_b32_e32 v101, 0x7f800001
	s_xor_b32 exec_lo, exec_lo, s26
	s_cbranch_execz .LBB4_7129
.LBB4_7288:                             ;   in Loop: Header=BB4_7047 Depth=2
	v_cmp_ne_u16_e32 vcc_lo, 0, v100
	v_mov_b32_e32 v101, 0
	s_andn2_b32 s13, s13, exec_lo
	s_and_b32 s27, vcc_lo, exec_lo
	s_or_b32 s13, s13, s27
	s_or_b32 exec_lo, exec_lo, s26
	s_and_saveexec_b32 s26, s13
	s_cbranch_execnz .LBB4_7130
	s_branch .LBB4_7131
.LBB4_7289:                             ;   in Loop: Header=BB4_7047 Depth=2
	s_or_saveexec_b32 s26, s26
	v_mov_b32_e32 v102, 0x7f800001
	s_xor_b32 exec_lo, exec_lo, s26
	s_cbranch_execz .LBB4_7143
.LBB4_7290:                             ;   in Loop: Header=BB4_7047 Depth=2
	v_cmp_ne_u16_e32 vcc_lo, 0, v101
	v_mov_b32_e32 v102, 0
	s_andn2_b32 s13, s13, exec_lo
	s_and_b32 s27, vcc_lo, exec_lo
	s_or_b32 s13, s13, s27
	s_or_b32 exec_lo, exec_lo, s26
	s_and_saveexec_b32 s26, s13
	s_cbranch_execnz .LBB4_7144
	s_branch .LBB4_7145
.LBB4_7291:                             ;   in Loop: Header=BB4_7047 Depth=2
	s_or_saveexec_b32 s26, s26
	v_mov_b32_e32 v103, 0x7f800001
	s_xor_b32 exec_lo, exec_lo, s26
	s_cbranch_execz .LBB4_7157
.LBB4_7292:                             ;   in Loop: Header=BB4_7047 Depth=2
	v_cmp_ne_u16_e32 vcc_lo, 0, v102
	v_mov_b32_e32 v103, 0
	s_andn2_b32 s13, s13, exec_lo
	s_and_b32 s27, vcc_lo, exec_lo
	s_or_b32 s13, s13, s27
	s_or_b32 exec_lo, exec_lo, s26
	s_and_saveexec_b32 s26, s13
	s_cbranch_execnz .LBB4_7158
	s_branch .LBB4_7159
.LBB4_7293:                             ;   in Loop: Header=BB4_7047 Depth=2
	s_or_saveexec_b32 s26, s26
	v_mov_b32_e32 v112, 0x7f800001
	s_xor_b32 exec_lo, exec_lo, s26
	s_cbranch_execz .LBB4_7171
.LBB4_7294:                             ;   in Loop: Header=BB4_7047 Depth=2
	v_cmp_ne_u16_e32 vcc_lo, 0, v103
	v_mov_b32_e32 v112, 0
	s_andn2_b32 s13, s13, exec_lo
	s_and_b32 s27, vcc_lo, exec_lo
	s_or_b32 s13, s13, s27
	s_or_b32 exec_lo, exec_lo, s26
	s_and_saveexec_b32 s26, s13
	s_cbranch_execnz .LBB4_7172
	s_branch .LBB4_7173
.LBB4_7295:                             ;   in Loop: Header=BB4_7047 Depth=2
	s_or_saveexec_b32 s26, s26
	v_mov_b32_e32 v113, 0x7f800001
	s_xor_b32 exec_lo, exec_lo, s26
	s_cbranch_execz .LBB4_7185
.LBB4_7296:                             ;   in Loop: Header=BB4_7047 Depth=2
	v_cmp_ne_u16_e32 vcc_lo, 0, v112
	v_mov_b32_e32 v113, 0
	s_andn2_b32 s13, s13, exec_lo
	s_and_b32 s27, vcc_lo, exec_lo
	s_or_b32 s13, s13, s27
	s_or_b32 exec_lo, exec_lo, s26
	s_and_saveexec_b32 s26, s13
	s_cbranch_execnz .LBB4_7186
	s_branch .LBB4_7187
.LBB4_7297:                             ;   in Loop: Header=BB4_7047 Depth=2
	s_or_saveexec_b32 s26, s26
	v_mov_b32_e32 v114, 0x7f800001
	s_xor_b32 exec_lo, exec_lo, s26
	s_cbranch_execz .LBB4_7199
.LBB4_7298:                             ;   in Loop: Header=BB4_7047 Depth=2
	v_cmp_ne_u16_e32 vcc_lo, 0, v113
	v_mov_b32_e32 v114, 0
	s_andn2_b32 s13, s13, exec_lo
	s_and_b32 s27, vcc_lo, exec_lo
	s_or_b32 s13, s13, s27
	s_or_b32 exec_lo, exec_lo, s26
	s_and_saveexec_b32 s26, s13
	s_cbranch_execnz .LBB4_7200
	s_branch .LBB4_7201
.LBB4_7299:                             ;   in Loop: Header=BB4_7047 Depth=2
	s_or_saveexec_b32 s26, s26
	v_mov_b32_e32 v115, 0x7f800001
	s_xor_b32 exec_lo, exec_lo, s26
	s_cbranch_execz .LBB4_7213
.LBB4_7300:                             ;   in Loop: Header=BB4_7047 Depth=2
	v_cmp_ne_u16_e32 vcc_lo, 0, v114
	v_mov_b32_e32 v115, 0
	s_andn2_b32 s13, s13, exec_lo
	s_and_b32 s27, vcc_lo, exec_lo
	s_or_b32 s13, s13, s27
	s_or_b32 exec_lo, exec_lo, s26
	s_and_saveexec_b32 s26, s13
	s_cbranch_execnz .LBB4_7214
	s_branch .LBB4_7215
.LBB4_7301:                             ;   in Loop: Header=BB4_7047 Depth=2
	s_or_saveexec_b32 s26, s26
	v_mov_b32_e32 v116, 0x7f800001
	s_xor_b32 exec_lo, exec_lo, s26
	s_cbranch_execz .LBB4_7227
.LBB4_7302:                             ;   in Loop: Header=BB4_7047 Depth=2
	v_cmp_ne_u16_e32 vcc_lo, 0, v115
	v_mov_b32_e32 v116, 0
	s_andn2_b32 s13, s13, exec_lo
	s_and_b32 s27, vcc_lo, exec_lo
	s_or_b32 s13, s13, s27
	s_or_b32 exec_lo, exec_lo, s26
	s_and_saveexec_b32 s26, s13
	s_cbranch_execnz .LBB4_7228
	s_branch .LBB4_7229
.LBB4_7303:                             ;   in Loop: Header=BB4_7047 Depth=2
	s_or_saveexec_b32 s26, s26
	v_mov_b32_e32 v117, 0x7f800001
	s_xor_b32 exec_lo, exec_lo, s26
	s_cbranch_execz .LBB4_7241
.LBB4_7304:                             ;   in Loop: Header=BB4_7047 Depth=2
	v_cmp_ne_u16_e32 vcc_lo, 0, v116
	v_mov_b32_e32 v117, 0
	s_andn2_b32 s13, s13, exec_lo
	s_and_b32 s27, vcc_lo, exec_lo
	s_or_b32 s13, s13, s27
	s_or_b32 exec_lo, exec_lo, s26
	s_and_saveexec_b32 s26, s13
	s_cbranch_execnz .LBB4_7242
	s_branch .LBB4_7243
.LBB4_7305:                             ;   in Loop: Header=BB4_7047 Depth=2
	s_or_saveexec_b32 s26, s26
	v_mov_b32_e32 v118, 0x7f800001
	s_xor_b32 exec_lo, exec_lo, s26
	s_cbranch_execz .LBB4_7255
.LBB4_7306:                             ;   in Loop: Header=BB4_7047 Depth=2
	v_cmp_ne_u16_e32 vcc_lo, 0, v117
	v_mov_b32_e32 v118, 0
	s_andn2_b32 s13, s13, exec_lo
	s_and_b32 s27, vcc_lo, exec_lo
	s_or_b32 s13, s13, s27
	s_or_b32 exec_lo, exec_lo, s26
	s_and_saveexec_b32 s26, s13
	s_cbranch_execnz .LBB4_7256
	s_branch .LBB4_7257
.LBB4_7307:                             ;   in Loop: Header=BB4_7047 Depth=2
	s_or_saveexec_b32 s26, s26
	v_mov_b32_e32 v11, 0x7f800001
	s_xor_b32 exec_lo, exec_lo, s26
	s_cbranch_execz .LBB4_7269
.LBB4_7308:                             ;   in Loop: Header=BB4_7047 Depth=2
	v_cmp_ne_u16_e32 vcc_lo, 0, v10
	v_mov_b32_e32 v11, 0
	s_andn2_b32 s13, s13, exec_lo
	s_and_b32 s27, vcc_lo, exec_lo
	s_or_b32 s13, s13, s27
	s_or_b32 exec_lo, exec_lo, s26
	s_and_saveexec_b32 s26, s13
	s_cbranch_execnz .LBB4_7270
	s_branch .LBB4_7271
.LBB4_7309:                             ;   in Loop: Header=BB4_5663 Depth=1
	s_or_b32 exec_lo, exec_lo, s25
.LBB4_7310:                             ;   in Loop: Header=BB4_5663 Depth=1
	s_or_b32 exec_lo, exec_lo, s24
	v_and_b32_e32 v38, 0xfffffe00, v13
	v_cmp_ne_u32_e32 vcc_lo, v13, v38
	s_and_b32 exec_lo, exec_lo, vcc_lo
	s_cbranch_execz .LBB4_7338
; %bb.7311:                             ;   in Loop: Header=BB4_5663 Depth=1
	v_lshlrev_b32_e32 v10, 5, v51
	v_lshlrev_b32_e32 v11, 5, v52
	v_sub_nc_u32_e32 v10, v50, v10
	v_sub_nc_u32_e32 v48, v10, v11
	v_and_b32_e32 v10, 0x1ff, v13
	v_sub_nc_u32_e32 v37, v10, v48
	v_cmp_lt_i32_e32 vcc_lo, 0, v37
	s_and_b32 exec_lo, exec_lo, vcc_lo
	s_cbranch_execz .LBB4_7338
; %bb.7312:                             ;   in Loop: Header=BB4_5663 Depth=1
	s_trap 2
	ds_read_b64 v[10:11], v0
	v_add3_u32 v38, v38, v12, v48
	s_mov_b32 s24, 0
	v_ashrrev_i32_e32 v48, 31, v38
	s_branch .LBB4_7316
.LBB4_7313:                             ;   in Loop: Header=BB4_7316 Depth=2
	s_or_b32 exec_lo, exec_lo, s13
	v_lshrrev_b32_e32 v51, 20, v51
	v_cmp_gt_i32_e32 vcc_lo, 16, v50
	v_min_i32_e32 v52, 15, v50
	v_and_b32_sdwa v49, v49, v82 dst_sel:DWORD dst_unused:UNUSED_PAD src0_sel:BYTE_3 src1_sel:DWORD
	v_cndmask_b32_e32 v51, 7, v51, vcc_lo
	v_lshlrev_b32_e32 v52, 3, v52
	v_and_b32_e32 v53, 7, v51
	v_or_b32_e32 v50, v50, v51
	v_or3_b32 v49, v52, v49, v53
	v_cmp_ne_u32_e32 vcc_lo, 0, v50
	v_cndmask_b32_e32 v50, 0, v49, vcc_lo
.LBB4_7314:                             ;   in Loop: Header=BB4_7316 Depth=2
	s_or_b32 exec_lo, exec_lo, s26
.LBB4_7315:                             ;   in Loop: Header=BB4_7316 Depth=2
	s_or_b32 exec_lo, exec_lo, s25
	v_sub_nc_u32_e32 v37, v37, v70
	v_add_co_u32 v38, s13, v38, v70
	v_add_co_ci_u32_e64 v48, null, 0, v48, s13
	v_cmp_gt_i32_e32 vcc_lo, 1, v37
	flat_store_byte v[12:13], v50 glc slc
	s_or_b32 s24, vcc_lo, s24
	s_andn2_b32 exec_lo, exec_lo, s24
	s_cbranch_execz .LBB4_7338
.LBB4_7316:                             ;   Parent Loop BB4_5663 Depth=1
                                        ; =>  This Inner Loop Header: Depth=2
	s_trap 2
	ds_read_b64 v[12:13], v0
	s_waitcnt lgkmcnt(0)
	v_readfirstlane_b32 s13, v12
	s_and_b32 s25, s13, 0xff
	s_cmpk_lt_i32 s25, 0x80
	s_cbranch_scc1 .LBB4_7320
; %bb.7317:                             ;   in Loop: Header=BB4_7316 Depth=2
	s_and_b32 s26, 0xffff, s25
	s_cmpk_eq_i32 s26, 0x80
	s_mov_b32 s26, -1
	s_cbranch_scc0 .LBB4_7319
; %bb.7318:                             ;   in Loop: Header=BB4_7316 Depth=2
	s_mov_b32 s26, 0
.LBB4_7319:                             ;   in Loop: Header=BB4_7316 Depth=2
	s_mov_b32 s27, 0x7f800001
	s_branch .LBB4_7322
.LBB4_7320:                             ;   in Loop: Header=BB4_7316 Depth=2
	s_mov_b32 s26, 0
	s_mov_b32 s27, 0x7f800001
	s_cbranch_execz .LBB4_7322
; %bb.7321:                             ;   in Loop: Header=BB4_7316 Depth=2
	s_and_b32 s25, 0xffff, s25
	s_mov_b32 s27, 0
	s_cmp_lg_u32 s25, 0
	s_cselect_b32 s26, -1, 0
.LBB4_7322:                             ;   in Loop: Header=BB4_7316 Depth=2
	v_mov_b32_e32 v49, s27
	s_andn2_b32 vcc_lo, exec_lo, s26
	s_cbranch_vccnz .LBB4_7324
; %bb.7323:                             ;   in Loop: Header=BB4_7316 Depth=2
	s_and_b32 s25, s13, 7
	s_bfe_u32 s27, s13, 0x40003
	s_flbit_i32_b32 s26, s25
	v_lshlrev_b32_e32 v12, 24, v12
	s_min_u32 s26, s26, 32
	s_sub_i32 s28, s26, 28
	s_sub_i32 s26, 29, s26
	s_lshl_b32 s13, s13, s28
	v_and_b32_e32 v12, 0x80000000, v12
	s_and_b32 s13, s13, 7
	s_cmp_eq_u32 s27, 0
	s_cselect_b32 s26, s26, s27
	s_cselect_b32 s13, s13, s25
	s_lshl_b32 s25, s26, 23
	s_lshl_b32 s13, s13, 20
	s_add_i32 s25, s25, 0x3b800000
	v_or_b32_e32 v12, s25, v12
	v_or_b32_e32 v49, s13, v12
.LBB4_7324:                             ;   in Loop: Header=BB4_7316 Depth=2
	v_add_co_u32 v12, vcc_lo, v10, v38
	v_add_co_ci_u32_e64 v13, null, v11, v48, vcc_lo
	s_mov_b32 s13, 0
	s_mov_b32 s25, exec_lo
	flat_load_ubyte v50, v[12:13] slc
	s_waitcnt vmcnt(0) lgkmcnt(0)
	v_cmpx_lt_i16_e32 0x7f, v50
	s_xor_b32 s25, exec_lo, s25
	s_cbranch_execz .LBB4_7336
; %bb.7325:                             ;   in Loop: Header=BB4_7316 Depth=2
	s_mov_b32 s13, -1
	s_mov_b32 s26, exec_lo
	v_cmpx_eq_u16_e32 0x80, v50
; %bb.7326:                             ;   in Loop: Header=BB4_7316 Depth=2
	s_xor_b32 s13, exec_lo, -1
; %bb.7327:                             ;   in Loop: Header=BB4_7316 Depth=2
	s_or_b32 exec_lo, exec_lo, s26
	s_and_b32 s13, s13, exec_lo
	s_or_saveexec_b32 s25, s25
	v_mov_b32_e32 v51, 0x7f800001
	s_xor_b32 exec_lo, exec_lo, s25
	s_cbranch_execnz .LBB4_7337
.LBB4_7328:                             ;   in Loop: Header=BB4_7316 Depth=2
	s_or_b32 exec_lo, exec_lo, s25
	s_and_saveexec_b32 s25, s13
	s_cbranch_execz .LBB4_7330
.LBB4_7329:                             ;   in Loop: Header=BB4_7316 Depth=2
	v_and_b32_e32 v51, 0xffff, v50
	v_lshlrev_b32_e32 v50, 24, v50
	v_and_b32_e32 v52, 7, v51
	v_bfe_u32 v55, v51, 3, 4
	v_and_b32_e32 v50, 0x80000000, v50
	v_ffbh_u32_e32 v53, v52
	v_cmp_eq_u32_e32 vcc_lo, 0, v55
	v_min_u32_e32 v53, 32, v53
	v_subrev_nc_u32_e32 v54, 28, v53
	v_sub_nc_u32_e32 v53, 29, v53
	v_lshlrev_b32_e32 v51, v54, v51
	v_cndmask_b32_e32 v53, v55, v53, vcc_lo
	v_and_b32_e32 v51, 7, v51
	v_cndmask_b32_e32 v51, v52, v51, vcc_lo
	v_lshl_add_u32 v52, v53, 23, 0x3b800000
	v_lshlrev_b32_e32 v51, 20, v51
	v_or3_b32 v51, v50, v52, v51
.LBB4_7330:                             ;   in Loop: Header=BB4_7316 Depth=2
	s_or_b32 exec_lo, exec_lo, s25
	v_mul_f32_e32 v49, v49, v51
	v_and_b32_e32 v50, 0x7f800000, v49
	v_cmp_ne_u32_e32 vcc_lo, 0x7f800000, v50
	v_mov_b32_e32 v50, 0x80
	s_and_saveexec_b32 s25, vcc_lo
	s_cbranch_execz .LBB4_7315
; %bb.7331:                             ;   in Loop: Header=BB4_7316 Depth=2
	v_mov_b32_e32 v50, 0
	s_mov_b32 s26, exec_lo
	v_cmpx_ne_u32_e32 0, v49
	s_cbranch_execz .LBB4_7314
; %bb.7332:                             ;   in Loop: Header=BB4_7316 Depth=2
	v_bfe_u32 v50, v49, 23, 8
	v_and_b32_e32 v51, 0x7fffff, v49
	v_sub_nc_u32_e32 v52, 0x78, v50
	v_cmp_gt_u32_e32 vcc_lo, 0x79, v50
	v_or_b32_e32 v53, 0x800000, v51
	v_cndmask_b32_e32 v52, 0, v52, vcc_lo
	v_cmp_eq_u32_e32 vcc_lo, 0, v50
	v_add_nc_u32_e32 v50, 0xffffff89, v50
	v_cndmask_b32_e64 v52, v52, 0x77, vcc_lo
	v_cndmask_b32_e32 v51, v53, v51, vcc_lo
	v_cndmask_b32_e64 v50, v50, 0xffffff8a, vcc_lo
	v_lshl_add_u32 v53, 0x100000, v52, -1
	v_lshrrev_b32_e32 v54, v52, v51
	v_lshlrev_b32_e64 v87, v52, 0x80000
	v_add_nc_u32_e32 v52, v52, v50
	v_and_b32_e32 v51, v53, v51
	v_bfe_u32 v55, v54, 20, 1
	v_cmp_eq_u32_e64 s13, v51, v87
	v_add_nc_u32_e32 v53, -1, v55
	v_cndmask_b32_e64 v51, 0, v53, s13
	v_lshrrev_b32_e32 v53, 23, v54
	s_mov_b32 s13, exec_lo
	v_add_nc_u32_e32 v51, v51, v54
	v_xor_b32_e32 v53, 1, v53
	v_and_b32_e32 v50, 0xfffff, v51
	v_add_nc_u32_e32 v51, v50, v54
                                        ; implicit-def: $vgpr50
	v_cmpx_ne_u32_e64 v52, v53
	s_xor_b32 s13, exec_lo, s13
; %bb.7333:                             ;   in Loop: Header=BB4_7316 Depth=2
	v_cmp_lt_u32_e32 vcc_lo, 0xffffff, v51
	v_sub_nc_u32_e32 v50, v52, v53
	v_cndmask_b32_e64 v52, 0, 1, vcc_lo
	v_add_co_ci_u32_e64 v50, null, 0, v50, vcc_lo
	v_lshrrev_b32_e32 v51, v52, v51
; %bb.7334:                             ;   in Loop: Header=BB4_7316 Depth=2
	s_andn2_saveexec_b32 s13, s13
	s_cbranch_execz .LBB4_7313
; %bb.7335:                             ;   in Loop: Header=BB4_7316 Depth=2
	v_bfe_u32 v50, v51, 23, 1
	s_branch .LBB4_7313
.LBB4_7336:                             ;   in Loop: Header=BB4_7316 Depth=2
	s_or_saveexec_b32 s25, s25
	v_mov_b32_e32 v51, 0x7f800001
	s_xor_b32 exec_lo, exec_lo, s25
	s_cbranch_execz .LBB4_7328
.LBB4_7337:                             ;   in Loop: Header=BB4_7316 Depth=2
	v_cmp_ne_u16_e32 vcc_lo, 0, v50
	v_mov_b32_e32 v51, 0
	s_andn2_b32 s13, s13, exec_lo
	s_and_b32 s26, vcc_lo, exec_lo
	s_or_b32 s13, s13, s26
	s_or_b32 exec_lo, exec_lo, s25
	s_and_saveexec_b32 s25, s13
	s_cbranch_execnz .LBB4_7329
	s_branch .LBB4_7330
.LBB4_7338:                             ;   in Loop: Header=BB4_5663 Depth=1
	s_or_b32 exec_lo, exec_lo, s14
	v_cmp_ne_u32_e64 s13, 0, v86
	s_and_saveexec_b32 s14, s6
	s_cbranch_execz .LBB4_7357
.LBB4_7339:                             ;   in Loop: Header=BB4_5663 Depth=1
	s_and_saveexec_b32 s24, s16
	s_xor_b32 s24, exec_lo, s24
	s_cbranch_execz .LBB4_7354
; %bb.7340:                             ;   in Loop: Header=BB4_5663 Depth=1
	s_and_saveexec_b32 s25, s7
	s_cbranch_execz .LBB4_7353
; %bb.7341:                             ;   in Loop: Header=BB4_5663 Depth=1
	s_mov_b32 s27, exec_lo
	s_mov_b32 s26, exec_lo
	v_mbcnt_lo_u32_b32 v10, s27, 0
	s_waitcnt vmcnt(0) lgkmcnt(0)
	s_waitcnt_vscnt null, 0x0
	buffer_gl1_inv
	buffer_gl0_inv
	v_cmpx_eq_u32_e32 0, v10
	s_cbranch_execz .LBB4_7343
; %bb.7342:                             ;   in Loop: Header=BB4_5663 Depth=1
	s_bcnt1_i32_b32 s27, s27
	v_mov_b32_e32 v11, v15
	v_mov_b32_e32 v10, s27
	ds_add_u64 v0, v[10:11]
	s_trap 2
.LBB4_7343:                             ;   in Loop: Header=BB4_5663 Depth=1
	s_or_b32 exec_lo, exec_lo, s26
	s_trap 2
	ds_read_b64 v[10:11], v0
	s_waitcnt lgkmcnt(0)
	buffer_gl0_inv
	v_add_co_u32 v26, vcc_lo, v26, v64
	v_add_co_ci_u32_e64 v27, null, 0, v27, vcc_lo
	s_mov_b32 s26, exec_lo
	v_cmpx_lt_u64_e64 v[10:11], v[26:27]
	s_cbranch_execz .LBB4_7352
; %bb.7344:                             ;   in Loop: Header=BB4_5663 Depth=1
	s_mov_b32 s27, 0
	s_mov_b32 s40, 0
                                        ; implicit-def: $sgpr28
                                        ; implicit-def: $sgpr29
	s_inst_prefetch 0x1
	s_branch .LBB4_7346
	.p2align	6
.LBB4_7345:                             ;   in Loop: Header=BB4_7346 Depth=2
	s_or_b32 exec_lo, exec_lo, s42
	s_and_b32 s41, exec_lo, s43
	s_or_b32 s27, s41, s27
	s_andn2_b32 s28, s28, exec_lo
	s_and_b32 s41, s29, exec_lo
	s_or_b32 s28, s28, s41
	s_andn2_b32 exec_lo, exec_lo, s27
	s_cbranch_execz .LBB4_7350
.LBB4_7346:                             ;   Parent Loop BB4_5663 Depth=1
                                        ; =>  This Inner Loop Header: Depth=2
	s_add_i32 s40, s40, 1
	s_cmpk_lg_i32 s40, 0x2710
	s_cselect_b32 s41, -1, 0
	s_and_b32 vcc_lo, exec_lo, s41
	s_cbranch_vccz .LBB4_7348
; %bb.7347:                             ;   in Loop: Header=BB4_7346 Depth=2
	s_mov_b32 s43, -1
	s_or_b32 s29, s29, exec_lo
	s_and_saveexec_b32 s42, s41
	s_cbranch_execz .LBB4_7345
	s_branch .LBB4_7349
	.p2align	6
.LBB4_7348:                             ;   in Loop: Header=BB4_7346 Depth=2
	s_trap 2
	ds_read_b64 v[10:11], v0
	s_andn2_b32 s41, s41, exec_lo
	s_mov_b32 s40, 0
	s_waitcnt lgkmcnt(0)
	flat_load_dword v10, v[10:11] glc dlc
	s_waitcnt vmcnt(0) lgkmcnt(0)
	buffer_gl1_inv
	buffer_gl0_inv
	v_cmp_eq_u32_e32 vcc_lo, 0, v10
	s_and_b32 s42, vcc_lo, exec_lo
	s_or_b32 s41, s41, s42
	s_mov_b32 s43, -1
	s_or_b32 s29, s29, exec_lo
	s_and_saveexec_b32 s42, s41
	s_cbranch_execz .LBB4_7345
.LBB4_7349:                             ;   in Loop: Header=BB4_7346 Depth=2
	s_sleep 1
	s_trap 2
	ds_read_b64 v[10:11], v0
	s_waitcnt lgkmcnt(0)
	buffer_gl0_inv
	s_andn2_b32 s29, s29, exec_lo
	v_cmp_ge_u64_e32 vcc_lo, v[10:11], v[26:27]
	s_orn2_b32 s43, vcc_lo, exec_lo
	s_branch .LBB4_7345
.LBB4_7350:                             ;   in Loop: Header=BB4_5663 Depth=1
	s_inst_prefetch 0x2
	s_or_b32 exec_lo, exec_lo, s27
	s_and_saveexec_b32 s27, s28
	s_xor_b32 s27, exec_lo, s27
	s_cbranch_execz .LBB4_7352
; %bb.7351:                             ;   in Loop: Header=BB4_5663 Depth=1
	ds_write_b32 v0, v80
	s_trap 2
.LBB4_7352:                             ;   in Loop: Header=BB4_5663 Depth=1
	s_or_b32 exec_lo, exec_lo, s26
	;;#ASMSTART
	s_wakeup
	;;#ASMEND
.LBB4_7353:                             ;   in Loop: Header=BB4_5663 Depth=1
	s_or_b32 exec_lo, exec_lo, s25
.LBB4_7354:                             ;   in Loop: Header=BB4_5663 Depth=1
	s_andn2_saveexec_b32 s24, s24
	s_cbranch_execz .LBB4_7356
; %bb.7355:                             ;   in Loop: Header=BB4_5663 Depth=1
	s_waitcnt vmcnt(0) lgkmcnt(0)
	s_waitcnt_vscnt null, 0x0
	buffer_gl1_inv
	buffer_gl0_inv
	s_barrier
.LBB4_7356:                             ;   in Loop: Header=BB4_5663 Depth=1
	s_or_b32 exec_lo, exec_lo, s24
.LBB4_7357:                             ;   in Loop: Header=BB4_5663 Depth=1
	s_or_b32 exec_lo, exec_lo, s14
	v_and_b32_e32 v10, 16, v68
	v_cmp_ne_u32_e32 vcc_lo, 0, v10
	s_and_b32 s14, vcc_lo, s13
	s_and_saveexec_b32 s13, s14
	s_cbranch_execz .LBB4_7359
; %bb.7358:                             ;   in Loop: Header=BB4_5663 Depth=1
	s_waitcnt vmcnt(0) lgkmcnt(0)
	s_waitcnt_vscnt null, 0x0
	buffer_gl1_inv
	buffer_gl0_inv
.LBB4_7359:                             ;   in Loop: Header=BB4_5663 Depth=1
	s_or_b32 exec_lo, exec_lo, s13
	s_mov_b32 s13, exec_lo
	v_cmpx_ne_u32_e32 0, v10
	s_cbranch_execz .LBB4_7363
; %bb.7360:                             ;   in Loop: Header=BB4_5663 Depth=1
	s_and_saveexec_b32 s14, s12
	s_cbranch_execz .LBB4_7362
; %bb.7361:                             ;   in Loop: Header=BB4_5663 Depth=1
	s_waitcnt vmcnt(0) lgkmcnt(0)
	s_waitcnt_vscnt null, 0x0
	flat_store_dword v[34:35], v80
.LBB4_7362:                             ;   in Loop: Header=BB4_5663 Depth=1
	s_or_b32 exec_lo, exec_lo, s14
	v_add_co_u32 v8, vcc_lo, v8, 1
	v_add_co_ci_u32_e64 v9, null, 0, v9, vcc_lo
	s_waitcnt vmcnt(0) lgkmcnt(0)
	s_waitcnt_vscnt null, 0x0
	flat_store_dwordx2 v[22:23], v[8:9]
.LBB4_7363:                             ;   in Loop: Header=BB4_5663 Depth=1
	s_or_b32 exec_lo, exec_lo, s13
	v_mov_b32_e32 v10, v14
.LBB4_7364:                             ;   in Loop: Header=BB4_5663 Depth=1
	s_or_b32 exec_lo, exec_lo, s23
	s_and_saveexec_b32 s14, s22
	s_cbranch_execz .LBB4_5662
; %bb.7365:                             ;   in Loop: Header=BB4_5663 Depth=1
	v_sub_nc_u32_e32 v10, v36, v10
	v_and_b32_e32 v11, 8, v68
	s_mov_b32 s22, exec_lo
	v_min_i32_e32 v10, v14, v10
	v_cmpx_ne_u32_e32 0, v11
	s_cbranch_execz .LBB4_7387
; %bb.7366:                             ;   in Loop: Header=BB4_5663 Depth=1
	s_waitcnt vmcnt(0)
	v_add_co_u32 v36, vcc_lo, v28, 8
	v_add_co_ci_u32_e64 v37, null, 0, v29, vcc_lo
	s_waitcnt lgkmcnt(0)
	v_add_co_u32 v12, vcc_lo, v8, 1
	v_add_co_ci_u32_e64 v13, null, 0, v9, vcc_lo
	s_mov_b32 s23, exec_lo
	v_cmpx_lt_u64_e64 v[36:37], v[12:13]
	s_cbranch_execz .LBB4_7378
; %bb.7367:                             ;   in Loop: Header=BB4_5663 Depth=1
	v_and_b32_e32 v9, 64, v68
	s_mov_b32 s24, 0
	s_mov_b32 s28, 0
                                        ; implicit-def: $sgpr25
                                        ; implicit-def: $sgpr26
                                        ; implicit-def: $sgpr27
	v_cmp_eq_u32_e32 vcc_lo, 0, v9
	s_branch .LBB4_7371
.LBB4_7368:                             ;   in Loop: Header=BB4_7371 Depth=2
	s_waitcnt vmcnt(0) lgkmcnt(0)
	v_add_co_u32 v36, s13, v28, 8
	v_add_co_ci_u32_e64 v37, null, 0, v29, s13
	s_or_b32 s41, s41, exec_lo
	v_cmp_ge_u64_e64 s13, v[36:37], v[12:13]
	s_orn2_b32 s40, s13, exec_lo
.LBB4_7369:                             ;   in Loop: Header=BB4_7371 Depth=2
	s_or_b32 exec_lo, exec_lo, s43
	s_andn2_b32 s13, s27, exec_lo
	s_and_b32 s27, s41, exec_lo
	s_andn2_b32 s26, s26, exec_lo
	s_and_b32 s40, s40, exec_lo
	s_or_b32 s27, s13, s27
	s_or_b32 s26, s26, s40
.LBB4_7370:                             ;   in Loop: Header=BB4_7371 Depth=2
	s_or_b32 exec_lo, exec_lo, s29
	s_and_b32 s13, exec_lo, s26
	s_or_b32 s24, s13, s24
	s_andn2_b32 s13, s25, exec_lo
	s_and_b32 s25, s27, exec_lo
	s_or_b32 s25, s13, s25
	s_andn2_b32 exec_lo, exec_lo, s24
	s_cbranch_execz .LBB4_7375
.LBB4_7371:                             ;   Parent Loop BB4_5663 Depth=1
                                        ; =>  This Inner Loop Header: Depth=2
	s_sleep 1
	s_waitcnt vmcnt(0) lgkmcnt(0)
	flat_load_dwordx2 v[28:29], v[22:23] glc dlc
	s_or_b32 s27, s27, exec_lo
	s_or_b32 s26, s26, exec_lo
                                        ; implicit-def: $vgpr9
	s_and_saveexec_b32 s29, vcc_lo
	s_cbranch_execz .LBB4_7370
; %bb.7372:                             ;   in Loop: Header=BB4_7371 Depth=2
	s_cmpk_lt_i32 s28, 0x270f
	s_mov_b32 s40, -1
	s_cselect_b32 s42, -1, 0
	s_cmpk_gt_i32 s28, 0x270e
	s_cbranch_scc0 .LBB4_7374
; %bb.7373:                             ;   in Loop: Header=BB4_7371 Depth=2
	s_trap 2
	ds_read_b64 v[36:37], v0
	s_andn2_b32 s28, s42, exec_lo
	s_mov_b32 s41, 0
	s_waitcnt vmcnt(0) lgkmcnt(0)
	s_waitcnt_vscnt null, 0x0
	flat_load_dword v9, v[36:37] glc dlc
	s_waitcnt vmcnt(0) lgkmcnt(0)
	buffer_gl1_inv
	buffer_gl0_inv
	v_cmp_eq_u32_e64 s13, 0, v9
	s_and_b32 s13, s13, exec_lo
	s_or_b32 s42, s28, s13
	s_mov_b32 s28, 0
	s_and_saveexec_b32 s43, s42
	s_cbranch_execz .LBB4_7369
	s_branch .LBB4_7368
.LBB4_7374:                             ;   in Loop: Header=BB4_7371 Depth=2
	s_add_i32 s28, s28, 1
	s_mov_b32 s41, -1
                                        ; implicit-def: $vgpr9
	s_and_saveexec_b32 s43, s42
	s_cbranch_execz .LBB4_7369
	s_branch .LBB4_7368
.LBB4_7375:                             ;   in Loop: Header=BB4_5663 Depth=1
	s_or_b32 exec_lo, exec_lo, s24
	s_xor_b32 s13, s25, -1
	s_and_saveexec_b32 s24, s13
	s_xor_b32 s13, exec_lo, s24
	s_cbranch_execz .LBB4_7377
; %bb.7376:                             ;   in Loop: Header=BB4_5663 Depth=1
	v_or_b32_e32 v68, 64, v68
	s_waitcnt vmcnt(0) lgkmcnt(0)
	s_waitcnt_vscnt null, 0x0
	ds_write_b32 v0, v9
	s_trap 2
.LBB4_7377:                             ;   in Loop: Header=BB4_5663 Depth=1
	s_or_b32 exec_lo, exec_lo, s13
.LBB4_7378:                             ;   in Loop: Header=BB4_5663 Depth=1
	s_or_b32 exec_lo, exec_lo, s23
	v_and_b32_e32 v9, 0x100, v68
	v_and_b32_e32 v14, 7, v8
	s_mov_b32 s13, -1
	;;#ASMSTART
	s_wakeup
	;;#ASMEND
	v_cmp_ne_u32_e32 vcc_lo, 0, v9
                                        ; implicit-def: $vgpr8_vgpr9
	s_and_saveexec_b32 s23, vcc_lo
	s_cbranch_execz .LBB4_7382
; %bb.7379:                             ;   in Loop: Header=BB4_5663 Depth=1
	v_mad_u64_u32 v[36:37], null, v14, 24, v[6:7]
	v_ashrrev_i32_e32 v11, 31, v10
	flat_load_dword v8, v[36:37]
	flat_store_dwordx2 v[36:37], v[10:11] offset:8
	s_waitcnt vmcnt(0) lgkmcnt(1)
	v_cmp_eq_u32_e64 s13, 1, v8
	v_cmp_ne_u32_e32 vcc_lo, 1, v8
                                        ; implicit-def: $vgpr8_vgpr9
	s_and_saveexec_b32 s24, s13
	s_cbranch_execz .LBB4_7381
; %bb.7380:                             ;   in Loop: Header=BB4_5663 Depth=1
	flat_load_dword v8, v[36:37] offset:4 glc dlc
	s_waitcnt vmcnt(0) lgkmcnt(0)
	v_ashrrev_i32_e32 v9, 31, v8
.LBB4_7381:                             ;   in Loop: Header=BB4_5663 Depth=1
	s_or_b32 exec_lo, exec_lo, s24
	s_orn2_b32 s13, vcc_lo, exec_lo
.LBB4_7382:                             ;   in Loop: Header=BB4_5663 Depth=1
	s_or_b32 exec_lo, exec_lo, s23
	s_and_saveexec_b32 s23, s13
; %bb.7383:                             ;   in Loop: Header=BB4_5663 Depth=1
	v_mad_i64_i32 v[8:9], null, v14, v69, 0
; %bb.7384:                             ;   in Loop: Header=BB4_5663 Depth=1
	s_or_b32 exec_lo, exec_lo, s23
	v_add_co_u32 v8, vcc_lo, v24, v8
	v_and_b32_e32 v11, 0x2000, v68
	v_add_co_ci_u32_e64 v9, null, v25, v9, vcc_lo
	s_mov_b32 s13, exec_lo
	ds_write_b64 v0, v[8:9] offset:784
	v_cmpx_ne_u32_e32 0, v11
	s_cbranch_execz .LBB4_7386
; %bb.7385:                             ;   in Loop: Header=BB4_5663 Depth=1
	ds_read_b64 v[8:9], v0 offset:872
	s_waitcnt lgkmcnt(0)
	v_add_co_u32 v8, vcc_lo, v8, 1
	v_add_co_ci_u32_e64 v9, null, 0, v9, vcc_lo
	ds_write_b64 v0, v[8:9] offset:872
.LBB4_7386:                             ;   in Loop: Header=BB4_5663 Depth=1
	s_or_b32 exec_lo, exec_lo, s13
	v_mov_b32_e32 v8, v12
	v_mov_b32_e32 v9, v13
.LBB4_7387:                             ;   in Loop: Header=BB4_5663 Depth=1
	s_or_b32 exec_lo, exec_lo, s22
	s_and_saveexec_b32 s13, s6
	s_cbranch_execz .LBB4_7406
; %bb.7388:                             ;   in Loop: Header=BB4_5663 Depth=1
	s_and_saveexec_b32 s22, s16
	s_xor_b32 s22, exec_lo, s22
	s_cbranch_execz .LBB4_7403
; %bb.7389:                             ;   in Loop: Header=BB4_5663 Depth=1
	s_and_saveexec_b32 s23, s7
	s_cbranch_execz .LBB4_7402
; %bb.7390:                             ;   in Loop: Header=BB4_5663 Depth=1
	s_mov_b32 s25, exec_lo
	s_mov_b32 s24, exec_lo
	v_mbcnt_lo_u32_b32 v11, s25, 0
	s_waitcnt vmcnt(0) lgkmcnt(0)
	s_waitcnt_vscnt null, 0x0
	buffer_gl1_inv
	buffer_gl0_inv
	v_cmpx_eq_u32_e32 0, v11
	s_cbranch_execz .LBB4_7392
; %bb.7391:                             ;   in Loop: Header=BB4_5663 Depth=1
	s_bcnt1_i32_b32 s25, s25
	v_mov_b32_e32 v14, s25
	ds_add_u64 v0, v[14:15]
	s_trap 2
.LBB4_7392:                             ;   in Loop: Header=BB4_5663 Depth=1
	s_or_b32 exec_lo, exec_lo, s24
	s_trap 2
	ds_read_b64 v[11:12], v0
	s_waitcnt lgkmcnt(0)
	buffer_gl0_inv
	v_add_co_u32 v26, vcc_lo, v26, v64
	v_add_co_ci_u32_e64 v27, null, 0, v27, vcc_lo
	s_mov_b32 s24, exec_lo
	v_cmpx_lt_u64_e64 v[11:12], v[26:27]
	s_cbranch_execz .LBB4_7401
; %bb.7393:                             ;   in Loop: Header=BB4_5663 Depth=1
	s_mov_b32 s25, 0
	s_mov_b32 s28, 0
                                        ; implicit-def: $sgpr26
                                        ; implicit-def: $sgpr27
	s_inst_prefetch 0x1
	s_branch .LBB4_7395
	.p2align	6
.LBB4_7394:                             ;   in Loop: Header=BB4_7395 Depth=2
	s_or_b32 exec_lo, exec_lo, s40
	s_and_b32 s29, exec_lo, s41
	s_or_b32 s25, s29, s25
	s_andn2_b32 s26, s26, exec_lo
	s_and_b32 s29, s27, exec_lo
	s_or_b32 s26, s26, s29
	s_andn2_b32 exec_lo, exec_lo, s25
	s_cbranch_execz .LBB4_7399
.LBB4_7395:                             ;   Parent Loop BB4_5663 Depth=1
                                        ; =>  This Inner Loop Header: Depth=2
	s_add_i32 s28, s28, 1
	s_cmpk_lg_i32 s28, 0x2710
	s_cselect_b32 s29, -1, 0
	s_and_b32 vcc_lo, exec_lo, s29
	s_cbranch_vccz .LBB4_7397
; %bb.7396:                             ;   in Loop: Header=BB4_7395 Depth=2
	s_mov_b32 s41, -1
	s_or_b32 s27, s27, exec_lo
	s_and_saveexec_b32 s40, s29
	s_cbranch_execz .LBB4_7394
	s_branch .LBB4_7398
	.p2align	6
.LBB4_7397:                             ;   in Loop: Header=BB4_7395 Depth=2
	s_trap 2
	ds_read_b64 v[11:12], v0
	s_andn2_b32 s29, s29, exec_lo
	s_mov_b32 s28, 0
	s_waitcnt lgkmcnt(0)
	flat_load_dword v11, v[11:12] glc dlc
	s_waitcnt vmcnt(0) lgkmcnt(0)
	buffer_gl1_inv
	buffer_gl0_inv
	v_cmp_eq_u32_e32 vcc_lo, 0, v11
	s_and_b32 s40, vcc_lo, exec_lo
	s_or_b32 s29, s29, s40
	s_mov_b32 s41, -1
	s_or_b32 s27, s27, exec_lo
	s_and_saveexec_b32 s40, s29
	s_cbranch_execz .LBB4_7394
.LBB4_7398:                             ;   in Loop: Header=BB4_7395 Depth=2
	s_sleep 1
	s_trap 2
	ds_read_b64 v[11:12], v0
	s_waitcnt lgkmcnt(0)
	buffer_gl0_inv
	s_andn2_b32 s27, s27, exec_lo
	v_cmp_ge_u64_e32 vcc_lo, v[11:12], v[26:27]
	s_orn2_b32 s41, vcc_lo, exec_lo
	s_branch .LBB4_7394
.LBB4_7399:                             ;   in Loop: Header=BB4_5663 Depth=1
	s_inst_prefetch 0x2
	s_or_b32 exec_lo, exec_lo, s25
	s_and_saveexec_b32 s25, s26
	s_xor_b32 s25, exec_lo, s25
	s_cbranch_execz .LBB4_7401
; %bb.7400:                             ;   in Loop: Header=BB4_5663 Depth=1
	ds_write_b32 v0, v80
	s_trap 2
.LBB4_7401:                             ;   in Loop: Header=BB4_5663 Depth=1
	s_or_b32 exec_lo, exec_lo, s24
	;;#ASMSTART
	s_wakeup
	;;#ASMEND
.LBB4_7402:                             ;   in Loop: Header=BB4_5663 Depth=1
	s_or_b32 exec_lo, exec_lo, s23
.LBB4_7403:                             ;   in Loop: Header=BB4_5663 Depth=1
	s_andn2_saveexec_b32 s22, s22
	s_cbranch_execz .LBB4_7405
; %bb.7404:                             ;   in Loop: Header=BB4_5663 Depth=1
	s_waitcnt vmcnt(0) lgkmcnt(0)
	s_waitcnt_vscnt null, 0x0
	buffer_gl1_inv
	buffer_gl0_inv
	s_barrier
.LBB4_7405:                             ;   in Loop: Header=BB4_5663 Depth=1
	s_or_b32 exec_lo, exec_lo, s22
.LBB4_7406:                             ;   in Loop: Header=BB4_5663 Depth=1
	s_or_b32 exec_lo, exec_lo, s13
	s_trap 2
	ds_read_b32 v11, v0
	v_cmp_lt_i32_e32 vcc_lo, 0, v10
	s_waitcnt lgkmcnt(0)
	v_readfirstlane_b32 s13, v11
	v_and_b32_e32 v11, 16, v68
	s_cmp_eq_u32 s13, 0
	v_cmp_ne_u32_e64 s13, 0, v11
	s_cselect_b32 s22, -1, 0
	s_and_b32 s22, vcc_lo, s22
	s_and_b32 s22, s13, s22
	s_and_saveexec_b32 s13, s22
	s_cbranch_execz .LBB4_7408
; %bb.7407:                             ;   in Loop: Header=BB4_5663 Depth=1
	s_waitcnt vmcnt(0)
	s_waitcnt_vscnt null, 0x0
	buffer_gl1_inv
	buffer_gl0_inv
.LBB4_7408:                             ;   in Loop: Header=BB4_5663 Depth=1
	s_or_b32 exec_lo, exec_lo, s13
	s_mov_b32 s13, exec_lo
	v_cmpx_ne_u32_e32 0, v11
	s_cbranch_execz .LBB4_5661
; %bb.7409:                             ;   in Loop: Header=BB4_5663 Depth=1
	s_and_saveexec_b32 s22, s12
	s_cbranch_execz .LBB4_5660
; %bb.7410:                             ;   in Loop: Header=BB4_5663 Depth=1
	s_waitcnt vmcnt(0)
	s_waitcnt_vscnt null, 0x0
	flat_store_dword v[34:35], v80
	s_branch .LBB4_5660
.LBB4_7411:
	s_or_b32 exec_lo, exec_lo, s19
.LBB4_7412:
	s_or_b32 exec_lo, exec_lo, s18
.LBB4_7413:
	s_or_b32 exec_lo, exec_lo, s17
	v_and_b32_e32 v0, 0x800, v68
	s_mov_b32 s5, exec_lo
	v_cmpx_eq_u32_e32 0, v0
	s_cbranch_execz .LBB4_7446
; %bb.7414:
	v_and_b32_e32 v0, 48, v68
	s_mov_b32 s4, exec_lo
	v_cmpx_ne_u32_e32 0, v0
	s_cbranch_execz .LBB4_7416
; %bb.7415:
	s_waitcnt vmcnt(0) lgkmcnt(0)
	flat_store_dwordx2 v[20:21], v[8:9] offset:104
.LBB4_7416:
	s_or_b32 exec_lo, exec_lo, s4
	v_and_b32_e32 v0, 0x88, v68
	s_mov_b32 s6, exec_lo
	v_cmpx_eq_u32_e32 0x88, v0
	s_cbranch_execz .LBB4_7426
; %bb.7417:
	s_waitcnt vmcnt(0) lgkmcnt(0)
	v_add_nc_u32_e32 v0, -1, v8
	s_mov_b32 s7, 0
	v_and_b32_e32 v0, 7, v0
	v_mad_u64_u32 v[4:5], null, v0, 24, v[6:7]
	v_and_b32_e32 v0, 64, v68
	v_cmp_eq_u32_e64 s4, 0, v0
	flat_load_dwordx2 v[6:7], v[4:5] offset:8 glc dlc
	s_waitcnt vmcnt(0) lgkmcnt(0)
	v_cmp_ne_u64_e32 vcc_lo, -1, v[6:7]
	s_and_b32 s4, vcc_lo, s4
	s_and_b32 exec_lo, exec_lo, s4
	s_cbranch_execz .LBB4_7426
; %bb.7418:
	s_mov_b32 s11, 0
                                        ; implicit-def: $sgpr4
                                        ; implicit-def: $sgpr10
	s_inst_prefetch 0x1
	s_branch .LBB4_7421
	.p2align	6
.LBB4_7419:                             ;   in Loop: Header=BB4_7421 Depth=1
	flat_load_dwordx2 v[6:7], v[4:5] offset:8 glc dlc
	s_waitcnt vmcnt(0)
	s_andn2_b32 s10, s10, exec_lo
	s_waitcnt lgkmcnt(0)
	v_cmp_eq_u64_e32 vcc_lo, -1, v[6:7]
	s_orn2_b32 s13, vcc_lo, exec_lo
.LBB4_7420:                             ;   in Loop: Header=BB4_7421 Depth=1
	s_or_b32 exec_lo, exec_lo, s14
	s_and_b32 s12, exec_lo, s13
	s_or_b32 s7, s12, s7
	s_andn2_b32 s4, s4, exec_lo
	s_and_b32 s12, s10, exec_lo
	s_or_b32 s4, s4, s12
	s_andn2_b32 exec_lo, exec_lo, s7
	s_cbranch_execz .LBB4_7424
.LBB4_7421:                             ; =>This Inner Loop Header: Depth=1
	s_cmpk_lt_i32 s11, 0x270f
	s_cselect_b32 s12, -1, 0
	s_and_b32 vcc_lo, exec_lo, s12
	s_cbranch_vccnz .LBB4_7423
; %bb.7422:                             ;   in Loop: Header=BB4_7421 Depth=1
	s_trap 2
	ds_read_b64 v[6:7], v0
	s_andn2_b32 s12, s12, exec_lo
	s_mov_b32 s11, 0
	s_waitcnt lgkmcnt(0)
	s_waitcnt_vscnt null, 0x0
	flat_load_dword v0, v[6:7] glc dlc
	s_waitcnt vmcnt(0) lgkmcnt(0)
	buffer_gl1_inv
	buffer_gl0_inv
	v_cmp_eq_u32_e32 vcc_lo, 0, v0
	s_and_b32 s13, vcc_lo, exec_lo
	s_or_b32 s12, s12, s13
	s_mov_b32 s13, -1
	s_or_b32 s10, s10, exec_lo
	s_and_saveexec_b32 s14, s12
	s_cbranch_execz .LBB4_7420
	s_branch .LBB4_7419
	.p2align	6
.LBB4_7423:                             ;   in Loop: Header=BB4_7421 Depth=1
	s_add_i32 s11, s11, 1
                                        ; implicit-def: $vgpr0
	s_mov_b32 s13, -1
	s_or_b32 s10, s10, exec_lo
	s_and_saveexec_b32 s14, s12
	s_cbranch_execz .LBB4_7420
	s_branch .LBB4_7419
.LBB4_7424:
	s_inst_prefetch 0x2
	s_or_b32 exec_lo, exec_lo, s7
	s_and_saveexec_b32 s7, s4
	s_xor_b32 s7, exec_lo, s7
	s_cbranch_execz .LBB4_7426
; %bb.7425:
	s_waitcnt_vscnt null, 0x0
	ds_write_b32 v0, v0
	s_trap 2
.LBB4_7426:
	s_or_b32 exec_lo, exec_lo, s6
	v_and_b32_e32 v0, 0x2000, v68
	s_mov_b32 s4, exec_lo
	v_cmpx_ne_u32_e32 0, v0
	s_cbranch_execz .LBB4_7428
; %bb.7427:
	s_trap 2
	ds_read_b64 v[4:5], v0
	s_waitcnt lgkmcnt(0)
	flat_store_dwordx2 v[2:3], v[4:5] offset:16
.LBB4_7428:
	s_or_b32 exec_lo, exec_lo, s4
	v_cmp_ne_u32_e32 vcc_lo, 32, v1
	s_and_b32 exec_lo, exec_lo, vcc_lo
	s_cbranch_execz .LBB4_7446
; %bb.7429:
	s_waitcnt vmcnt(0)
	v_cmp_ne_u32_sdwa s4, v1, v30 src0_sel:DWORD src1_sel:WORD_0
	s_and_saveexec_b32 s6, s4
	s_xor_b32 s4, exec_lo, s6
	s_cbranch_execz .LBB4_7444
; %bb.7430:
	v_and_b32_e32 v0, 31, v31
	s_mov_b32 s6, exec_lo
	v_cmpx_eq_u32_e32 0, v0
	s_cbranch_execz .LBB4_7443
; %bb.7431:
	s_mov_b32 s10, exec_lo
	s_mov_b32 s7, exec_lo
	v_mbcnt_lo_u32_b32 v0, s10, 0
	s_waitcnt lgkmcnt(0)
	s_waitcnt_vscnt null, 0x0
	buffer_gl1_inv
	buffer_gl0_inv
	v_cmpx_eq_u32_e32 0, v0
	s_cbranch_execz .LBB4_7433
; %bb.7432:
	s_bcnt1_i32_b32 s10, s10
	v_mov_b32_e32 v3, 0
	v_mov_b32_e32 v2, s10
	ds_add_u64 v0, v[2:3]
	s_trap 2
.LBB4_7433:
	s_or_b32 exec_lo, exec_lo, s7
	s_trap 2
	ds_read_b64 v[2:3], v0
	s_waitcnt lgkmcnt(0)
	buffer_gl0_inv
	v_lshrrev_b32_e32 v0, 5, v1
	s_mov_b32 s7, exec_lo
	v_add_co_u32 v0, vcc_lo, v26, v0
	v_add_co_ci_u32_e64 v1, null, 0, v27, vcc_lo
	v_cmpx_lt_u64_e64 v[2:3], v[0:1]
	s_cbranch_execz .LBB4_7442
; %bb.7434:
	s_mov_b32 s10, 0
	s_mov_b32 s13, 0
                                        ; implicit-def: $sgpr11
                                        ; implicit-def: $sgpr12
	s_inst_prefetch 0x1
	s_branch .LBB4_7436
	.p2align	6
.LBB4_7435:                             ;   in Loop: Header=BB4_7436 Depth=1
	s_or_b32 exec_lo, exec_lo, s16
	s_and_b32 s14, exec_lo, s17
	s_or_b32 s10, s14, s10
	s_andn2_b32 s11, s11, exec_lo
	s_and_b32 s14, s12, exec_lo
	s_or_b32 s11, s11, s14
	s_andn2_b32 exec_lo, exec_lo, s10
	s_cbranch_execz .LBB4_7440
.LBB4_7436:                             ; =>This Inner Loop Header: Depth=1
	s_add_i32 s13, s13, 1
	s_cmpk_lg_i32 s13, 0x2710
	s_cselect_b32 s14, -1, 0
	s_and_b32 vcc_lo, exec_lo, s14
	s_cbranch_vccz .LBB4_7438
; %bb.7437:                             ;   in Loop: Header=BB4_7436 Depth=1
	s_mov_b32 s17, -1
	s_or_b32 s12, s12, exec_lo
	s_and_saveexec_b32 s16, s14
	s_cbranch_execz .LBB4_7435
	s_branch .LBB4_7439
.LBB4_7438:                             ;   in Loop: Header=BB4_7436 Depth=1
	s_trap 2
	ds_read_b64 v[2:3], v0
	s_andn2_b32 s14, s14, exec_lo
	s_mov_b32 s13, 0
	s_waitcnt lgkmcnt(0)
	flat_load_dword v2, v[2:3] glc dlc
	s_waitcnt vmcnt(0) lgkmcnt(0)
	buffer_gl1_inv
	buffer_gl0_inv
	v_cmp_eq_u32_e32 vcc_lo, 0, v2
	s_and_b32 s16, vcc_lo, exec_lo
	s_or_b32 s14, s14, s16
	s_mov_b32 s17, -1
	s_or_b32 s12, s12, exec_lo
	s_and_saveexec_b32 s16, s14
	s_cbranch_execz .LBB4_7435
.LBB4_7439:                             ;   in Loop: Header=BB4_7436 Depth=1
	s_sleep 1
	s_trap 2
	ds_read_b64 v[2:3], v0
	s_waitcnt lgkmcnt(0)
	buffer_gl0_inv
	s_andn2_b32 s12, s12, exec_lo
	v_cmp_ge_u64_e32 vcc_lo, v[2:3], v[0:1]
	s_orn2_b32 s17, vcc_lo, exec_lo
	s_branch .LBB4_7435
.LBB4_7440:
	s_inst_prefetch 0x2
	s_or_b32 exec_lo, exec_lo, s10
	s_and_saveexec_b32 s10, s11
	s_xor_b32 s10, exec_lo, s10
	s_cbranch_execz .LBB4_7442
; %bb.7441:
	v_mov_b32_e32 v0, 1
	ds_write_b32 v0, v0
	s_trap 2
.LBB4_7442:
	s_or_b32 exec_lo, exec_lo, s7
	;;#ASMSTART
	s_wakeup
	;;#ASMEND
.LBB4_7443:
	s_or_b32 exec_lo, exec_lo, s6
.LBB4_7444:
	s_andn2_saveexec_b32 s4, s4
	s_cbranch_execz .LBB4_7446
; %bb.7445:
	s_waitcnt lgkmcnt(0)
	s_waitcnt_vscnt null, 0x0
	buffer_gl1_inv
	buffer_gl0_inv
	s_barrier
.LBB4_7446:
	s_or_b32 exec_lo, exec_lo, s5
.LBB4_7447:
	s_andn2_saveexec_b32 s25, s15
	s_cbranch_execz .LBB4_7449
; %bb.7448:
	s_getpc_b64 s[4:5]
	s_add_u32 s4, s4, __PRETTY_FUNCTION__._ZN10PrimitivesI11rccl_float813FuncPreMulSumIS0_E12FanSymmetricILi1EELi0E11ProtoSimpleILi1ELi1ELi0ELi2ELi0ELi0EELi0ELb0ELi0ELi0ELi0EEC2EiiPKiS9_PKvPvmhhhP15ncclDevWorkCollP14ncclDevWorkP2pii@rel32@lo+4
	s_addc_u32 s5, s5, __PRETTY_FUNCTION__._ZN10PrimitivesI11rccl_float813FuncPreMulSumIS0_E12FanSymmetricILi1EELi0E11ProtoSimpleILi1ELi1ELi0ELi2ELi0ELi0EELi0ELb0ELi0ELi0ELi0EEC2EiiPKiS9_PKvPvmhhhP15ncclDevWorkCollP14ncclDevWorkP2pii@rel32@hi+12
	v_mov_b32_e32 v0, s4
	v_mov_b32_e32 v1, s5
	s_getpc_b64 s[6:7]
	s_add_u32 s6, s6, __assert_fail@rel32@lo+4
	s_addc_u32 s7, s7, __assert_fail@rel32@hi+12
	s_swappc_b64 s[30:31], s[6:7]
	; divergent unreachable
.LBB4_7449:
	s_or_b32 exec_lo, exec_lo, s25
	s_clause 0x2e
	buffer_load_dword v126, off, s[0:3], s33
	buffer_load_dword v125, off, s[0:3], s33 offset:4
	buffer_load_dword v124, off, s[0:3], s33 offset:8
	;; [unrolled: 1-line block ×46, first 2 shown]
	v_readlane_b32 s30, v127, 0
	v_readlane_b32 s31, v127, 1
	s_mov_b32 s32, s33
	s_or_saveexec_b32 s4, -1
	buffer_load_dword v127, off, s[0:3], s33 offset:188 ; 4-byte Folded Reload
	s_mov_b32 exec_lo, s4
	s_mov_b32 s33, s47
	s_waitcnt vmcnt(0) lgkmcnt(0)
	s_setpc_b64 s[30:31]
.Lfunc_end4:
	.size	_ZN12_GLOBAL__N_17runRingI11rccl_float813FuncPreMulSumIS1_E11ProtoSimpleILi1ELi1ELi0ELi2ELi0ELi0EELi0ELi2ELi0EEEviiP15ncclDevWorkColl, .Lfunc_end4-_ZN12_GLOBAL__N_17runRingI11rccl_float813FuncPreMulSumIS1_E11ProtoSimpleILi1ELi1ELi0ELi2ELi0ELi0EELi0ELi2ELi0EEEviiP15ncclDevWorkColl
                                        ; -- End function
	.set .L_ZN12_GLOBAL__N_17runRingI11rccl_float813FuncPreMulSumIS1_E11ProtoSimpleILi1ELi1ELi0ELi2ELi0ELi0EELi0ELi2ELi0EEEviiP15ncclDevWorkColl.num_vgpr, max(128, .L__assert_fail.num_vgpr)
	.set .L_ZN12_GLOBAL__N_17runRingI11rccl_float813FuncPreMulSumIS1_E11ProtoSimpleILi1ELi1ELi0ELi2ELi0ELi0EELi0ELi2ELi0EEEviiP15ncclDevWorkColl.num_agpr, max(0, .L__assert_fail.num_agpr)
	.set .L_ZN12_GLOBAL__N_17runRingI11rccl_float813FuncPreMulSumIS1_E11ProtoSimpleILi1ELi1ELi0ELi2ELi0ELi0EELi0ELi2ELi0EEEviiP15ncclDevWorkColl.numbered_sgpr, max(48, .L__assert_fail.numbered_sgpr)
	.set .L_ZN12_GLOBAL__N_17runRingI11rccl_float813FuncPreMulSumIS1_E11ProtoSimpleILi1ELi1ELi0ELi2ELi0ELi0EELi0ELi2ELi0EEEviiP15ncclDevWorkColl.num_named_barrier, max(0, .L__assert_fail.num_named_barrier)
	.set .L_ZN12_GLOBAL__N_17runRingI11rccl_float813FuncPreMulSumIS1_E11ProtoSimpleILi1ELi1ELi0ELi2ELi0ELi0EELi0ELi2ELi0EEEviiP15ncclDevWorkColl.private_seg_size, 208+max(.L__assert_fail.private_seg_size)
	.set .L_ZN12_GLOBAL__N_17runRingI11rccl_float813FuncPreMulSumIS1_E11ProtoSimpleILi1ELi1ELi0ELi2ELi0ELi0EELi0ELi2ELi0EEEviiP15ncclDevWorkColl.uses_vcc, or(1, .L__assert_fail.uses_vcc)
	.set .L_ZN12_GLOBAL__N_17runRingI11rccl_float813FuncPreMulSumIS1_E11ProtoSimpleILi1ELi1ELi0ELi2ELi0ELi0EELi0ELi2ELi0EEEviiP15ncclDevWorkColl.uses_flat_scratch, or(1, .L__assert_fail.uses_flat_scratch)
	.set .L_ZN12_GLOBAL__N_17runRingI11rccl_float813FuncPreMulSumIS1_E11ProtoSimpleILi1ELi1ELi0ELi2ELi0ELi0EELi0ELi2ELi0EEEviiP15ncclDevWorkColl.has_dyn_sized_stack, or(0, .L__assert_fail.has_dyn_sized_stack)
	.set .L_ZN12_GLOBAL__N_17runRingI11rccl_float813FuncPreMulSumIS1_E11ProtoSimpleILi1ELi1ELi0ELi2ELi0ELi0EELi0ELi2ELi0EEEviiP15ncclDevWorkColl.has_recursion, or(1, .L__assert_fail.has_recursion)
	.set .L_ZN12_GLOBAL__N_17runRingI11rccl_float813FuncPreMulSumIS1_E11ProtoSimpleILi1ELi1ELi0ELi2ELi0ELi0EELi0ELi2ELi0EEEviiP15ncclDevWorkColl.has_indirect_call, or(0, .L__assert_fail.has_indirect_call)
	.section	.AMDGPU.csdata,"",@progbits
; Function info:
; codeLenInByte = 269016
; TotalNumSgprs: 50
; NumVgprs: 128
; ScratchSize: 272
; MemoryBound: 1
	.text
	.p2align	2                               ; -- Begin function _Z53ncclDevFunc_Reduce_RING_SIMPLE_PreMulSum_f8e4m3_0_0_2v
	.type	_Z53ncclDevFunc_Reduce_RING_SIMPLE_PreMulSum_f8e4m3_0_0_2v,@function
_Z53ncclDevFunc_Reduce_RING_SIMPLE_PreMulSum_f8e4m3_0_0_2v: ; @_Z53ncclDevFunc_Reduce_RING_SIMPLE_PreMulSum_f8e4m3_0_0_2v
; %bb.0:
	s_waitcnt vmcnt(0) expcnt(0) lgkmcnt(0)
	s_mov_b32 s61, s33
	s_mov_b32 s33, s32
	s_or_saveexec_b32 s4, -1
	buffer_store_dword v43, off, s[0:3], s33 offset:16 ; 4-byte Folded Spill
	s_mov_b32 exec_lo, s4
	s_addk_i32 s32, 0x400
	buffer_store_dword v40, off, s[0:3], s33 offset:12 ; 4-byte Folded Spill
	buffer_store_dword v41, off, s[0:3], s33 offset:8 ; 4-byte Folded Spill
	;; [unrolled: 1-line block ×3, first 2 shown]
	buffer_store_dword v127, off, s[0:3], s33 ; 4-byte Folded Spill
	v_writelane_b32 v43, s34, 0
	v_writelane_b32 v43, s35, 1
	;; [unrolled: 1-line block ×4, first 2 shown]
	s_trap 2
	ds_read_b32 v0, v0
	v_mov_b32_e32 v40, v31
	s_mov_b32 s58, s12
	s_mov_b64 s[56:57], s[8:9]
	s_mov_b32 s4, exec_lo
	v_and_b32_e32 v41, 0x3ff, v40
	s_waitcnt lgkmcnt(0)
	v_cmpx_lt_i32_e64 v41, v0
	s_cbranch_execz .LBB5_5
; %bb.1:
	s_load_dword s5, s[56:57], 0x0
	v_mov_b32_e32 v1, 0
	v_mov_b32_e32 v3, v41
                                        ; implicit-def: $vgpr4
	s_waitcnt lgkmcnt(0)
	s_cmp_lt_u32 s58, s5
	s_cselect_b32 s5, 12, 18
	s_add_u32 s6, s56, s5
	s_addc_u32 s7, s57, 0
	s_mov_b32 s5, 0
	global_load_ushort v1, v1, s[6:7]
	s_trap 2
	ds_read_b32 v2, v0
	s_mov_b32 s6, 0
	s_waitcnt vmcnt(0) lgkmcnt(0)
	v_mul_lo_u32 v2, v2, v1
	s_branch .LBB5_3
	.p2align	6
.LBB5_2:                                ;   in Loop: Header=BB5_3 Depth=1
	s_or_b32 exec_lo, exec_lo, s7
	v_add_nc_u32_e32 v3, v3, v1
	v_add_nc_u32_e32 v4, v4, v2
	v_cmp_ge_i32_e32 vcc_lo, v3, v0
	s_or_b32 s6, vcc_lo, s6
	s_andn2_b32 exec_lo, exec_lo, s6
	s_cbranch_execz .LBB5_5
.LBB5_3:                                ; =>This Inner Loop Header: Depth=1
	ds_read_b32 v5, v4
	s_mov_b32 s7, exec_lo
	s_waitcnt lgkmcnt(0)
	v_and_b32_e32 v5, 0x1000000, v5
	v_cmpx_ne_u32_e32 0, v5
	s_cbranch_execz .LBB5_2
; %bb.4:                                ;   in Loop: Header=BB5_3 Depth=1
	ds_read_b64 v[5:6], v4 offset:104
	s_waitcnt lgkmcnt(0)
	flat_load_ubyte v5, v[5:6]
	v_mov_b32_e32 v6, s5
	s_waitcnt vmcnt(0) lgkmcnt(0)
	v_and_b32_e32 v5, 0xffff, v5
	ds_write_b64 v4, v[5:6] offset:104
	s_branch .LBB5_2
.LBB5_5:
	s_or_b32 exec_lo, exec_lo, s4
	s_waitcnt lgkmcnt(0)
	s_waitcnt_vscnt null, 0x0
	s_barrier
	buffer_gl0_inv
	s_trap 2
	ds_read_b32 v0, v0
	s_waitcnt lgkmcnt(0)
	v_cmp_gt_i32_e32 vcc_lo, 1, v0
	s_cbranch_vccnz .LBB5_13
; %bb.6:
	v_mov_b32_e32 v42, 5
	s_mov_b32 s59, 0
	s_inst_prefetch 0x1
	s_branch .LBB5_8
	.p2align	6
.LBB5_7:                                ;   in Loop: Header=BB5_8 Depth=1
	s_or_b32 exec_lo, exec_lo, s60
	s_trap 2
	ds_read_b32 v0, v0
	s_add_i32 s59, s59, 1
	s_waitcnt lgkmcnt(0)
	v_cmp_lt_i32_e32 vcc_lo, s59, v0
	s_cbranch_vccz .LBB5_13
.LBB5_8:                                ; =>This Inner Loop Header: Depth=1
	s_trap 2
	ds_read_b32 v0, v0
	s_cmp_eq_u32 s59, 0
	s_cbranch_scc1 .LBB5_11
; %bb.9:                                ;   in Loop: Header=BB5_8 Depth=1
	s_trap 2
	s_waitcnt lgkmcnt(0)
	ds_read_b32 v1, v0
	s_waitcnt lgkmcnt(0)
	v_xor_b32_e32 v1, v1, v0
	v_and_b32_e32 v1, 0xff0000, v1
	v_cmp_eq_u32_e32 vcc_lo, 0, v1
	s_cbranch_vccnz .LBB5_11
; %bb.10:                               ;   in Loop: Header=BB5_8 Depth=1
	s_barrier
	buffer_gl0_inv
	ds_read_b32 v0, v0
.LBB5_11:                               ;   in Loop: Header=BB5_8 Depth=1
	s_waitcnt lgkmcnt(0)
	v_lshlrev_b32_sdwa v1, v42, v0 dst_sel:DWORD dst_unused:UNUSED_PAD src0_sel:DWORD src1_sel:BYTE_2
	s_mov_b32 s60, exec_lo
	v_cmpx_lt_u32_e64 v41, v1
	s_cbranch_execz .LBB5_7
; %bb.12:                               ;   in Loop: Header=BB5_8 Depth=1
	s_mov_b64 s[4:5], src_shared_base
	v_mov_b32_e32 v31, v40
	v_mov_b32_e32 v0, v41
	;; [unrolled: 1-line block ×3, first 2 shown]
	s_getpc_b64 s[6:7]
	s_add_u32 s6, s6, _ZN12_GLOBAL__N_17runRingI11rccl_float813FuncPreMulSumIS1_E11ProtoSimpleILi1ELi1ELi0ELi2ELi0ELi0EELi0ELi2ELi0EEEviiP15ncclDevWorkColl@rel32@lo+4
	s_addc_u32 s7, s7, _ZN12_GLOBAL__N_17runRingI11rccl_float813FuncPreMulSumIS1_E11ProtoSimpleILi1ELi1ELi0ELi2ELi0ELi0EELi0ELi2ELi0EEEviiP15ncclDevWorkColl@rel32@hi+12
	s_mov_b64 s[8:9], s[56:57]
	s_mov_b32 s12, s58
	s_swappc_b64 s[30:31], s[6:7]
	s_branch .LBB5_7
.LBB5_13:
	s_inst_prefetch 0x2
	s_clause 0x3
	buffer_load_dword v127, off, s[0:3], s33
	buffer_load_dword v42, off, s[0:3], s33 offset:4
	buffer_load_dword v41, off, s[0:3], s33 offset:8
	;; [unrolled: 1-line block ×3, first 2 shown]
	v_readlane_b32 s30, v43, 2
	v_readlane_b32 s31, v43, 3
	;; [unrolled: 1-line block ×4, first 2 shown]
	s_mov_b32 s32, s33
	s_or_saveexec_b32 s4, -1
	buffer_load_dword v43, off, s[0:3], s33 offset:16 ; 4-byte Folded Reload
	s_mov_b32 exec_lo, s4
	s_mov_b32 s33, s61
	s_waitcnt vmcnt(0)
	s_setpc_b64 s[30:31]
.Lfunc_end5:
	.size	_Z53ncclDevFunc_Reduce_RING_SIMPLE_PreMulSum_f8e4m3_0_0_2v, .Lfunc_end5-_Z53ncclDevFunc_Reduce_RING_SIMPLE_PreMulSum_f8e4m3_0_0_2v
                                        ; -- End function
	.set .L_Z53ncclDevFunc_Reduce_RING_SIMPLE_PreMulSum_f8e4m3_0_0_2v.num_vgpr, max(128, .L_ZN12_GLOBAL__N_17runRingI11rccl_float813FuncPreMulSumIS1_E11ProtoSimpleILi1ELi1ELi0ELi2ELi0ELi0EELi0ELi2ELi0EEEviiP15ncclDevWorkColl.num_vgpr)
	.set .L_Z53ncclDevFunc_Reduce_RING_SIMPLE_PreMulSum_f8e4m3_0_0_2v.num_agpr, max(0, .L_ZN12_GLOBAL__N_17runRingI11rccl_float813FuncPreMulSumIS1_E11ProtoSimpleILi1ELi1ELi0ELi2ELi0ELi0EELi0ELi2ELi0EEEviiP15ncclDevWorkColl.num_agpr)
	.set .L_Z53ncclDevFunc_Reduce_RING_SIMPLE_PreMulSum_f8e4m3_0_0_2v.numbered_sgpr, max(62, .L_ZN12_GLOBAL__N_17runRingI11rccl_float813FuncPreMulSumIS1_E11ProtoSimpleILi1ELi1ELi0ELi2ELi0ELi0EELi0ELi2ELi0EEEviiP15ncclDevWorkColl.numbered_sgpr)
	.set .L_Z53ncclDevFunc_Reduce_RING_SIMPLE_PreMulSum_f8e4m3_0_0_2v.num_named_barrier, max(0, .L_ZN12_GLOBAL__N_17runRingI11rccl_float813FuncPreMulSumIS1_E11ProtoSimpleILi1ELi1ELi0ELi2ELi0ELi0EELi0ELi2ELi0EEEviiP15ncclDevWorkColl.num_named_barrier)
	.set .L_Z53ncclDevFunc_Reduce_RING_SIMPLE_PreMulSum_f8e4m3_0_0_2v.private_seg_size, 32+max(.L_ZN12_GLOBAL__N_17runRingI11rccl_float813FuncPreMulSumIS1_E11ProtoSimpleILi1ELi1ELi0ELi2ELi0ELi0EELi0ELi2ELi0EEEviiP15ncclDevWorkColl.private_seg_size)
	.set .L_Z53ncclDevFunc_Reduce_RING_SIMPLE_PreMulSum_f8e4m3_0_0_2v.uses_vcc, or(1, .L_ZN12_GLOBAL__N_17runRingI11rccl_float813FuncPreMulSumIS1_E11ProtoSimpleILi1ELi1ELi0ELi2ELi0ELi0EELi0ELi2ELi0EEEviiP15ncclDevWorkColl.uses_vcc)
	.set .L_Z53ncclDevFunc_Reduce_RING_SIMPLE_PreMulSum_f8e4m3_0_0_2v.uses_flat_scratch, or(0, .L_ZN12_GLOBAL__N_17runRingI11rccl_float813FuncPreMulSumIS1_E11ProtoSimpleILi1ELi1ELi0ELi2ELi0ELi0EELi0ELi2ELi0EEEviiP15ncclDevWorkColl.uses_flat_scratch)
	.set .L_Z53ncclDevFunc_Reduce_RING_SIMPLE_PreMulSum_f8e4m3_0_0_2v.has_dyn_sized_stack, or(0, .L_ZN12_GLOBAL__N_17runRingI11rccl_float813FuncPreMulSumIS1_E11ProtoSimpleILi1ELi1ELi0ELi2ELi0ELi0EELi0ELi2ELi0EEEviiP15ncclDevWorkColl.has_dyn_sized_stack)
	.set .L_Z53ncclDevFunc_Reduce_RING_SIMPLE_PreMulSum_f8e4m3_0_0_2v.has_recursion, or(1, .L_ZN12_GLOBAL__N_17runRingI11rccl_float813FuncPreMulSumIS1_E11ProtoSimpleILi1ELi1ELi0ELi2ELi0ELi0EELi0ELi2ELi0EEEviiP15ncclDevWorkColl.has_recursion)
	.set .L_Z53ncclDevFunc_Reduce_RING_SIMPLE_PreMulSum_f8e4m3_0_0_2v.has_indirect_call, or(0, .L_ZN12_GLOBAL__N_17runRingI11rccl_float813FuncPreMulSumIS1_E11ProtoSimpleILi1ELi1ELi0ELi2ELi0ELi0EELi0ELi2ELi0EEEviiP15ncclDevWorkColl.has_indirect_call)
	.section	.AMDGPU.csdata,"",@progbits
; Function info:
; codeLenInByte = 744
; TotalNumSgprs: 64
; NumVgprs: 128
; ScratchSize: 304
; MemoryBound: 0
	.text
	.p2align	2                               ; -- Begin function _ZN12_GLOBAL__N_17runRingI11rccl_float813FuncPreMulSumIS1_E11ProtoSimpleILi1ELi1ELi0ELi4ELi0ELi0EELi0ELi4ELi0EEEviiP15ncclDevWorkColl
	.type	_ZN12_GLOBAL__N_17runRingI11rccl_float813FuncPreMulSumIS1_E11ProtoSimpleILi1ELi1ELi0ELi4ELi0ELi0EELi0ELi4ELi0EEEviiP15ncclDevWorkColl,@function
_ZN12_GLOBAL__N_17runRingI11rccl_float813FuncPreMulSumIS1_E11ProtoSimpleILi1ELi1ELi0ELi4ELi0ELi0EELi0ELi4ELi0EEEviiP15ncclDevWorkColl: ; @_ZN12_GLOBAL__N_17runRingI11rccl_float813FuncPreMulSumIS1_E11ProtoSimpleILi1ELi1ELi0ELi4ELi0ELi0EELi0ELi4ELi0EEEviiP15ncclDevWorkColl
; %bb.0:
	s_waitcnt vmcnt(0) expcnt(0) lgkmcnt(0)
	s_mov_b32 s47, s33
	s_mov_b32 s33, s32
	s_or_saveexec_b32 s4, -1
	buffer_store_dword v127, off, s[0:3], s33 offset:452 ; 4-byte Folded Spill
	s_mov_b32 exec_lo, s4
	s_addk_i32 s32, 0x3a00
	buffer_store_dword v40, off, s[0:3], s33 offset:184 ; 4-byte Folded Spill
	buffer_store_dword v41, off, s[0:3], s33 offset:180 ; 4-byte Folded Spill
	;; [unrolled: 1-line block ×46, first 2 shown]
	buffer_store_dword v126, off, s[0:3], s33 ; 4-byte Folded Spill
	v_writelane_b32 v127, s30, 0
	v_writelane_b32 v127, s31, 1
	buffer_store_dword v31, off, s[0:3], s33 offset:424 ; 4-byte Folded Spill
	buffer_store_dword v1, off, s[0:3], s33 offset:384 ; 4-byte Folded Spill
	;; [unrolled: 1-line block ×3, first 2 shown]
	s_trap 2
	ds_read_b64 v[14:15], v0
	ds_read_b32 v4, v0
	flat_load_dwordx2 v[8:9], v[2:3]
                                        ; implicit-def: $vgpr17_vgpr18
                                        ; implicit-def: $vgpr96_vgpr97
	s_waitcnt lgkmcnt(2)
	v_ashrrev_i32_e32 v1, 31, v15
	v_mov_b32_e32 v0, v15
	v_lshlrev_b64 v[0:1], 2, v[0:1]
	v_add_co_u32 v0, vcc_lo, v14, v0
	v_add_co_ci_u32_e64 v1, null, v15, v1, vcc_lo
	v_add_co_u32 v0, vcc_lo, -4, v0
	v_add_co_ci_u32_e64 v1, null, -1, v1, vcc_lo
	flat_load_ushort v16, v[2:3] offset:8
	flat_load_dword v1, v[0:1]
	s_waitcnt vmcnt(2) lgkmcnt(2)
	v_mov_b32_e32 v15, v9
	v_cmp_ne_u32_sdwa s4, v4, v8 src0_sel:DWORD src1_sel:BYTE_0
                                        ; implicit-def: $vgpr9_vgpr10
	s_and_saveexec_b32 s5, s4
	s_xor_b32 s4, exec_lo, s5
	s_cbranch_execz .LBB6_6
; %bb.1:
	v_not_b32_sdwa v0, v8 dst_sel:DWORD dst_unused:UNUSED_PAD src0_sel:BYTE_0
	v_cmp_ne_u32_sdwa s5, v4, v8 src0_sel:DWORD src1_sel:BYTE_1
                                        ; implicit-def: $vgpr17_vgpr18
                                        ; implicit-def: $vgpr9_vgpr10
                                        ; implicit-def: $vgpr96_vgpr97
	s_and_saveexec_b32 s6, s5
	s_xor_b32 s5, exec_lo, s6
	s_cbranch_execz .LBB6_3
; %bb.2:
	s_clause 0x1
	flat_load_dwordx4 v[5:8], v[2:3] offset:72
	flat_load_dwordx2 v[9:10], v[2:3] offset:96
	v_add_nc_u32_e32 v0, v4, v0
	v_ashrrev_i32_e32 v4, 31, v0
	s_waitcnt vmcnt(1) lgkmcnt(1)
	v_mul_lo_u32 v4, v7, v4
	v_mad_u64_u32 v[96:97], null, v7, v0, v[5:6]
	v_mul_lo_u32 v0, v8, v0
	s_waitcnt vmcnt(0) lgkmcnt(0)
	v_lshrrev_b64 v[17:18], 12, v[9:10]
	v_mov_b32_e32 v10, v8
	v_mov_b32_e32 v9, v7
                                        ; implicit-def: $vgpr8
	v_add3_u32 v97, v0, v97, v4
                                        ; implicit-def: $vgpr0
.LBB6_3:
	s_andn2_saveexec_b32 s5, s5
	s_cbranch_execz .LBB6_5
; %bb.4:
	s_clause 0x1
	flat_load_dwordx4 v[4:7], v[2:3] offset:72
	flat_load_dwordx4 v[9:12], v[2:3] offset:88
	v_add_nc_u32_sdwa v0, v8, v0 dst_sel:DWORD dst_unused:UNUSED_PAD src0_sel:BYTE_1 src1_sel:DWORD
	v_ashrrev_i32_e32 v8, 31, v0
	s_waitcnt vmcnt(1) lgkmcnt(1)
	v_mul_lo_u32 v8, v6, v8
	v_mad_u64_u32 v[96:97], null, v6, v0, v[4:5]
	v_mul_lo_u32 v0, v7, v0
	s_waitcnt vmcnt(0) lgkmcnt(0)
	v_lshrrev_b32_e32 v17, 1, v12
	v_add3_u32 v97, v0, v97, v8
.LBB6_5:
	s_or_b32 exec_lo, exec_lo, s5
.LBB6_6:
	s_andn2_saveexec_b32 s4, s4
	s_cbranch_execz .LBB6_8
; %bb.7:
	s_clause 0x1
	flat_load_dwordx2 v[4:5], v[2:3] offset:96
	flat_load_dwordx2 v[9:10], v[2:3] offset:72
	v_mov_b32_e32 v96, 0
	v_mov_b32_e32 v97, 0
	s_waitcnt vmcnt(1) lgkmcnt(1)
	v_lshlrev_b64 v[17:18], 9, v[4:5]
.LBB6_8:
	s_or_b32 exec_lo, exec_lo, s4
	s_trap 2
	buffer_load_dword v6, off, s[0:3], s33 offset:384 ; 4-byte Folded Reload
	ds_read_b64 v[4:5], v0
	s_mov_b32 s5, exec_lo
	s_waitcnt lgkmcnt(0)
	v_cmp_ne_u32_e32 vcc_lo, -1, v4
	v_cndmask_b32_e64 v0, 0, 1, vcc_lo
	v_cmp_ne_u32_e32 vcc_lo, -1, v5
	v_add_co_ci_u32_e64 v4, null, 0, v0, vcc_lo
	v_lshlrev_b32_e32 v5, 1, v4
	s_waitcnt vmcnt(0)
	v_cmpx_le_u32_e64 v5, v6
	s_xor_b32 s15, exec_lo, s5
	s_cbranch_execnz .LBB6_9
; %bb.12582:
	s_getpc_b64 s[34:35]
.Lpost_getpc10:
	s_add_u32 s34, s34, (.LBB6_12567-.Lpost_getpc10)&4294967295
	s_addc_u32 s35, s35, (.LBB6_12567-.Lpost_getpc10)>>32
	s_setpc_b64 s[34:35]
.LBB6_9:
	buffer_store_dword v9, off, s[0:3], s33 offset:344 ; 4-byte Folded Spill
	buffer_store_dword v10, off, s[0:3], s33 offset:348 ; 4-byte Folded Spill
	;; [unrolled: 1-line block ×4, first 2 shown]
	s_clause 0x1
	flat_load_dwordx4 v[10:13], v[2:3] offset:16
	flat_load_dwordx2 v[18:19], v[2:3] offset:104
	s_trap 2
	s_load_dword s4, s[8:9], 0x0
	v_mov_b32_e32 v2, 0
	s_waitcnt lgkmcnt(0)
	s_cmp_lt_u32 s12, s4
	s_cselect_b32 s4, 12, 18
	s_add_u32 s4, s8, s4
	s_addc_u32 s5, s9, 0
	global_load_ushort v2, v2, s[4:5]
	s_waitcnt vmcnt(0)
	buffer_store_dword v2, off, s[0:3], s33 offset:428 ; 4-byte Folded Spill
	ds_read_b32 v2, v0
	s_waitcnt lgkmcnt(0)
	v_readfirstlane_b32 s16, v2
	buffer_load_dword v2, off, s[0:3], s33 offset:376 ; 4-byte Folded Reload
	s_waitcnt vmcnt(0)
	v_cmp_ge_u32_e64 s4, v2, v0
	v_mov_b32_e32 v2, 4
	s_and_saveexec_b32 s5, s4
	s_cbranch_execz .LBB6_19
; %bb.10:
	buffer_load_dword v2, off, s[0:3], s33 offset:376 ; 4-byte Folded Reload
	s_waitcnt vmcnt(0)
	v_cmp_ge_u32_e64 s4, v2, v4
                                        ; implicit-def: $vgpr2
	s_and_saveexec_b32 s6, s4
	s_xor_b32 s4, exec_lo, s6
	s_cbranch_execz .LBB6_16
; %bb.11:
	buffer_load_dword v3, off, s[0:3], s33 offset:384 ; 4-byte Folded Reload
	v_cndmask_b32_e64 v2, 0, 1, vcc_lo
	s_mov_b32 s6, exec_lo
	s_waitcnt vmcnt(0)
	v_sub_nc_u32_e32 v2, v3, v2
	buffer_load_dword v3, off, s[0:3], s33 offset:376 ; 4-byte Folded Reload
	s_waitcnt vmcnt(0)
	v_cmpx_ge_u32_e64 v3, v2
	s_xor_b32 s6, exec_lo, s6
; %bb.12:
                                        ; implicit-def: $vgpr4
; %bb.13:
	s_or_saveexec_b32 s6, s6
	v_mov_b32_e32 v2, 16
	s_xor_b32 exec_lo, exec_lo, s6
	s_cbranch_execz .LBB6_15
; %bb.14:
	s_clause 0x1
	buffer_load_dword v2, off, s[0:3], s33 offset:384
	buffer_load_dword v3, off, s[0:3], s33 offset:376
	s_waitcnt vmcnt(1)
	v_sub_nc_u32_e32 v2, v2, v4
	s_waitcnt vmcnt(0)
	v_cmp_lt_i32_e32 vcc_lo, v3, v2
	v_cndmask_b32_e64 v2, 32, 0, vcc_lo
.LBB6_15:
	s_or_b32 exec_lo, exec_lo, s6
.LBB6_16:
	s_andn2_saveexec_b32 s4, s4
; %bb.17:
	v_mov_b32_e32 v2, 8
; %bb.18:
	s_or_b32 exec_lo, exec_lo, s4
.LBB6_19:
	s_or_b32 exec_lo, exec_lo, s5
	buffer_store_dword v2, off, s[0:3], s33 offset:196 ; 4-byte Folded Spill
	v_and_b32_e32 v2, 36, v2
	v_mov_b32_e32 v20, -1
	v_cmp_ne_u32_e32 vcc_lo, 0, v2
	s_and_saveexec_b32 s4, vcc_lo
	s_cbranch_execz .LBB6_21
; %bb.20:
	s_trap 2
	ds_read_b32 v20, v0
.LBB6_21:
	s_or_b32 exec_lo, exec_lo, s4
	buffer_load_dword v2, off, s[0:3], s33 offset:196 ; 4-byte Folded Reload
	s_mov_b32 s5, exec_lo
	s_waitcnt vmcnt(0)
	v_and_b32_e32 v2, 24, v2
	v_cmpx_ne_u32_e32 0, v2
	s_cbranch_execz .LBB6_23
; %bb.22:
	s_trap 2
	s_waitcnt lgkmcnt(0)
	ds_read_b32 v20, v0
.LBB6_23:
	s_or_b32 exec_lo, exec_lo, s5
	v_lshrrev_b64 v[2:3], 31, v[15:16]
	v_mov_b32_e32 v3, 0
	v_mov_b32_e32 v4, 0
	s_waitcnt lgkmcnt(0)
	v_ashrrev_i32_e32 v21, 31, v20
                                        ; implicit-def: $vgpr38_vgpr39
	buffer_store_dword v3, off, s[0:3], s33 offset:416 ; 4-byte Folded Spill
	buffer_store_dword v4, off, s[0:3], s33 offset:420 ; 4-byte Folded Spill
	v_and_b32_e32 v2, 3, v2
	v_mov_b32_e32 v3, 0
	v_mov_b32_e32 v4, 0
	buffer_store_dword v3, off, s[0:3], s33 offset:200 ; 4-byte Folded Spill
	buffer_store_dword v4, off, s[0:3], s33 offset:204 ; 4-byte Folded Spill
	;; [unrolled: 1-line block ×4, first 2 shown]
	v_and_b32_e32 v2, 0xffff, v2
                                        ; implicit-def: $vgpr3_vgpr4
                                        ; kill: killed $vgpr3_vgpr4
                                        ; implicit-def: $vgpr3
                                        ; kill: killed $vgpr3
                                        ; implicit-def: $vgpr3_vgpr4
                                        ; kill: killed $vgpr3_vgpr4
                                        ; implicit-def: $vgpr3_vgpr4
                                        ; kill: killed $vgpr3_vgpr4
	s_and_saveexec_b32 s4, vcc_lo
	s_cbranch_execz .LBB6_33
; %bb.24:
	s_trap 2
	ds_read_b64 v[3:4], v0
	v_lshlrev_b64 v[5:6], 3, v[20:21]
	s_waitcnt lgkmcnt(0)
	v_add_co_u32 v3, vcc_lo, v3, v5
	v_add_co_ci_u32_e64 v4, null, v4, v6, vcc_lo
	flat_load_dwordx2 v[3:4], v[3:4]
	s_waitcnt vmcnt(0) lgkmcnt(0)
	v_mad_u64_u32 v[22:23], null, 0xa8, v2, v[3:4]
	flat_load_dword v3, v[22:23] offset:640
	s_waitcnt vmcnt(0) lgkmcnt(0)
	v_cmp_eq_u32_e32 vcc_lo, 1, v3
                                        ; implicit-def: $vgpr3_vgpr4
                                        ; kill: killed $vgpr3_vgpr4
	s_and_saveexec_b32 s5, vcc_lo
	s_cbranch_execz .LBB6_26
; %bb.25:
	flat_load_dwordx2 v[5:6], v[22:23] offset:648
	s_waitcnt vmcnt(0) lgkmcnt(0)
	flat_load_dwordx2 v[3:4], v[5:6]
	s_trap 2
	s_waitcnt vmcnt(0) lgkmcnt(0)
	ds_write_b64 v0, v[3:4]
	flat_load_dwordx2 v[3:4], v[5:6] offset:8
	s_waitcnt vmcnt(0) lgkmcnt(0)
	ds_write_b64 v0, v[3:4]
	buffer_store_dword v5, off, s[0:3], s33 offset:440 ; 4-byte Folded Spill
	buffer_store_dword v6, off, s[0:3], s33 offset:444 ; 4-byte Folded Spill
	flat_load_dwordx2 v[3:4], v[5:6] offset:16
	buffer_load_dword v5, off, s[0:3], s33 offset:196 ; 4-byte Folded Reload
	s_waitcnt vmcnt(1) lgkmcnt(0)
	ds_write_b64 v0, v[3:4]
	s_waitcnt vmcnt(0)
	v_or_b32_e32 v5, 0x2000, v5
	buffer_store_dword v5, off, s[0:3], s33 offset:196 ; 4-byte Folded Spill
.LBB6_26:
	s_or_b32 exec_lo, exec_lo, s5
	buffer_load_dword v3, off, s[0:3], s33 offset:196 ; 4-byte Folded Reload
	flat_load_dwordx2 v[6:7], v[22:23] offset:608
	s_waitcnt vmcnt(1)
	v_and_b32_e32 v3, 32, v3
	v_cmp_ne_u32_e32 vcc_lo, 0, v3
                                        ; implicit-def: $vgpr3_vgpr4
                                        ; kill: killed $vgpr3_vgpr4
	s_and_saveexec_b32 s5, vcc_lo
	s_cbranch_execz .LBB6_28
; %bb.27:
	flat_load_dwordx2 v[3:4], v[22:23] offset:560
	s_waitcnt vmcnt(0) lgkmcnt(0)
	buffer_store_dword v3, off, s[0:3], s33 offset:188 ; 4-byte Folded Spill
	buffer_store_dword v4, off, s[0:3], s33 offset:192 ; 4-byte Folded Spill
	s_waitcnt_vscnt null, 0x0
	flat_store_dwordx2 v[3:4], v[6:7]
.LBB6_28:
	s_or_b32 exec_lo, exec_lo, s5
	buffer_load_dword v3, off, s[0:3], s33 offset:196 ; 4-byte Folded Reload
	v_add_co_u32 v4, vcc_lo, 0x1f8, v22
	v_add_co_ci_u32_e64 v5, null, 0, v23, vcc_lo
                                        ; implicit-def: $vgpr38_vgpr39
	buffer_store_dword v4, off, s[0:3], s33 offset:416 ; 4-byte Folded Spill
	buffer_store_dword v5, off, s[0:3], s33 offset:420 ; 4-byte Folded Spill
	v_mov_b32_e32 v4, 0
	v_mov_b32_e32 v5, 0
	buffer_store_dword v4, off, s[0:3], s33 offset:200 ; 4-byte Folded Spill
	buffer_store_dword v5, off, s[0:3], s33 offset:204 ; 4-byte Folded Spill
	s_waitcnt vmcnt(1) lgkmcnt(0)
	buffer_store_dword v6, off, s[0:3], s33 offset:208 ; 4-byte Folded Spill
	buffer_store_dword v7, off, s[0:3], s33 offset:212 ; 4-byte Folded Spill
	s_waitcnt vmcnt(0)
	v_and_b32_e32 v3, 4, v3
	v_cmp_ne_u32_e32 vcc_lo, 0, v3
                                        ; implicit-def: $vgpr3
                                        ; kill: killed $vgpr3
                                        ; implicit-def: $vgpr3_vgpr4
                                        ; kill: killed $vgpr3_vgpr4
	s_and_saveexec_b32 s5, vcc_lo
	s_cbranch_execz .LBB6_32
; %bb.29:
	buffer_load_dword v3, off, s[0:3], s33 offset:196 ; 4-byte Folded Reload
	s_mov_b32 s6, exec_lo
	s_waitcnt vmcnt(0)
	v_and_b32_e32 v3, 0x800, v3
	v_cmpx_eq_u32_e32 0, v3
	s_cbranch_execz .LBB6_31
; %bb.30:
	s_trap 2
	s_clause 0x1
	buffer_load_dword v3, off, s[0:3], s33 offset:416
	buffer_load_dword v4, off, s[0:3], s33 offset:420
	s_waitcnt vmcnt(0)
	ds_write_b64 v0, v[3:4]
.LBB6_31:
	s_or_b32 exec_lo, exec_lo, s6
	flat_load_dwordx2 v[3:4], v[22:23] offset:552
	s_waitcnt vmcnt(0) lgkmcnt(0)
	buffer_store_dword v3, off, s[0:3], s33 offset:188 ; 4-byte Folded Spill
	buffer_store_dword v4, off, s[0:3], s33 offset:192 ; 4-byte Folded Spill
	flat_load_dwordx2 v[38:39], v[3:4] glc dlc
	s_clause 0x3
	buffer_load_dword v3, off, s[0:3], s33 offset:200
	buffer_load_dword v4, off, s[0:3], s33 offset:204
	;; [unrolled: 1-line block ×4, first 2 shown]
	s_waitcnt vmcnt(0)
	v_mov_b32_e32 v8, v6
	v_mov_b32_e32 v7, v5
	s_clause 0x1
	flat_load_dwordx2 v[5:6], v[22:23] offset:600
	flat_load_dword v3, v[22:23] offset:576
	s_waitcnt vmcnt(0) lgkmcnt(0)
	buffer_store_dword v3, off, s[0:3], s33 offset:396 ; 4-byte Folded Spill
	flat_load_dwordx2 v[3:4], v[22:23] offset:520
	s_waitcnt vmcnt(0) lgkmcnt(0)
	buffer_store_dword v3, off, s[0:3], s33 offset:368 ; 4-byte Folded Spill
	buffer_store_dword v4, off, s[0:3], s33 offset:372 ; 4-byte Folded Spill
	buffer_load_dword v4, off, s[0:3], s33 offset:196 ; 4-byte Folded Reload
	buffer_store_dword v5, off, s[0:3], s33 offset:200 ; 4-byte Folded Spill
	buffer_store_dword v6, off, s[0:3], s33 offset:204 ; 4-byte Folded Spill
	buffer_store_dword v7, off, s[0:3], s33 offset:208 ; 4-byte Folded Spill
	buffer_store_dword v8, off, s[0:3], s33 offset:212 ; 4-byte Folded Spill
	v_cmp_eq_u64_e32 vcc_lo, 0, v[5:6]
	s_waitcnt vmcnt(0)
	v_or_b32_e32 v3, 0x100, v4
	v_cndmask_b32_e32 v4, v3, v4, vcc_lo
	buffer_store_dword v4, off, s[0:3], s33 offset:196 ; 4-byte Folded Spill
.LBB6_32:
	s_or_b32 exec_lo, exec_lo, s5
.LBB6_33:
	s_or_b32 exec_lo, exec_lo, s4
	buffer_load_dword v3, off, s[0:3], s33 offset:196 ; 4-byte Folded Reload
	s_waitcnt vmcnt(0)
	v_and_b32_e32 v3, 24, v3
	v_cmp_ne_u32_e32 vcc_lo, 0, v3
                                        ; implicit-def: $vgpr3_vgpr4
                                        ; kill: killed $vgpr3_vgpr4
	s_and_saveexec_b32 s4, vcc_lo
	s_cbranch_execz .LBB6_41
; %bb.34:
	s_trap 2
	ds_read_b64 v[3:4], v0
	v_lshlrev_b64 v[5:6], 3, v[20:21]
	s_waitcnt lgkmcnt(0)
	v_add_co_u32 v3, vcc_lo, v3, v5
	v_add_co_ci_u32_e64 v4, null, v4, v6, vcc_lo
	flat_load_dwordx2 v[3:4], v[3:4]
	s_waitcnt vmcnt(0) lgkmcnt(0)
	v_mad_u64_u32 v[2:3], null, 0xa8, v2, v[3:4]
	buffer_store_dword v2, off, s[0:3], s33 offset:416 ; 4-byte Folded Spill
	buffer_store_dword v3, off, s[0:3], s33 offset:420 ; 4-byte Folded Spill
	flat_load_dwordx4 v[4:7], v[2:3] offset:96
	buffer_load_dword v3, off, s[0:3], s33 offset:196 ; 4-byte Folded Reload
	s_waitcnt vmcnt(1) lgkmcnt(0)
	buffer_store_dword v4, off, s[0:3], s33 offset:200 ; 4-byte Folded Spill
	buffer_store_dword v5, off, s[0:3], s33 offset:204 ; 4-byte Folded Spill
	;; [unrolled: 1-line block ×4, first 2 shown]
	s_waitcnt vmcnt(0)
	v_or_b32_e32 v2, 0x100, v3
	v_cmp_eq_u64_e32 vcc_lo, 0, v[4:5]
	v_cndmask_b32_e32 v3, v2, v3, vcc_lo
	v_and_b32_e32 v2, 16, v3
	buffer_store_dword v3, off, s[0:3], s33 offset:196 ; 4-byte Folded Spill
	v_cmp_ne_u32_e32 vcc_lo, 0, v2
                                        ; implicit-def: $vgpr2_vgpr3
                                        ; kill: killed $vgpr2_vgpr3
	s_and_saveexec_b32 s5, vcc_lo
	s_cbranch_execz .LBB6_36
; %bb.35:
	s_clause 0x1
	buffer_load_dword v2, off, s[0:3], s33 offset:416
	buffer_load_dword v3, off, s[0:3], s33 offset:420
	s_waitcnt vmcnt(0)
	flat_load_dwordx2 v[4:5], v[2:3] offset:48
	s_waitcnt vmcnt(0) lgkmcnt(0)
	buffer_store_dword v4, off, s[0:3], s33 offset:188 ; 4-byte Folded Spill
	buffer_store_dword v5, off, s[0:3], s33 offset:192 ; 4-byte Folded Spill
	flat_load_dwordx2 v[4:5], v[2:3] offset:120
	s_waitcnt vmcnt(0) lgkmcnt(0)
	buffer_store_dword v4, off, s[0:3], s33 offset:400 ; 4-byte Folded Spill
	buffer_store_dword v5, off, s[0:3], s33 offset:404 ; 4-byte Folded Spill
	;; [unrolled: 4-line block ×3, first 2 shown]
.LBB6_36:
	s_or_b32 exec_lo, exec_lo, s5
	buffer_load_dword v2, off, s[0:3], s33 offset:196 ; 4-byte Folded Reload
	s_mov_b32 s5, exec_lo
	s_waitcnt vmcnt(0)
	v_and_b32_e32 v2, 8, v2
	v_cmpx_ne_u32_e32 0, v2
	s_cbranch_execz .LBB6_40
; %bb.37:
	buffer_load_dword v2, off, s[0:3], s33 offset:196 ; 4-byte Folded Reload
	s_mov_b32 s6, exec_lo
	s_waitcnt vmcnt(0)
	v_and_b32_e32 v2, 0x800, v2
	v_cmpx_eq_u32_e32 0, v2
	s_cbranch_execz .LBB6_39
; %bb.38:
	s_trap 2
	s_clause 0x1
	buffer_load_dword v2, off, s[0:3], s33 offset:416
	buffer_load_dword v3, off, s[0:3], s33 offset:420
	s_waitcnt vmcnt(0)
	ds_write_b64 v0, v[2:3]
.LBB6_39:
	s_or_b32 exec_lo, exec_lo, s6
	s_clause 0x1
	buffer_load_dword v2, off, s[0:3], s33 offset:416
	buffer_load_dword v3, off, s[0:3], s33 offset:420
	s_waitcnt vmcnt(0)
	flat_load_dwordx2 v[4:5], v[2:3] offset:56
	s_waitcnt vmcnt(0) lgkmcnt(0)
	buffer_store_dword v4, off, s[0:3], s33 offset:188 ; 4-byte Folded Spill
	buffer_store_dword v5, off, s[0:3], s33 offset:192 ; 4-byte Folded Spill
	flat_load_dwordx2 v[38:39], v[4:5] glc dlc
	s_clause 0x1
	flat_load_dword v4, v[2:3] offset:72
	flat_load_dwordx2 v[2:3], v[2:3] offset:16
	s_waitcnt vmcnt(1) lgkmcnt(1)
	buffer_store_dword v4, off, s[0:3], s33 offset:396 ; 4-byte Folded Spill
	s_waitcnt vmcnt(0) lgkmcnt(0)
	buffer_store_dword v2, off, s[0:3], s33 offset:368 ; 4-byte Folded Spill
	buffer_store_dword v3, off, s[0:3], s33 offset:372 ; 4-byte Folded Spill
.LBB6_40:
	s_or_b32 exec_lo, exec_lo, s5
.LBB6_41:
	s_or_b32 exec_lo, exec_lo, s4
	buffer_load_dword v2, off, s[0:3], s33 offset:376 ; 4-byte Folded Reload
	s_waitcnt vmcnt(0)
	v_cmp_eq_u32_e64 s4, 0, v2
	s_and_saveexec_b32 s5, s4
	s_cbranch_execz .LBB6_43
; %bb.42:
	v_mov_b32_e32 v4, 0
	v_mov_b32_e32 v2, v12
	;; [unrolled: 1-line block ×6, first 2 shown]
	ds_write2_b64 v0, v[2:3], v[6:7] offset1:1
	s_trap 2
	ds_write_b64 v0, v[4:5]
	ds_write_b64 v0, v[18:19]
.LBB6_43:
	s_or_b32 exec_lo, exec_lo, s5
	v_and_b32_e32 v3, 0x3ffffe00, v17
	v_mov_b32_e32 v4, 0
	v_bfe_u32 v2, v15, 1, 30
	buffer_store_dword v3, off, s[0:3], s33 offset:336 ; 4-byte Folded Spill
	buffer_store_dword v4, off, s[0:3], s33 offset:340 ; 4-byte Folded Spill
	v_cmp_ne_u32_e32 vcc_lo, v1, v2
                                        ; implicit-def: $vgpr3_vgpr4
                                        ; kill: killed $vgpr3_vgpr4
	s_mov_b32 s5, exec_lo
	s_clause 0x3
	buffer_load_dword v19, off, s[0:3], s33 offset:344
	buffer_load_dword v20, off, s[0:3], s33 offset:348
	;; [unrolled: 1-line block ×4, first 2 shown]
	s_and_b32 s6, s5, vcc_lo
	s_xor_b32 s17, s6, s5
	s_mov_b32 exec_lo, s6
	s_cbranch_execnz .LBB6_44
; %bb.12584:
	s_getpc_b64 s[34:35]
.Lpost_getpc11:
	s_add_u32 s34, s34, (.LBB6_9497-.Lpost_getpc11)&4294967295
	s_addc_u32 s35, s35, (.LBB6_9497-.Lpost_getpc11)>>32
	s_setpc_b64 s[34:35]
.LBB6_44:
	v_cmp_ne_u32_e32 vcc_lo, v14, v2
                                        ; implicit-def: $vgpr1_vgpr2
                                        ; kill: killed $vgpr1_vgpr2
	s_and_saveexec_b32 s5, vcc_lo
	s_xor_b32 s18, exec_lo, s5
	s_cbranch_execnz .LBB6_45
; %bb.12586:
	s_getpc_b64 s[34:35]
.Lpost_getpc12:
	s_add_u32 s34, s34, (.LBB6_4776-.Lpost_getpc12)&4294967295
	s_addc_u32 s35, s35, (.LBB6_4776-.Lpost_getpc12)>>32
	s_setpc_b64 s[34:35]
.LBB6_45:
	v_mov_b32_e32 v1, 0
	v_mov_b32_e32 v2, 0
	s_mov_b32 s19, exec_lo
	buffer_store_dword v1, off, s[0:3], s33 offset:216 ; 4-byte Folded Spill
	buffer_store_dword v2, off, s[0:3], s33 offset:220 ; 4-byte Folded Spill
	s_waitcnt vmcnt(2)
	v_cmpx_ne_u64_e32 0, v[19:20]
	s_cbranch_execnz .LBB6_46
; %bb.12588:
	s_getpc_b64 s[34:35]
.Lpost_getpc13:
	s_add_u32 s34, s34, (.LBB6_4775-.Lpost_getpc13)&4294967295
	s_addc_u32 s35, s35, (.LBB6_4775-.Lpost_getpc13)>>32
	s_setpc_b64 s[34:35]
.LBB6_46:
	buffer_store_dword v96, off, s[0:3], s33 offset:408 ; 4-byte Folded Spill
	buffer_store_dword v97, off, s[0:3], s33 offset:412 ; 4-byte Folded Spill
	s_clause 0x3
	buffer_load_dword v2, off, s[0:3], s33 offset:384
	buffer_load_dword v4, off, s[0:3], s33 offset:376
	;; [unrolled: 1-line block ×4, first 2 shown]
	s_ashr_i32 s6, s16, 31
	v_mov_b32_e32 v54, 0
	s_lshr_b32 s6, s6, 24
	v_mov_b32_e32 v52, 0
	s_add_i32 s13, s16, s6
	v_mov_b32_e32 v55, 0
	v_mov_b32_e32 v113, 0x7f
	v_mov_b32_e32 v114, 0x80
	v_mov_b32_e32 v115, 0xffff
	v_mov_b32_e32 v116, 24
	v_mov_b32_e32 v117, 0xff
	v_mov_b32_e32 v118, 7
	s_ashr_i32 s22, s13, 8
	s_mov_b32 s21, 0
	s_waitcnt vmcnt(3)
	v_cmp_eq_u32_e32 vcc_lo, 32, v2
	s_waitcnt vmcnt(2)
	v_lshrrev_b32_e32 v5, 5, v4
	s_waitcnt vmcnt(1)
	v_ashrrev_i32_e32 v1, 31, v1
	s_waitcnt vmcnt(0)
	v_cmp_ne_u32_sdwa s20, v2, v3 src0_sel:DWORD src1_sel:WORD_0
	v_and_b32_e32 v3, 31, v4
	v_cmp_ge_u32_e64 s5, v4, v2
	buffer_store_dword v5, off, s[0:3], s33 offset:228 ; 4-byte Folded Spill
	buffer_store_dword v1, off, s[0:3], s33 offset:224 ; 4-byte Folded Spill
	buffer_load_dword v1, off, s[0:3], s33 offset:424 ; 4-byte Folded Reload
	v_cmp_le_u32_e64 s10, v3, v0
	v_cmp_lt_u32_e64 s11, v3, v0
	buffer_store_dword v3, off, s[0:3], s33 offset:232 ; 4-byte Folded Spill
	v_cmp_ne_u32_e64 s6, 32, v2
	v_lshrrev_b32_e32 v97, 5, v2
	v_and_b32_e32 v102, 0x1fe0, v2
	s_xor_b32 s23, vcc_lo, -1
	v_lshlrev_b32_e32 v99, 11, v97
	v_lshlrev_b32_e32 v100, 9, v97
	;; [unrolled: 1-line block ×3, first 2 shown]
	s_waitcnt vmcnt(0)
	v_and_b32_e32 v1, 31, v1
	v_cmp_eq_u32_e64 s7, 0, v1
	v_lshlrev_b32_e32 v1, 11, v5
	v_lshl_or_b32 v0, v3, 4, v1
	buffer_store_dword v0, off, s[0:3], s33 offset:236 ; 4-byte Folded Spill
	s_clause 0x1
	buffer_load_dword v0, off, s[0:3], s33 offset:400
	buffer_load_dword v1, off, s[0:3], s33 offset:404
	s_waitcnt vmcnt(0)
	v_cmp_eq_u64_e64 s12, 0, v[0:1]
	v_mov_b32_e32 v0, 0
	v_mov_b32_e32 v1, 0
	buffer_store_dword v0, off, s[0:3], s33 offset:216 ; 4-byte Folded Spill
	buffer_store_dword v1, off, s[0:3], s33 offset:220 ; 4-byte Folded Spill
	s_trap 2
	s_clause 0x1
	buffer_load_dword v2, off, s[0:3], s33 offset:336
	buffer_load_dword v3, off, s[0:3], s33 offset:340
	s_branch .LBB6_49
.LBB6_47:                               ;   in Loop: Header=BB6_49 Depth=1
	s_or_b32 exec_lo, exec_lo, s13
.LBB6_48:                               ;   in Loop: Header=BB6_49 Depth=1
	s_or_b32 exec_lo, exec_lo, s14
	s_clause 0x1
	buffer_load_dword v2, off, s[0:3], s33 offset:336
	buffer_load_dword v3, off, s[0:3], s33 offset:340
	s_waitcnt vmcnt(1)
	v_add_co_u32 v54, vcc_lo, v54, v2
	v_add_co_ci_u32_e64 v55, null, 0, v55, vcc_lo
	v_cmp_ge_u64_e32 vcc_lo, v[54:55], v[19:20]
	s_or_b32 s21, vcc_lo, s21
	s_andn2_b32 exec_lo, exec_lo, s21
	s_cbranch_execnz .LBB6_49
; %bb.12590:
	s_getpc_b64 s[34:35]
.Lpost_getpc14:
	s_add_u32 s34, s34, (.LBB6_4774-.Lpost_getpc14)&4294967295
	s_addc_u32 s35, s35, (.LBB6_4774-.Lpost_getpc14)>>32
	s_setpc_b64 s[34:35]
.LBB6_49:                               ; =>This Loop Header: Depth=1
                                        ;     Child Loop BB6_58 Depth 2
                                        ;     Child Loop BB6_86 Depth 2
	;; [unrolled: 1-line block ×10, first 2 shown]
	v_sub_co_u32 v0, vcc_lo, v19, v54
	v_sub_co_ci_u32_e64 v1, null, v20, v55, vcc_lo
	s_waitcnt vmcnt(0)
	v_cmp_lt_u64_e32 vcc_lo, v[2:3], v[0:1]
	v_cndmask_b32_e32 v64, v0, v2, vcc_lo
	v_cndmask_b32_e64 v65, v1, 0, vcc_lo
	v_add_nc_u32_e32 v0, 15, v64
	v_cmp_eq_u64_e32 vcc_lo, 0, v[64:65]
	v_and_b32_e32 v0, 0x7ffffff0, v0
	s_or_b32 s24, s5, vcc_lo
	s_xor_b32 s13, s24, -1
	v_max_i32_e32 v65, s22, v0
	v_mov_b32_e32 v0, 0
	s_and_saveexec_b32 s25, s13
	s_cbranch_execnz .LBB6_50
; %bb.12592:                            ;   in Loop: Header=BB6_49 Depth=1
	s_getpc_b64 s[34:35]
.Lpost_getpc15:
	s_add_u32 s34, s34, (.LBB6_4722-.Lpost_getpc15)&4294967295
	s_addc_u32 s35, s35, (.LBB6_4722-.Lpost_getpc15)>>32
	s_setpc_b64 s[34:35]
.LBB6_50:                               ;   in Loop: Header=BB6_49 Depth=1
	s_and_saveexec_b32 s13, s4
	s_cbranch_execz .LBB6_52
; %bb.51:                               ;   in Loop: Header=BB6_49 Depth=1
	s_trap 2
	ds_read_b64 v[0:1], v0
	s_clause 0x1
	buffer_load_dword v2, off, s[0:3], s33 offset:408
	buffer_load_dword v3, off, s[0:3], s33 offset:412
	v_mov_b32_e32 v53, v52
	s_waitcnt vmcnt(1) lgkmcnt(0)
	v_add_co_u32 v0, vcc_lo, v0, v2
	s_waitcnt vmcnt(0)
	v_add_co_ci_u32_e64 v1, null, v1, v3, vcc_lo
	v_add_co_u32 v0, vcc_lo, v0, v54
	v_add_co_ci_u32_e64 v1, null, v1, v55, vcc_lo
	ds_write_b64 v0, v[0:1]
	ds_write_b64 v0, v[52:53]
.LBB6_52:                               ;   in Loop: Header=BB6_49 Depth=1
	s_or_b32 exec_lo, exec_lo, s13
	buffer_load_dword v0, off, s[0:3], s33 offset:196 ; 4-byte Folded Reload
	v_min_u32_e32 v65, v65, v64
	s_mov_b32 s14, exec_lo
	s_waitcnt vmcnt(0)
	v_and_b32_e32 v0, 12, v0
	v_cmpx_ne_u32_e32 0, v0
	s_cbranch_execz .LBB6_78
; %bb.53:                               ;   in Loop: Header=BB6_49 Depth=1
	s_clause 0x4
	buffer_load_dword v0, off, s[0:3], s33 offset:196
	buffer_load_dword v3, off, s[0:3], s33 offset:200
	;; [unrolled: 1-line block ×5, first 2 shown]
	s_mov_b32 s26, exec_lo
	s_waitcnt vmcnt(4)
	v_and_b32_e32 v0, 8, v0
	v_add_co_u32 v1, vcc_lo, v38, v0
	v_add_co_ci_u32_e64 v2, null, 0, v39, vcc_lo
	s_waitcnt vmcnt(1)
	v_add_co_u32 v10, vcc_lo, v5, 1
	s_waitcnt vmcnt(0)
	v_add_co_ci_u32_e64 v11, null, 0, v6, vcc_lo
	v_cmpx_lt_u64_e64 v[1:2], v[10:11]
	s_cbranch_execz .LBB6_65
; %bb.54:                               ;   in Loop: Header=BB6_49 Depth=1
	buffer_load_dword v1, off, s[0:3], s33 offset:196 ; 4-byte Folded Reload
	s_mov_b32 s27, 0
	s_mov_b32 s41, 0
                                        ; implicit-def: $sgpr28
                                        ; implicit-def: $sgpr29
                                        ; implicit-def: $sgpr40
	s_waitcnt vmcnt(0)
	v_and_b32_e32 v1, 64, v1
	v_cmp_eq_u32_e32 vcc_lo, 0, v1
	s_branch .LBB6_58
.LBB6_55:                               ;   in Loop: Header=BB6_58 Depth=2
	s_waitcnt vmcnt(0) lgkmcnt(0)
	v_add_co_u32 v2, s13, v38, v0
	v_add_co_ci_u32_e64 v3, null, 0, v39, s13
	s_or_b32 s44, s44, exec_lo
	v_cmp_ge_u64_e64 s13, v[2:3], v[10:11]
	s_orn2_b32 s43, s13, exec_lo
.LBB6_56:                               ;   in Loop: Header=BB6_58 Depth=2
	s_or_b32 exec_lo, exec_lo, s46
	s_andn2_b32 s13, s40, exec_lo
	s_and_b32 s40, s44, exec_lo
	s_andn2_b32 s29, s29, exec_lo
	s_and_b32 s43, s43, exec_lo
	s_or_b32 s40, s13, s40
	s_or_b32 s29, s29, s43
.LBB6_57:                               ;   in Loop: Header=BB6_58 Depth=2
	s_or_b32 exec_lo, exec_lo, s42
	s_and_b32 s13, exec_lo, s29
	s_or_b32 s27, s13, s27
	s_andn2_b32 s13, s28, exec_lo
	s_and_b32 s28, s40, exec_lo
	s_or_b32 s28, s13, s28
	s_andn2_b32 exec_lo, exec_lo, s27
	s_cbranch_execz .LBB6_62
.LBB6_58:                               ;   Parent Loop BB6_49 Depth=1
                                        ; =>  This Inner Loop Header: Depth=2
	s_sleep 1
	s_clause 0x1
	buffer_load_dword v1, off, s[0:3], s33 offset:188
	buffer_load_dword v2, off, s[0:3], s33 offset:192
	s_or_b32 s40, s40, exec_lo
	s_or_b32 s29, s29, exec_lo
	s_waitcnt vmcnt(0) lgkmcnt(0)
	flat_load_dwordx2 v[38:39], v[1:2] glc dlc
                                        ; implicit-def: $vgpr1
	s_and_saveexec_b32 s42, vcc_lo
	s_cbranch_execz .LBB6_57
; %bb.59:                               ;   in Loop: Header=BB6_58 Depth=2
	s_cmpk_lt_i32 s41, 0x270f
	s_mov_b32 s43, -1
	s_cselect_b32 s45, -1, 0
	s_cmpk_gt_i32 s41, 0x270e
	s_cbranch_scc0 .LBB6_61
; %bb.60:                               ;   in Loop: Header=BB6_58 Depth=2
	s_trap 2
	ds_read_b64 v[1:2], v0
	s_andn2_b32 s41, s45, exec_lo
	s_mov_b32 s44, 0
	s_waitcnt vmcnt(0) lgkmcnt(0)
	s_waitcnt_vscnt null, 0x0
	flat_load_dword v1, v[1:2] glc dlc
	s_waitcnt vmcnt(0) lgkmcnt(0)
	buffer_gl1_inv
	buffer_gl0_inv
	v_cmp_eq_u32_e64 s13, 0, v1
	s_and_b32 s13, s13, exec_lo
	s_or_b32 s45, s41, s13
	s_mov_b32 s41, 0
	s_and_saveexec_b32 s46, s45
	s_cbranch_execz .LBB6_56
	s_branch .LBB6_55
.LBB6_61:                               ;   in Loop: Header=BB6_58 Depth=2
	s_add_i32 s41, s41, 1
	s_mov_b32 s44, -1
                                        ; implicit-def: $vgpr1
	s_and_saveexec_b32 s46, s45
	s_cbranch_execz .LBB6_56
	s_branch .LBB6_55
.LBB6_62:                               ;   in Loop: Header=BB6_49 Depth=1
	s_or_b32 exec_lo, exec_lo, s27
	s_xor_b32 s13, s28, -1
	s_and_saveexec_b32 s27, s13
	s_xor_b32 s13, exec_lo, s27
	s_cbranch_execz .LBB6_64
; %bb.63:                               ;   in Loop: Header=BB6_49 Depth=1
	buffer_load_dword v2, off, s[0:3], s33 offset:196 ; 4-byte Folded Reload
	s_waitcnt vmcnt(0)
	v_or_b32_e32 v2, 64, v2
	buffer_store_dword v2, off, s[0:3], s33 offset:196 ; 4-byte Folded Spill
	s_waitcnt lgkmcnt(0)
	s_waitcnt_vscnt null, 0x0
	ds_write_b32 v0, v1
	s_trap 2
.LBB6_64:                               ;   in Loop: Header=BB6_49 Depth=1
	s_or_b32 exec_lo, exec_lo, s13
.LBB6_65:                               ;   in Loop: Header=BB6_49 Depth=1
	s_or_b32 exec_lo, exec_lo, s26
	buffer_load_dword v1, off, s[0:3], s33 offset:196 ; 4-byte Folded Reload
	s_waitcnt vmcnt(0)
	v_and_b32_e32 v1, 0x108, v1
	v_cmp_ne_u32_e32 vcc_lo, 0x108, v1
	s_clause 0x3
	buffer_load_dword v1, off, s[0:3], s33 offset:200
	buffer_load_dword v2, off, s[0:3], s33 offset:204
	buffer_load_dword v3, off, s[0:3], s33 offset:208
	buffer_load_dword v4, off, s[0:3], s33 offset:212
	;;#ASMSTART
	s_wakeup
	;;#ASMEND
	s_waitcnt vmcnt(1)
	v_and_b32_e32 v1, 7, v3
	s_and_saveexec_b32 s13, vcc_lo
	s_xor_b32 s13, exec_lo, s13
                                        ; implicit-def: $vgpr2
; %bb.66:                               ;   in Loop: Header=BB6_49 Depth=1
	v_mov_b32_e32 v2, v52
; %bb.67:                               ;   in Loop: Header=BB6_49 Depth=1
	s_andn2_saveexec_b32 s13, s13
	s_cbranch_execz .LBB6_69
; %bb.68:                               ;   in Loop: Header=BB6_49 Depth=1
	s_clause 0x3
	buffer_load_dword v2, off, s[0:3], s33 offset:200
	buffer_load_dword v3, off, s[0:3], s33 offset:204
	;; [unrolled: 1-line block ×4, first 2 shown]
	v_mov_b32_e32 v66, v52
	s_waitcnt vmcnt(1)
	v_mad_u64_u32 v[3:4], null, v1, 24, v[2:3]
	v_mov_b32_e32 v2, v52
	flat_store_dwordx2 v[3:4], v[65:66] offset:8
.LBB6_69:                               ;   in Loop: Header=BB6_49 Depth=1
	s_or_b32 exec_lo, exec_lo, s13
	buffer_load_dword v3, off, s[0:3], s33 offset:196 ; 4-byte Folded Reload
	s_mov_b32 s13, -1
	s_mov_b32 s26, exec_lo
                                        ; implicit-def: $vgpr8_vgpr9
	s_waitcnt vmcnt(0)
	v_and_b32_e32 v3, 0x100, v3
	v_cmpx_ne_u32_e32 0, v3
	s_cbranch_execz .LBB6_73
; %bb.70:                               ;   in Loop: Header=BB6_49 Depth=1
	s_clause 0x3
	buffer_load_dword v3, off, s[0:3], s33 offset:200
	buffer_load_dword v4, off, s[0:3], s33 offset:204
	;; [unrolled: 1-line block ×4, first 2 shown]
	s_mov_b32 s27, exec_lo
                                        ; implicit-def: $vgpr8_vgpr9
	s_waitcnt vmcnt(2)
	v_mad_u64_u32 v[12:13], null, v1, 24, v[3:4]
	v_mov_b32_e32 v3, v13
	v_mad_u64_u32 v[3:4], null, v2, 24, v[3:4]
	v_mov_b32_e32 v13, v3
	flat_load_dword v3, v[12:13]
	s_waitcnt vmcnt(0) lgkmcnt(0)
	v_cmp_ne_u32_e32 vcc_lo, 1, v3
	v_cmpx_eq_u32_e32 1, v3
	s_cbranch_execz .LBB6_72
; %bb.71:                               ;   in Loop: Header=BB6_49 Depth=1
	flat_load_dword v8, v[12:13] offset:4 glc dlc
	s_waitcnt vmcnt(0) lgkmcnt(0)
	v_ashrrev_i32_e32 v9, 31, v8
.LBB6_72:                               ;   in Loop: Header=BB6_49 Depth=1
	s_or_b32 exec_lo, exec_lo, s27
	s_orn2_b32 s13, vcc_lo, exec_lo
.LBB6_73:                               ;   in Loop: Header=BB6_49 Depth=1
	s_or_b32 exec_lo, exec_lo, s26
	s_and_saveexec_b32 s26, s13
	s_cbranch_execz .LBB6_75
; %bb.74:                               ;   in Loop: Header=BB6_49 Depth=1
	s_clause 0x1
	buffer_load_dword v4, off, s[0:3], s33 offset:396
	buffer_load_dword v3, off, s[0:3], s33 offset:224
	s_waitcnt vmcnt(1)
	v_mul_lo_u32 v2, v2, v4
	s_waitcnt vmcnt(0)
	v_mul_lo_u32 v3, v1, v3
	v_mad_u64_u32 v[8:9], null, v1, v4, 0
	v_add3_u32 v9, v9, v3, v2
.LBB6_75:                               ;   in Loop: Header=BB6_49 Depth=1
	s_or_b32 exec_lo, exec_lo, s26
	v_cmp_eq_u32_e32 vcc_lo, 0, v0
	v_mov_b32_e32 v0, 0x90
	s_mov_b32 s13, exec_lo
	v_cndmask_b32_e32 v2, 0xc8, v0, vcc_lo
	buffer_load_dword v0, off, s[0:3], s33 offset:196 ; 4-byte Folded Reload
	s_waitcnt vmcnt(0)
	v_and_b32_e32 v3, 0x2000, v0
	s_clause 0x1
	buffer_load_dword v0, off, s[0:3], s33 offset:368
	buffer_load_dword v1, off, s[0:3], s33 offset:372
	s_waitcnt vmcnt(1)
	v_add_co_u32 v0, vcc_lo, v0, v8
	s_waitcnt vmcnt(0)
	v_add_co_ci_u32_e64 v1, null, v1, v9, vcc_lo
	v_add_nc_u32_e32 v2, v0, v2
	ds_write_b64 v2, v[0:1] offset:584
	v_cmpx_ne_u32_e32 0, v3
	s_cbranch_execz .LBB6_77
; %bb.76:                               ;   in Loop: Header=BB6_49 Depth=1
	ds_read_b64 v[0:1], v0 offset:872
	s_waitcnt lgkmcnt(0)
	v_add_co_u32 v0, vcc_lo, v0, 1
	v_add_co_ci_u32_e64 v1, null, 0, v1, vcc_lo
	ds_write_b64 v0, v[0:1] offset:872
.LBB6_77:                               ;   in Loop: Header=BB6_49 Depth=1
	s_or_b32 exec_lo, exec_lo, s13
	s_clause 0x3
	buffer_load_dword v0, off, s[0:3], s33 offset:200
	buffer_load_dword v1, off, s[0:3], s33 offset:204
	buffer_load_dword v2, off, s[0:3], s33 offset:208
	buffer_load_dword v3, off, s[0:3], s33 offset:212
	s_waitcnt vmcnt(0)
	v_mov_b32_e32 v2, v10
	v_mov_b32_e32 v3, v11
	buffer_store_dword v0, off, s[0:3], s33 offset:200 ; 4-byte Folded Spill
	buffer_store_dword v1, off, s[0:3], s33 offset:204 ; 4-byte Folded Spill
	;; [unrolled: 1-line block ×4, first 2 shown]
.LBB6_78:                               ;   in Loop: Header=BB6_49 Depth=1
	s_or_b32 exec_lo, exec_lo, s14
	s_and_saveexec_b32 s13, s6
	s_cbranch_execz .LBB6_97
; %bb.79:                               ;   in Loop: Header=BB6_49 Depth=1
	s_and_saveexec_b32 s14, s20
	s_xor_b32 s14, exec_lo, s14
	s_cbranch_execz .LBB6_94
; %bb.80:                               ;   in Loop: Header=BB6_49 Depth=1
	s_and_saveexec_b32 s26, s7
	s_cbranch_execz .LBB6_93
; %bb.81:                               ;   in Loop: Header=BB6_49 Depth=1
	s_mov_b32 s28, exec_lo
	s_mov_b32 s27, exec_lo
	v_mbcnt_lo_u32_b32 v0, s28, 0
	s_waitcnt lgkmcnt(0)
	s_waitcnt_vscnt null, 0x0
	buffer_gl1_inv
	buffer_gl0_inv
	v_cmpx_eq_u32_e32 0, v0
	s_cbranch_execz .LBB6_83
; %bb.82:                               ;   in Loop: Header=BB6_49 Depth=1
	s_bcnt1_i32_b32 s28, s28
	v_mov_b32_e32 v1, v52
	v_mov_b32_e32 v0, s28
	ds_add_u64 v0, v[0:1]
	s_trap 2
.LBB6_83:                               ;   in Loop: Header=BB6_49 Depth=1
	s_or_b32 exec_lo, exec_lo, s27
	s_trap 2
	ds_read_b64 v[0:1], v0
	s_waitcnt lgkmcnt(0)
	buffer_gl0_inv
	s_clause 0x1
	buffer_load_dword v2, off, s[0:3], s33 offset:216
	buffer_load_dword v3, off, s[0:3], s33 offset:220
	s_mov_b32 s27, exec_lo
	s_waitcnt vmcnt(1)
	v_add_co_u32 v2, vcc_lo, v2, v97
	s_waitcnt vmcnt(0)
	v_add_co_ci_u32_e64 v3, null, 0, v3, vcc_lo
	buffer_store_dword v2, off, s[0:3], s33 offset:216 ; 4-byte Folded Spill
	buffer_store_dword v3, off, s[0:3], s33 offset:220 ; 4-byte Folded Spill
	v_cmpx_lt_u64_e64 v[0:1], v[2:3]
	s_cbranch_execz .LBB6_92
; %bb.84:                               ;   in Loop: Header=BB6_49 Depth=1
	s_mov_b32 s28, 0
	s_mov_b32 s41, 0
                                        ; implicit-def: $sgpr29
                                        ; implicit-def: $sgpr40
	s_inst_prefetch 0x1
	s_branch .LBB6_86
	.p2align	6
.LBB6_85:                               ;   in Loop: Header=BB6_86 Depth=2
	s_or_b32 exec_lo, exec_lo, s43
	s_and_b32 s42, exec_lo, s44
	s_or_b32 s28, s42, s28
	s_andn2_b32 s29, s29, exec_lo
	s_and_b32 s42, s40, exec_lo
	s_or_b32 s29, s29, s42
	s_andn2_b32 exec_lo, exec_lo, s28
	s_cbranch_execz .LBB6_90
.LBB6_86:                               ;   Parent Loop BB6_49 Depth=1
                                        ; =>  This Inner Loop Header: Depth=2
	s_add_i32 s41, s41, 1
	s_cmpk_lg_i32 s41, 0x2710
	s_cselect_b32 s42, -1, 0
	s_and_b32 vcc_lo, exec_lo, s42
	s_cbranch_vccz .LBB6_88
; %bb.87:                               ;   in Loop: Header=BB6_86 Depth=2
	s_mov_b32 s44, -1
	s_or_b32 s40, s40, exec_lo
	s_and_saveexec_b32 s43, s42
	s_cbranch_execz .LBB6_85
	s_branch .LBB6_89
.LBB6_88:                               ;   in Loop: Header=BB6_86 Depth=2
	s_trap 2
	ds_read_b64 v[0:1], v0
	s_andn2_b32 s42, s42, exec_lo
	s_mov_b32 s41, 0
	s_waitcnt lgkmcnt(0)
	s_waitcnt_vscnt null, 0x0
	flat_load_dword v0, v[0:1] glc dlc
	s_waitcnt vmcnt(0) lgkmcnt(0)
	buffer_gl1_inv
	buffer_gl0_inv
	v_cmp_eq_u32_e32 vcc_lo, 0, v0
	s_and_b32 s43, vcc_lo, exec_lo
	s_or_b32 s42, s42, s43
	s_mov_b32 s44, -1
	s_or_b32 s40, s40, exec_lo
	s_and_saveexec_b32 s43, s42
	s_cbranch_execz .LBB6_85
.LBB6_89:                               ;   in Loop: Header=BB6_86 Depth=2
	s_sleep 1
	s_trap 2
	ds_read_b64 v[0:1], v0
	s_waitcnt lgkmcnt(0)
	buffer_gl0_inv
	s_clause 0x1
	buffer_load_dword v2, off, s[0:3], s33 offset:216
	buffer_load_dword v3, off, s[0:3], s33 offset:220
	s_andn2_b32 s40, s40, exec_lo
	s_waitcnt vmcnt(0)
	v_cmp_ge_u64_e32 vcc_lo, v[0:1], v[2:3]
	s_orn2_b32 s44, vcc_lo, exec_lo
	s_branch .LBB6_85
.LBB6_90:                               ;   in Loop: Header=BB6_49 Depth=1
	s_inst_prefetch 0x2
	s_or_b32 exec_lo, exec_lo, s28
	s_and_saveexec_b32 s28, s29
	s_xor_b32 s28, exec_lo, s28
	s_cbranch_execz .LBB6_92
; %bb.91:                               ;   in Loop: Header=BB6_49 Depth=1
	v_mov_b32_e32 v0, 1
	ds_write_b32 v0, v0
	s_trap 2
.LBB6_92:                               ;   in Loop: Header=BB6_49 Depth=1
	s_or_b32 exec_lo, exec_lo, s27
	;;#ASMSTART
	s_wakeup
	;;#ASMEND
.LBB6_93:                               ;   in Loop: Header=BB6_49 Depth=1
	s_or_b32 exec_lo, exec_lo, s26
.LBB6_94:                               ;   in Loop: Header=BB6_49 Depth=1
	s_andn2_saveexec_b32 s14, s14
	s_cbranch_execz .LBB6_96
; %bb.95:                               ;   in Loop: Header=BB6_49 Depth=1
	s_waitcnt lgkmcnt(0)
	s_waitcnt_vscnt null, 0x0
	buffer_gl1_inv
	buffer_gl0_inv
	s_barrier
.LBB6_96:                               ;   in Loop: Header=BB6_49 Depth=1
	s_or_b32 exec_lo, exec_lo, s14
.LBB6_97:                               ;   in Loop: Header=BB6_49 Depth=1
	s_or_b32 exec_lo, exec_lo, s13
	s_trap 2
	buffer_load_dword v1, off, s[0:3], s33 offset:196 ; 4-byte Folded Reload
	ds_read_b32 v0, v0
	s_waitcnt vmcnt(0)
	v_and_b32_e32 v1, 0x4000, v1
	v_cmp_ne_u32_e32 vcc_lo, 0, v1
	s_and_b32 s14, s23, vcc_lo
	s_and_saveexec_b32 s13, s14
	s_cbranch_execz .LBB6_116
; %bb.98:                               ;   in Loop: Header=BB6_49 Depth=1
	s_and_saveexec_b32 s14, s20
	s_xor_b32 s14, exec_lo, s14
	s_cbranch_execz .LBB6_113
; %bb.99:                               ;   in Loop: Header=BB6_49 Depth=1
	s_and_saveexec_b32 s26, s7
	s_cbranch_execz .LBB6_112
; %bb.100:                              ;   in Loop: Header=BB6_49 Depth=1
	s_mov_b32 s28, exec_lo
	s_mov_b32 s27, exec_lo
	v_mbcnt_lo_u32_b32 v1, s28, 0
	s_waitcnt lgkmcnt(0)
	s_waitcnt_vscnt null, 0x0
	buffer_gl1_inv
	buffer_gl0_inv
	v_cmpx_eq_u32_e32 0, v1
	s_cbranch_execz .LBB6_102
; %bb.101:                              ;   in Loop: Header=BB6_49 Depth=1
	s_bcnt1_i32_b32 s28, s28
	v_mov_b32_e32 v2, v52
	v_mov_b32_e32 v1, s28
	ds_add_u64 v0, v[1:2]
	s_trap 2
.LBB6_102:                              ;   in Loop: Header=BB6_49 Depth=1
	s_or_b32 exec_lo, exec_lo, s27
	s_trap 2
	ds_read_b64 v[1:2], v0
	s_waitcnt lgkmcnt(0)
	buffer_gl0_inv
	s_clause 0x1
	buffer_load_dword v3, off, s[0:3], s33 offset:216
	buffer_load_dword v4, off, s[0:3], s33 offset:220
	s_mov_b32 s27, exec_lo
	s_waitcnt vmcnt(1)
	v_add_co_u32 v3, vcc_lo, v3, v97
	s_waitcnt vmcnt(0)
	v_add_co_ci_u32_e64 v4, null, 0, v4, vcc_lo
	buffer_store_dword v3, off, s[0:3], s33 offset:216 ; 4-byte Folded Spill
	buffer_store_dword v4, off, s[0:3], s33 offset:220 ; 4-byte Folded Spill
	v_cmpx_lt_u64_e64 v[1:2], v[3:4]
	s_cbranch_execz .LBB6_111
; %bb.103:                              ;   in Loop: Header=BB6_49 Depth=1
	s_mov_b32 s28, 0
	s_mov_b32 s41, 0
                                        ; implicit-def: $sgpr29
                                        ; implicit-def: $sgpr40
	s_inst_prefetch 0x1
	s_branch .LBB6_105
	.p2align	6
.LBB6_104:                              ;   in Loop: Header=BB6_105 Depth=2
	s_or_b32 exec_lo, exec_lo, s43
	s_and_b32 s42, exec_lo, s44
	s_or_b32 s28, s42, s28
	s_andn2_b32 s29, s29, exec_lo
	s_and_b32 s42, s40, exec_lo
	s_or_b32 s29, s29, s42
	s_andn2_b32 exec_lo, exec_lo, s28
	s_cbranch_execz .LBB6_109
.LBB6_105:                              ;   Parent Loop BB6_49 Depth=1
                                        ; =>  This Inner Loop Header: Depth=2
	s_add_i32 s41, s41, 1
	s_cmpk_lg_i32 s41, 0x2710
	s_cselect_b32 s42, -1, 0
	s_and_b32 vcc_lo, exec_lo, s42
	s_cbranch_vccz .LBB6_107
; %bb.106:                              ;   in Loop: Header=BB6_105 Depth=2
	s_mov_b32 s44, -1
	s_or_b32 s40, s40, exec_lo
	s_and_saveexec_b32 s43, s42
	s_cbranch_execz .LBB6_104
	s_branch .LBB6_108
.LBB6_107:                              ;   in Loop: Header=BB6_105 Depth=2
	s_trap 2
	ds_read_b64 v[1:2], v0
	s_andn2_b32 s42, s42, exec_lo
	s_mov_b32 s41, 0
	s_waitcnt lgkmcnt(0)
	s_waitcnt_vscnt null, 0x0
	flat_load_dword v1, v[1:2] glc dlc
	s_waitcnt vmcnt(0) lgkmcnt(0)
	buffer_gl1_inv
	buffer_gl0_inv
	v_cmp_eq_u32_e32 vcc_lo, 0, v1
	s_and_b32 s43, vcc_lo, exec_lo
	s_or_b32 s42, s42, s43
	s_mov_b32 s44, -1
	s_or_b32 s40, s40, exec_lo
	s_and_saveexec_b32 s43, s42
	s_cbranch_execz .LBB6_104
.LBB6_108:                              ;   in Loop: Header=BB6_105 Depth=2
	s_sleep 1
	s_trap 2
	ds_read_b64 v[1:2], v0
	s_waitcnt lgkmcnt(0)
	buffer_gl0_inv
	s_clause 0x1
	buffer_load_dword v3, off, s[0:3], s33 offset:216
	buffer_load_dword v4, off, s[0:3], s33 offset:220
	s_andn2_b32 s40, s40, exec_lo
	s_waitcnt vmcnt(0)
	v_cmp_ge_u64_e32 vcc_lo, v[1:2], v[3:4]
	s_orn2_b32 s44, vcc_lo, exec_lo
	s_branch .LBB6_104
.LBB6_109:                              ;   in Loop: Header=BB6_49 Depth=1
	s_inst_prefetch 0x2
	s_or_b32 exec_lo, exec_lo, s28
	s_and_saveexec_b32 s28, s29
	s_xor_b32 s28, exec_lo, s28
	s_cbranch_execz .LBB6_111
; %bb.110:                              ;   in Loop: Header=BB6_49 Depth=1
	v_mov_b32_e32 v1, 1
	ds_write_b32 v0, v1
	s_trap 2
.LBB6_111:                              ;   in Loop: Header=BB6_49 Depth=1
	s_or_b32 exec_lo, exec_lo, s27
	;;#ASMSTART
	s_wakeup
	;;#ASMEND
.LBB6_112:                              ;   in Loop: Header=BB6_49 Depth=1
	s_or_b32 exec_lo, exec_lo, s26
.LBB6_113:                              ;   in Loop: Header=BB6_49 Depth=1
	s_andn2_saveexec_b32 s14, s14
	s_cbranch_execz .LBB6_115
; %bb.114:                              ;   in Loop: Header=BB6_49 Depth=1
	s_waitcnt lgkmcnt(0)
	s_waitcnt_vscnt null, 0x0
	buffer_gl1_inv
	buffer_gl0_inv
	s_barrier
.LBB6_115:                              ;   in Loop: Header=BB6_49 Depth=1
	s_or_b32 exec_lo, exec_lo, s14
.LBB6_116:                              ;   in Loop: Header=BB6_49 Depth=1
	s_or_b32 exec_lo, exec_lo, s13
	s_trap 2
	s_waitcnt lgkmcnt(0)
	ds_read_b64 v[66:67], v0
	s_waitcnt lgkmcnt(0)
	v_cmp_eq_u64_e32 vcc_lo, 0, v[66:67]
	s_cbranch_vccnz .LBB6_124
; %bb.117:                              ;   in Loop: Header=BB6_49 Depth=1
	s_trap 2
	ds_read_b64 v[68:69], v0
	s_waitcnt lgkmcnt(0)
	v_cmp_eq_u64_e32 vcc_lo, 0, v[68:69]
	s_cbranch_vccnz .LBB6_124
; %bb.118:                              ;   in Loop: Header=BB6_49 Depth=1
	s_mov_b32 s13, -1
	s_and_saveexec_b32 s14, s10
	s_cbranch_execz .LBB6_120
; %bb.119:                              ;   in Loop: Header=BB6_49 Depth=1
	ds_read_b32 v1, v0 offset:720
	s_waitcnt lgkmcnt(0)
	v_and_b32_e32 v1, 15, v1
	v_cmp_eq_u32_e32 vcc_lo, 0, v1
	s_orn2_b32 s13, vcc_lo, exec_lo
.LBB6_120:                              ;   in Loop: Header=BB6_49 Depth=1
	s_or_b32 exec_lo, exec_lo, s14
	s_and_saveexec_b32 s14, s11
	s_cbranch_execz .LBB6_122
; %bb.121:                              ;   in Loop: Header=BB6_49 Depth=1
	ds_read_b32 v1, v0 offset:784
	s_waitcnt lgkmcnt(0)
	v_and_b32_e32 v1, 15, v1
	v_cmp_eq_u32_e32 vcc_lo, 0, v1
	s_and_b32 s26, s13, vcc_lo
	s_andn2_b32 s13, s13, exec_lo
	s_and_b32 s26, s26, exec_lo
	s_or_b32 s13, s13, s26
.LBB6_122:                              ;   in Loop: Header=BB6_49 Depth=1
	s_or_b32 exec_lo, exec_lo, s14
	buffer_load_dword v18, off, s[0:3], s33 offset:376 ; 4-byte Folded Reload
	v_cmp_eq_u32_e32 vcc_lo, 0, v0
	s_xor_b32 s13, s13, -1
	v_mov_b32_e32 v2, 0
	v_cndmask_b32_e64 v1, 0, 1, s13
	s_mov_b32 s13, -1
	v_cndmask_b32_e32 v53, 0, v65, vcc_lo
	v_cmp_ne_u32_e32 vcc_lo, 0, v1
	v_mov_b32_e32 v3, v53
	s_cbranch_vccz .LBB6_125
; %bb.123:                              ;   in Loop: Header=BB6_49 Depth=1
	s_and_saveexec_b32 s14, s13
	s_cbranch_execnz .LBB6_3352
; %bb.12570:                            ;   in Loop: Header=BB6_49 Depth=1
	s_getpc_b64 s[34:35]
.Lpost_getpc4:
	s_add_u32 s34, s34, (.LBB6_4696-.Lpost_getpc4)&4294967295
	s_addc_u32 s35, s35, (.LBB6_4696-.Lpost_getpc4)>>32
	s_setpc_b64 s[34:35]
.LBB6_124:                              ;   in Loop: Header=BB6_49 Depth=1
	s_mov_b32 s13, 0
	s_and_saveexec_b32 s14, s6
	s_cbranch_execz .LBB6_12572
; %bb.12594:                            ;   in Loop: Header=BB6_49 Depth=1
	s_getpc_b64 s[34:35]
.Lpost_getpc16:
	s_add_u32 s34, s34, (.LBB6_4697-.Lpost_getpc16)&4294967295
	s_addc_u32 s35, s35, (.LBB6_4697-.Lpost_getpc16)>>32
	s_setpc_b64 s[34:35]
.LBB6_12572:                            ;   in Loop: Header=BB6_49 Depth=1
	s_getpc_b64 s[34:35]
.Lpost_getpc5:
	s_add_u32 s34, s34, (.LBB6_4715-.Lpost_getpc5)&4294967295
	s_addc_u32 s35, s35, (.LBB6_4715-.Lpost_getpc5)>>32
	s_setpc_b64 s[34:35]
.LBB6_125:                              ;   in Loop: Header=BB6_49 Depth=1
	buffer_load_dword v1, off, s[0:3], s33 offset:228 ; 4-byte Folded Reload
	v_lshrrev_b32_e32 v0, 11, v53
	s_mov_b32 s14, exec_lo
	s_waitcnt vmcnt(0)
	v_sub_nc_u32_e32 v119, v0, v1
	v_cmpx_lt_i32_e32 0, v119
	s_cbranch_execz .LBB6_2697
; %bb.126:                              ;   in Loop: Header=BB6_49 Depth=1
	s_trap 2
	buffer_load_dword v2, off, s[0:3], s33 offset:236 ; 4-byte Folded Reload
	ds_read_b64 v[0:1], v0
	s_waitcnt lgkmcnt(0)
	v_readfirstlane_b32 s13, v0
	s_and_b32 s27, s13, 7
	s_bfe_u32 s40, s13, 0x40003
	s_flbit_i32_b32 s26, s27
	s_min_u32 s28, s26, 32
	s_mov_b32 s26, 0
	s_sub_i32 s29, s28, 28
	s_sub_i32 s28, 29, s28
	s_lshl_b32 s29, s13, s29
	s_and_b32 s29, s29, 7
	s_cmp_eq_u32 s40, 0
	s_cselect_b32 s28, s28, s40
	s_cselect_b32 s27, s29, s27
	s_lshl_b32 s29, s13, 24
	s_lshl_b32 s28, s28, 23
	s_and_b32 s29, s29, 0x80000000
	s_add_i32 s28, s28, 0x3b800000
	s_lshl_b32 s40, s27, 20
	s_or_b32 s28, s29, s28
	s_and_b32 s27, s13, 0xff
	s_or_b32 s28, s28, s40
	s_and_b32 s29, 0xffff, s27
	s_waitcnt vmcnt(0)
	v_add_co_u32 v70, vcc_lo, v66, v2
	v_add_co_ci_u32_e64 v71, null, 0, v67, vcc_lo
	v_add_co_u32 v80, vcc_lo, v68, v2
	v_add_co_ci_u32_e64 v81, null, 0, v69, vcc_lo
	;; [unrolled: 2-line block ×3, first 2 shown]
	s_branch .LBB6_130
.LBB6_127:                              ;   in Loop: Header=BB6_130 Depth=2
	s_or_b32 exec_lo, exec_lo, s13
	v_lshrrev_b32_e32 v44, 20, v46
	v_min_i32_e32 v45, 15, v47
	v_cmp_gt_i32_e32 vcc_lo, 16, v47
	v_and_b32_sdwa v13, v13, v114 dst_sel:DWORD dst_unused:UNUSED_PAD src0_sel:BYTE_3 src1_sel:DWORD
	v_lshlrev_b32_e32 v45, 3, v45
	v_cndmask_b32_e32 v44, 7, v44, vcc_lo
	v_and_b32_e32 v45, 0xf8, v45
	v_or_b32_e32 v46, v47, v44
	v_and_b32_e32 v44, 7, v44
	v_cmp_ne_u32_e32 vcc_lo, 0, v46
	v_or3_b32 v13, v13, v45, v44
	v_lshlrev_b32_e32 v13, 8, v13
	v_cndmask_b32_e32 v44, 0, v13, vcc_lo
.LBB6_128:                              ;   in Loop: Header=BB6_130 Depth=2
	s_or_b32 exec_lo, exec_lo, s41
.LBB6_129:                              ;   in Loop: Header=BB6_130 Depth=2
	s_or_b32 exec_lo, exec_lo, s40
	v_or_b32_sdwa v4, v5, v4 dst_sel:WORD_1 dst_unused:UNUSED_PAD src0_sel:DWORD src1_sel:DWORD
	v_or_b32_sdwa v6, v6, v37 dst_sel:WORD_1 dst_unused:UNUSED_PAD src0_sel:DWORD src1_sel:DWORD
	;; [unrolled: 1-line block ×3, first 2 shown]
	v_add_co_u32 v70, vcc_lo, v70, v99
	v_or3_b32 v5, v35, v34, v4
	v_or_b32_sdwa v4, v15, v9 dst_sel:WORD_1 dst_unused:UNUSED_PAD src0_sel:DWORD src1_sel:DWORD
	v_or3_b32 v6, v36, v14, v6
	v_or3_b32 v15, v0, v26, v1
	v_or_b32_sdwa v0, v21, v2 dst_sel:WORD_1 dst_unused:UNUSED_PAD src0_sel:DWORD src1_sel:DWORD
	v_or_b32_sdwa v2, v24, v105 dst_sel:WORD_1 dst_unused:UNUSED_PAD src0_sel:DWORD src1_sel:DWORD
	v_or3_b32 v7, v8, v7, v4
	v_or_b32_sdwa v4, v17, v33 dst_sel:WORD_1 dst_unused:UNUSED_PAD src0_sel:DWORD src1_sel:DWORD
	v_sub_nc_u32_e32 v119, v119, v97
	v_add_co_ci_u32_e64 v71, null, 0, v71, vcc_lo
	v_or3_b32 v2, v93, v90, v2
	v_or3_b32 v8, v32, v16, v4
	v_or_b32_sdwa v4, v19, v50 dst_sel:WORD_1 dst_unused:UNUSED_PAD src0_sel:DWORD src1_sel:DWORD
	v_or3_b32 v16, v27, v3, v0
	v_or_b32_sdwa v0, v23, v77 dst_sel:WORD_1 dst_unused:UNUSED_PAD src0_sel:DWORD src1_sel:DWORD
	v_or_b32_sdwa v3, v25, v124 dst_sel:WORD_1 dst_unused:UNUSED_PAD src0_sel:DWORD src1_sel:DWORD
	v_add_co_u32 v82, vcc_lo, v82, v99
	v_or3_b32 v14, v29, v28, v4
	v_or_b32_sdwa v4, v18, v31 dst_sel:WORD_1 dst_unused:UNUSED_PAD src0_sel:DWORD src1_sel:DWORD
	v_or3_b32 v1, v74, v63, v0
	v_or_b32_sdwa v0, v22, v56 dst_sel:WORD_1 dst_unused:UNUSED_PAD src0_sel:DWORD src1_sel:DWORD
	v_or3_b32 v3, v121, v110, v3
	v_add_co_ci_u32_e64 v83, null, 0, v83, vcc_lo
	v_or3_b32 v13, v86, v30, v4
	v_or_b32_sdwa v4, v11, v87 dst_sel:WORD_1 dst_unused:UNUSED_PAD src0_sel:DWORD src1_sel:DWORD
	v_or3_b32 v0, v43, v40, v0
	v_or3_b32 v18, v85, v84, v4
	v_or_b32_sdwa v4, v10, v51 dst_sel:WORD_1 dst_unused:UNUSED_PAD src0_sel:DWORD src1_sel:DWORD
	v_or3_b32 v17, v49, v48, v4
	v_or_b32_sdwa v4, v12, v103 dst_sel:WORD_1 dst_unused:UNUSED_PAD src0_sel:DWORD src1_sel:DWORD
	;; [unrolled: 2-line block ×3, first 2 shown]
	v_or3_b32 v20, v42, v112, v4
	global_store_dwordx4 v[80:81], v[0:3], off glc slc
	global_store_dwordx4 v[80:81], v[13:16], off offset:512 glc slc
	global_store_dwordx4 v[80:81], v[5:8], off offset:1024 glc slc
	;; [unrolled: 1-line block ×3, first 2 shown]
	v_add_co_u32 v80, vcc_lo, v80, v99
	v_add_co_ci_u32_e64 v81, null, 0, v81, vcc_lo
	v_cmp_gt_i32_e32 vcc_lo, 1, v119
	s_or_b32 s26, vcc_lo, s26
	s_andn2_b32 exec_lo, exec_lo, s26
	s_cbranch_execz .LBB6_2696
.LBB6_130:                              ;   Parent Loop BB6_49 Depth=1
                                        ; =>  This Inner Loop Header: Depth=2
	s_cmpk_lt_i32 s27, 0x80
	s_cbranch_scc1 .LBB6_134
; %bb.131:                              ;   in Loop: Header=BB6_130 Depth=2
	s_cmpk_eq_i32 s29, 0x80
	s_mov_b32 s13, -1
	s_cbranch_scc0 .LBB6_133
; %bb.132:                              ;   in Loop: Header=BB6_130 Depth=2
	s_mov_b32 s13, 0
.LBB6_133:                              ;   in Loop: Header=BB6_130 Depth=2
	s_mov_b32 s40, 0x7f800001
	s_branch .LBB6_136
.LBB6_134:                              ;   in Loop: Header=BB6_130 Depth=2
	s_mov_b32 s13, 0
	s_mov_b32 s40, 0x7f800001
	s_cbranch_execz .LBB6_136
; %bb.135:                              ;   in Loop: Header=BB6_130 Depth=2
	s_cmp_lg_u32 s29, 0
	s_mov_b32 s40, 0
	s_cselect_b32 s13, -1, 0
.LBB6_136:                              ;   in Loop: Header=BB6_130 Depth=2
	s_andn2_b32 vcc_lo, exec_lo, s13
	s_cbranch_vccnz .LBB6_138
; %bb.137:                              ;   in Loop: Header=BB6_130 Depth=2
	s_mov_b32 s40, s28
.LBB6_138:                              ;   in Loop: Header=BB6_130 Depth=2
	global_load_dwordx4 v[10:13], v[70:71], off slc
	s_mov_b32 s13, 0
	s_waitcnt vmcnt(0)
	v_cmp_gt_i16_sdwa s41, v10, v113 src0_sel:BYTE_0 src1_sel:DWORD
	s_and_saveexec_b32 s42, s41
	s_xor_b32 s41, exec_lo, s42
	s_cbranch_execz .LBB6_2312
; %bb.139:                              ;   in Loop: Header=BB6_130 Depth=2
	v_cmp_eq_u16_sdwa s43, v10, v114 src0_sel:BYTE_0 src1_sel:DWORD
	s_mov_b32 s13, -1
	s_and_saveexec_b32 s42, s43
; %bb.140:                              ;   in Loop: Header=BB6_130 Depth=2
	s_xor_b32 s13, exec_lo, -1
; %bb.141:                              ;   in Loop: Header=BB6_130 Depth=2
	s_or_b32 exec_lo, exec_lo, s42
	s_and_b32 s13, s13, exec_lo
	s_or_saveexec_b32 s41, s41
	v_mov_b32_e32 v0, 0x7f800001
	s_xor_b32 exec_lo, exec_lo, s41
	s_cbranch_execnz .LBB6_2313
.LBB6_142:                              ;   in Loop: Header=BB6_130 Depth=2
	s_or_b32 exec_lo, exec_lo, s41
	s_and_saveexec_b32 s41, s13
	s_cbranch_execz .LBB6_144
.LBB6_143:                              ;   in Loop: Header=BB6_130 Depth=2
	v_and_b32_e32 v0, 7, v10
	v_bfe_u32 v3, v10, 3, 4
	v_lshlrev_b32_e32 v4, 24, v10
	v_ffbh_u32_e32 v1, v0
	v_cmp_eq_u32_e32 vcc_lo, 0, v3
	v_min_u32_e32 v1, 32, v1
	v_subrev_nc_u32_e32 v2, 28, v1
	v_sub_nc_u32_e32 v1, 29, v1
	v_lshlrev_b32_e32 v2, v2, v10
	v_cndmask_b32_e32 v1, v3, v1, vcc_lo
	v_and_b32_e32 v2, 7, v2
	v_lshl_add_u32 v1, v1, 23, 0x3b800000
	v_cndmask_b32_e32 v0, v0, v2, vcc_lo
	v_and_b32_e32 v2, 0x80000000, v4
	v_lshlrev_b32_e32 v0, 20, v0
	v_or3_b32 v0, v2, v1, v0
.LBB6_144:                              ;   in Loop: Header=BB6_130 Depth=2
	s_or_b32 exec_lo, exec_lo, s41
	v_mul_f32_e32 v0, s40, v0
	v_mov_b32_e32 v14, 0x80
	s_mov_b32 s41, exec_lo
	v_and_b32_e32 v1, 0x7f800000, v0
	v_cmpx_ne_u32_e32 0x7f800000, v1
	s_cbranch_execz .LBB6_152
; %bb.145:                              ;   in Loop: Header=BB6_130 Depth=2
	v_mov_b32_e32 v14, 0
	s_mov_b32 s42, exec_lo
	v_cmpx_ne_u32_e32 0, v0
	s_cbranch_execz .LBB6_151
; %bb.146:                              ;   in Loop: Header=BB6_130 Depth=2
	v_bfe_u32 v1, v0, 23, 8
	v_and_b32_e32 v2, 0x7fffff, v0
	v_sub_nc_u32_e32 v3, 0x78, v1
	v_cmp_gt_u32_e32 vcc_lo, 0x79, v1
	v_or_b32_e32 v4, 0x800000, v2
	v_cndmask_b32_e32 v3, 0, v3, vcc_lo
	v_cmp_eq_u32_e32 vcc_lo, 0, v1
	v_add_nc_u32_e32 v1, 0xffffff89, v1
	v_cndmask_b32_e64 v3, v3, 0x77, vcc_lo
	v_cndmask_b32_e32 v2, v4, v2, vcc_lo
	v_cndmask_b32_e64 v1, v1, 0xffffff8a, vcc_lo
	v_lshl_add_u32 v4, 0x100000, v3, -1
	v_lshrrev_b32_e32 v5, v3, v2
	v_lshlrev_b32_e64 v7, v3, 0x80000
	v_add_nc_u32_e32 v3, v3, v1
	v_and_b32_e32 v2, v4, v2
	v_bfe_u32 v6, v5, 20, 1
	v_cmp_eq_u32_e64 s13, v2, v7
	v_add_nc_u32_e32 v4, -1, v6
	v_cndmask_b32_e64 v2, 0, v4, s13
	v_lshrrev_b32_e32 v4, 23, v5
	s_mov_b32 s13, exec_lo
	v_add_nc_u32_e32 v2, v2, v5
	v_xor_b32_e32 v4, 1, v4
	v_and_b32_e32 v1, 0xfffff, v2
	v_add_nc_u32_e32 v2, v1, v5
                                        ; implicit-def: $vgpr1
	v_cmpx_ne_u32_e64 v3, v4
	s_xor_b32 s13, exec_lo, s13
; %bb.147:                              ;   in Loop: Header=BB6_130 Depth=2
	v_cmp_lt_u32_e32 vcc_lo, 0xffffff, v2
	v_sub_nc_u32_e32 v1, v3, v4
	v_cndmask_b32_e64 v3, 0, 1, vcc_lo
	v_add_co_ci_u32_e64 v1, null, 0, v1, vcc_lo
	v_lshrrev_b32_e32 v2, v3, v2
; %bb.148:                              ;   in Loop: Header=BB6_130 Depth=2
	s_andn2_saveexec_b32 s13, s13
; %bb.149:                              ;   in Loop: Header=BB6_130 Depth=2
	v_bfe_u32 v1, v2, 23, 1
; %bb.150:                              ;   in Loop: Header=BB6_130 Depth=2
	s_or_b32 exec_lo, exec_lo, s13
	v_lshrrev_b32_e32 v2, 20, v2
	v_min_i32_e32 v3, 15, v1
	v_cmp_gt_i32_e32 vcc_lo, 16, v1
	v_and_b32_sdwa v0, v0, v114 dst_sel:DWORD dst_unused:UNUSED_PAD src0_sel:BYTE_3 src1_sel:DWORD
	v_lshlrev_b32_e32 v3, 3, v3
	v_cndmask_b32_e32 v2, 7, v2, vcc_lo
	v_and_b32_e32 v3, 0xf8, v3
	v_and_b32_e32 v4, 7, v2
	v_or_b32_e32 v1, v1, v2
	v_or3_b32 v0, v3, v0, v4
	v_cmp_ne_u32_e32 vcc_lo, 0, v1
	v_cndmask_b32_e32 v14, 0, v0, vcc_lo
.LBB6_151:                              ;   in Loop: Header=BB6_130 Depth=2
	s_or_b32 exec_lo, exec_lo, s42
.LBB6_152:                              ;   in Loop: Header=BB6_130 Depth=2
	s_or_b32 exec_lo, exec_lo, s41
	v_cmp_gt_i16_sdwa s41, v10, v113 src0_sel:BYTE_1 src1_sel:DWORD
	s_mov_b32 s13, 0
	s_and_saveexec_b32 s42, s41
	s_xor_b32 s41, exec_lo, s42
	s_cbranch_execz .LBB6_2314
; %bb.153:                              ;   in Loop: Header=BB6_130 Depth=2
	v_cmp_eq_u16_sdwa s43, v10, v114 src0_sel:BYTE_1 src1_sel:DWORD
	s_mov_b32 s13, -1
	s_and_saveexec_b32 s42, s43
; %bb.154:                              ;   in Loop: Header=BB6_130 Depth=2
	s_xor_b32 s13, exec_lo, -1
; %bb.155:                              ;   in Loop: Header=BB6_130 Depth=2
	s_or_b32 exec_lo, exec_lo, s42
	s_and_b32 s13, s13, exec_lo
	s_or_saveexec_b32 s41, s41
	v_mov_b32_e32 v0, 0x7f800001
	s_xor_b32 exec_lo, exec_lo, s41
	s_cbranch_execnz .LBB6_2315
.LBB6_156:                              ;   in Loop: Header=BB6_130 Depth=2
	s_or_b32 exec_lo, exec_lo, s41
	s_and_saveexec_b32 s41, s13
	s_cbranch_execz .LBB6_158
.LBB6_157:                              ;   in Loop: Header=BB6_130 Depth=2
	v_and_b32_sdwa v0, v115, v10 dst_sel:DWORD dst_unused:UNUSED_PAD src0_sel:DWORD src1_sel:BYTE_1
	v_and_b32_e32 v1, 7, v0
	v_bfe_u32 v4, v0, 3, 4
	v_ffbh_u32_e32 v2, v1
	v_cmp_eq_u32_e32 vcc_lo, 0, v4
	v_min_u32_e32 v2, 32, v2
	v_subrev_nc_u32_e32 v3, 28, v2
	v_sub_nc_u32_e32 v2, 29, v2
	v_lshlrev_b32_e32 v0, v3, v0
	v_lshlrev_b32_sdwa v3, v116, v10 dst_sel:DWORD dst_unused:UNUSED_PAD src0_sel:DWORD src1_sel:BYTE_1
	v_cndmask_b32_e32 v2, v4, v2, vcc_lo
	v_and_b32_e32 v0, 7, v0
	v_lshl_add_u32 v2, v2, 23, 0x3b800000
	v_cndmask_b32_e32 v0, v1, v0, vcc_lo
	v_and_b32_e32 v1, 0x80000000, v3
	v_lshlrev_b32_e32 v0, 20, v0
	v_or3_b32 v0, v1, v2, v0
.LBB6_158:                              ;   in Loop: Header=BB6_130 Depth=2
	s_or_b32 exec_lo, exec_lo, s41
	v_mul_f32_e32 v0, s40, v0
	v_mov_b32_e32 v15, 0x8000
	s_mov_b32 s41, exec_lo
	v_and_b32_e32 v1, 0x7f800000, v0
	v_cmpx_ne_u32_e32 0x7f800000, v1
	s_cbranch_execz .LBB6_166
; %bb.159:                              ;   in Loop: Header=BB6_130 Depth=2
	v_mov_b32_e32 v15, 0
	s_mov_b32 s42, exec_lo
	v_cmpx_ne_u32_e32 0, v0
	s_cbranch_execz .LBB6_165
; %bb.160:                              ;   in Loop: Header=BB6_130 Depth=2
	v_bfe_u32 v1, v0, 23, 8
	v_and_b32_e32 v2, 0x7fffff, v0
	v_sub_nc_u32_e32 v3, 0x78, v1
	v_cmp_gt_u32_e32 vcc_lo, 0x79, v1
	v_or_b32_e32 v4, 0x800000, v2
	v_cndmask_b32_e32 v3, 0, v3, vcc_lo
	v_cmp_eq_u32_e32 vcc_lo, 0, v1
	v_add_nc_u32_e32 v1, 0xffffff89, v1
	v_cndmask_b32_e64 v3, v3, 0x77, vcc_lo
	v_cndmask_b32_e32 v2, v4, v2, vcc_lo
	v_cndmask_b32_e64 v1, v1, 0xffffff8a, vcc_lo
	v_lshl_add_u32 v4, 0x100000, v3, -1
	v_lshrrev_b32_e32 v5, v3, v2
	v_lshlrev_b32_e64 v7, v3, 0x80000
	v_add_nc_u32_e32 v3, v3, v1
	v_and_b32_e32 v2, v4, v2
	v_bfe_u32 v6, v5, 20, 1
	v_cmp_eq_u32_e64 s13, v2, v7
	v_add_nc_u32_e32 v4, -1, v6
	v_cndmask_b32_e64 v2, 0, v4, s13
	v_lshrrev_b32_e32 v4, 23, v5
	s_mov_b32 s13, exec_lo
	v_add_nc_u32_e32 v2, v2, v5
	v_xor_b32_e32 v4, 1, v4
	v_and_b32_e32 v1, 0xfffff, v2
	v_add_nc_u32_e32 v2, v1, v5
                                        ; implicit-def: $vgpr1
	v_cmpx_ne_u32_e64 v3, v4
	s_xor_b32 s13, exec_lo, s13
; %bb.161:                              ;   in Loop: Header=BB6_130 Depth=2
	v_cmp_lt_u32_e32 vcc_lo, 0xffffff, v2
	v_sub_nc_u32_e32 v1, v3, v4
	v_cndmask_b32_e64 v3, 0, 1, vcc_lo
	v_add_co_ci_u32_e64 v1, null, 0, v1, vcc_lo
	v_lshrrev_b32_e32 v2, v3, v2
; %bb.162:                              ;   in Loop: Header=BB6_130 Depth=2
	s_andn2_saveexec_b32 s13, s13
; %bb.163:                              ;   in Loop: Header=BB6_130 Depth=2
	v_bfe_u32 v1, v2, 23, 1
; %bb.164:                              ;   in Loop: Header=BB6_130 Depth=2
	s_or_b32 exec_lo, exec_lo, s13
	v_lshrrev_b32_e32 v2, 20, v2
	v_min_i32_e32 v3, 15, v1
	v_cmp_gt_i32_e32 vcc_lo, 16, v1
	v_and_b32_sdwa v0, v0, v114 dst_sel:DWORD dst_unused:UNUSED_PAD src0_sel:BYTE_3 src1_sel:DWORD
	v_lshlrev_b32_e32 v3, 3, v3
	v_cndmask_b32_e32 v2, 7, v2, vcc_lo
	v_and_b32_e32 v3, 0xf8, v3
	v_and_b32_e32 v4, 7, v2
	v_or_b32_e32 v1, v1, v2
	v_or3_b32 v0, v0, v3, v4
	v_cmp_ne_u32_e32 vcc_lo, 0, v1
	v_lshlrev_b32_e32 v0, 8, v0
	v_cndmask_b32_e32 v15, 0, v0, vcc_lo
.LBB6_165:                              ;   in Loop: Header=BB6_130 Depth=2
	s_or_b32 exec_lo, exec_lo, s42
.LBB6_166:                              ;   in Loop: Header=BB6_130 Depth=2
	s_or_b32 exec_lo, exec_lo, s41
	v_and_b32_sdwa v1, v10, v117 dst_sel:DWORD dst_unused:UNUSED_PAD src0_sel:WORD_1 src1_sel:DWORD
	s_mov_b32 s13, 0
	s_mov_b32 s41, exec_lo
	v_cmpx_lt_i16_e32 0x7f, v1
	s_xor_b32 s41, exec_lo, s41
	s_cbranch_execz .LBB6_2316
; %bb.167:                              ;   in Loop: Header=BB6_130 Depth=2
	s_mov_b32 s13, -1
	s_mov_b32 s42, exec_lo
	v_cmpx_eq_u16_e32 0x80, v1
; %bb.168:                              ;   in Loop: Header=BB6_130 Depth=2
	s_xor_b32 s13, exec_lo, -1
; %bb.169:                              ;   in Loop: Header=BB6_130 Depth=2
	s_or_b32 exec_lo, exec_lo, s42
	s_and_b32 s13, s13, exec_lo
                                        ; implicit-def: $vgpr1
	s_or_saveexec_b32 s41, s41
	v_mov_b32_e32 v0, 0x7f800001
	s_xor_b32 exec_lo, exec_lo, s41
	s_cbranch_execnz .LBB6_2317
.LBB6_170:                              ;   in Loop: Header=BB6_130 Depth=2
	s_or_b32 exec_lo, exec_lo, s41
	s_and_saveexec_b32 s41, s13
	s_cbranch_execz .LBB6_172
.LBB6_171:                              ;   in Loop: Header=BB6_130 Depth=2
	v_bfe_u32 v0, v10, 16, 3
	v_bfe_u32 v3, v10, 19, 4
	v_lshlrev_b32_e32 v4, 8, v10
	v_ffbh_u32_e32 v1, v0
	v_cmp_eq_u32_e32 vcc_lo, 0, v3
	v_min_u32_e32 v1, 32, v1
	v_subrev_nc_u32_e32 v2, 28, v1
	v_sub_nc_u32_e32 v1, 29, v1
	v_lshlrev_b32_sdwa v2, v2, v10 dst_sel:DWORD dst_unused:UNUSED_PAD src0_sel:DWORD src1_sel:WORD_1
	v_cndmask_b32_e32 v1, v3, v1, vcc_lo
	v_and_b32_e32 v2, 7, v2
	v_lshl_add_u32 v1, v1, 23, 0x3b800000
	v_cndmask_b32_e32 v0, v0, v2, vcc_lo
	v_and_b32_e32 v2, 0x80000000, v4
	v_lshlrev_b32_e32 v0, 20, v0
	v_or3_b32 v0, v2, v1, v0
.LBB6_172:                              ;   in Loop: Header=BB6_130 Depth=2
	s_or_b32 exec_lo, exec_lo, s41
	v_mul_f32_e32 v0, s40, v0
	v_mov_b32_e32 v56, 0x80
	s_mov_b32 s41, exec_lo
	v_and_b32_e32 v1, 0x7f800000, v0
	v_cmpx_ne_u32_e32 0x7f800000, v1
	s_cbranch_execz .LBB6_180
; %bb.173:                              ;   in Loop: Header=BB6_130 Depth=2
	v_mov_b32_e32 v56, 0
	s_mov_b32 s42, exec_lo
	v_cmpx_ne_u32_e32 0, v0
	s_cbranch_execz .LBB6_179
; %bb.174:                              ;   in Loop: Header=BB6_130 Depth=2
	v_bfe_u32 v1, v0, 23, 8
	v_and_b32_e32 v2, 0x7fffff, v0
	v_sub_nc_u32_e32 v3, 0x78, v1
	v_cmp_gt_u32_e32 vcc_lo, 0x79, v1
	v_or_b32_e32 v4, 0x800000, v2
	v_cndmask_b32_e32 v3, 0, v3, vcc_lo
	v_cmp_eq_u32_e32 vcc_lo, 0, v1
	v_add_nc_u32_e32 v1, 0xffffff89, v1
	v_cndmask_b32_e64 v3, v3, 0x77, vcc_lo
	v_cndmask_b32_e32 v2, v4, v2, vcc_lo
	v_cndmask_b32_e64 v1, v1, 0xffffff8a, vcc_lo
	v_lshl_add_u32 v4, 0x100000, v3, -1
	v_lshrrev_b32_e32 v5, v3, v2
	v_lshlrev_b32_e64 v7, v3, 0x80000
	v_add_nc_u32_e32 v3, v3, v1
	v_and_b32_e32 v2, v4, v2
	v_bfe_u32 v6, v5, 20, 1
	v_cmp_eq_u32_e64 s13, v2, v7
	v_add_nc_u32_e32 v4, -1, v6
	v_cndmask_b32_e64 v2, 0, v4, s13
	v_lshrrev_b32_e32 v4, 23, v5
	s_mov_b32 s13, exec_lo
	v_add_nc_u32_e32 v2, v2, v5
	v_xor_b32_e32 v4, 1, v4
	v_and_b32_e32 v1, 0xfffff, v2
	v_add_nc_u32_e32 v2, v1, v5
                                        ; implicit-def: $vgpr1
	v_cmpx_ne_u32_e64 v3, v4
	s_xor_b32 s13, exec_lo, s13
; %bb.175:                              ;   in Loop: Header=BB6_130 Depth=2
	v_cmp_lt_u32_e32 vcc_lo, 0xffffff, v2
	v_sub_nc_u32_e32 v1, v3, v4
	v_cndmask_b32_e64 v3, 0, 1, vcc_lo
	v_add_co_ci_u32_e64 v1, null, 0, v1, vcc_lo
	v_lshrrev_b32_e32 v2, v3, v2
; %bb.176:                              ;   in Loop: Header=BB6_130 Depth=2
	s_andn2_saveexec_b32 s13, s13
; %bb.177:                              ;   in Loop: Header=BB6_130 Depth=2
	v_bfe_u32 v1, v2, 23, 1
; %bb.178:                              ;   in Loop: Header=BB6_130 Depth=2
	s_or_b32 exec_lo, exec_lo, s13
	v_lshrrev_b32_e32 v2, 20, v2
	v_min_i32_e32 v3, 15, v1
	v_cmp_gt_i32_e32 vcc_lo, 16, v1
	v_and_b32_sdwa v0, v0, v114 dst_sel:DWORD dst_unused:UNUSED_PAD src0_sel:BYTE_3 src1_sel:DWORD
	v_lshlrev_b32_e32 v3, 3, v3
	v_cndmask_b32_e32 v2, 7, v2, vcc_lo
	v_and_b32_e32 v3, 0xf8, v3
	v_and_b32_e32 v4, 7, v2
	v_or_b32_e32 v1, v1, v2
	v_or3_b32 v0, v3, v0, v4
	v_cmp_ne_u32_e32 vcc_lo, 0, v1
	v_cndmask_b32_e32 v56, 0, v0, vcc_lo
.LBB6_179:                              ;   in Loop: Header=BB6_130 Depth=2
	s_or_b32 exec_lo, exec_lo, s42
.LBB6_180:                              ;   in Loop: Header=BB6_130 Depth=2
	s_or_b32 exec_lo, exec_lo, s41
	v_cmp_gt_i16_sdwa s41, v10, v113 src0_sel:BYTE_3 src1_sel:DWORD
	s_mov_b32 s13, 0
	s_and_saveexec_b32 s42, s41
	s_xor_b32 s41, exec_lo, s42
	s_cbranch_execz .LBB6_2318
; %bb.181:                              ;   in Loop: Header=BB6_130 Depth=2
	v_cmp_eq_u16_sdwa s43, v10, v114 src0_sel:BYTE_3 src1_sel:DWORD
	s_mov_b32 s13, -1
	s_and_saveexec_b32 s42, s43
; %bb.182:                              ;   in Loop: Header=BB6_130 Depth=2
	s_xor_b32 s13, exec_lo, -1
; %bb.183:                              ;   in Loop: Header=BB6_130 Depth=2
	s_or_b32 exec_lo, exec_lo, s42
	s_and_b32 s13, s13, exec_lo
	s_or_saveexec_b32 s41, s41
	v_mov_b32_e32 v0, 0x7f800001
	s_xor_b32 exec_lo, exec_lo, s41
	s_cbranch_execnz .LBB6_2319
.LBB6_184:                              ;   in Loop: Header=BB6_130 Depth=2
	s_or_b32 exec_lo, exec_lo, s41
	s_and_saveexec_b32 s41, s13
	s_cbranch_execz .LBB6_186
.LBB6_185:                              ;   in Loop: Header=BB6_130 Depth=2
	v_bfe_u32 v0, v10, 24, 3
	v_bfe_u32 v3, v10, 27, 4
	v_ffbh_u32_e32 v1, v0
	v_cmp_eq_u32_e32 vcc_lo, 0, v3
	v_min_u32_e32 v1, 32, v1
	v_subrev_nc_u32_e32 v2, 28, v1
	v_sub_nc_u32_e32 v1, 29, v1
	v_lshlrev_b32_sdwa v2, v2, v10 dst_sel:DWORD dst_unused:UNUSED_PAD src0_sel:DWORD src1_sel:BYTE_3
	v_cndmask_b32_e32 v1, v3, v1, vcc_lo
	v_and_b32_e32 v2, 7, v2
	v_lshl_add_u32 v1, v1, 23, 0x3b800000
	v_cndmask_b32_e32 v0, v0, v2, vcc_lo
	v_and_b32_e32 v2, 0x80000000, v10
	v_lshlrev_b32_e32 v0, 20, v0
	v_or3_b32 v0, v2, v1, v0
.LBB6_186:                              ;   in Loop: Header=BB6_130 Depth=2
	s_or_b32 exec_lo, exec_lo, s41
	v_mul_f32_e32 v0, s40, v0
	v_mov_b32_e32 v63, 0x8000
	s_mov_b32 s41, exec_lo
	v_and_b32_e32 v1, 0x7f800000, v0
	v_cmpx_ne_u32_e32 0x7f800000, v1
	s_cbranch_execz .LBB6_194
; %bb.187:                              ;   in Loop: Header=BB6_130 Depth=2
	v_mov_b32_e32 v63, 0
	s_mov_b32 s42, exec_lo
	v_cmpx_ne_u32_e32 0, v0
	s_cbranch_execz .LBB6_193
; %bb.188:                              ;   in Loop: Header=BB6_130 Depth=2
	v_bfe_u32 v1, v0, 23, 8
	v_and_b32_e32 v2, 0x7fffff, v0
	v_sub_nc_u32_e32 v3, 0x78, v1
	v_cmp_gt_u32_e32 vcc_lo, 0x79, v1
	v_or_b32_e32 v4, 0x800000, v2
	v_cndmask_b32_e32 v3, 0, v3, vcc_lo
	v_cmp_eq_u32_e32 vcc_lo, 0, v1
	v_add_nc_u32_e32 v1, 0xffffff89, v1
	v_cndmask_b32_e64 v3, v3, 0x77, vcc_lo
	v_cndmask_b32_e32 v2, v4, v2, vcc_lo
	v_cndmask_b32_e64 v1, v1, 0xffffff8a, vcc_lo
	v_lshl_add_u32 v4, 0x100000, v3, -1
	v_lshrrev_b32_e32 v5, v3, v2
	v_lshlrev_b32_e64 v7, v3, 0x80000
	v_add_nc_u32_e32 v3, v3, v1
	v_and_b32_e32 v2, v4, v2
	v_bfe_u32 v6, v5, 20, 1
	v_cmp_eq_u32_e64 s13, v2, v7
	v_add_nc_u32_e32 v4, -1, v6
	v_cndmask_b32_e64 v2, 0, v4, s13
	v_lshrrev_b32_e32 v4, 23, v5
	s_mov_b32 s13, exec_lo
	v_add_nc_u32_e32 v2, v2, v5
	v_xor_b32_e32 v4, 1, v4
	v_and_b32_e32 v1, 0xfffff, v2
	v_add_nc_u32_e32 v2, v1, v5
                                        ; implicit-def: $vgpr1
	v_cmpx_ne_u32_e64 v3, v4
	s_xor_b32 s13, exec_lo, s13
; %bb.189:                              ;   in Loop: Header=BB6_130 Depth=2
	v_cmp_lt_u32_e32 vcc_lo, 0xffffff, v2
	v_sub_nc_u32_e32 v1, v3, v4
	v_cndmask_b32_e64 v3, 0, 1, vcc_lo
	v_add_co_ci_u32_e64 v1, null, 0, v1, vcc_lo
	v_lshrrev_b32_e32 v2, v3, v2
; %bb.190:                              ;   in Loop: Header=BB6_130 Depth=2
	s_andn2_saveexec_b32 s13, s13
; %bb.191:                              ;   in Loop: Header=BB6_130 Depth=2
	v_bfe_u32 v1, v2, 23, 1
; %bb.192:                              ;   in Loop: Header=BB6_130 Depth=2
	s_or_b32 exec_lo, exec_lo, s13
	v_lshrrev_b32_e32 v2, 20, v2
	v_min_i32_e32 v3, 15, v1
	v_cmp_gt_i32_e32 vcc_lo, 16, v1
	v_and_b32_sdwa v0, v0, v114 dst_sel:DWORD dst_unused:UNUSED_PAD src0_sel:BYTE_3 src1_sel:DWORD
	v_lshlrev_b32_e32 v3, 3, v3
	v_cndmask_b32_e32 v2, 7, v2, vcc_lo
	v_and_b32_e32 v3, 0xf8, v3
	v_and_b32_e32 v4, 7, v2
	v_or_b32_e32 v1, v1, v2
	v_or3_b32 v0, v0, v3, v4
	v_cmp_ne_u32_e32 vcc_lo, 0, v1
	v_lshlrev_b32_e32 v0, 8, v0
	v_cndmask_b32_e32 v63, 0, v0, vcc_lo
.LBB6_193:                              ;   in Loop: Header=BB6_130 Depth=2
	s_or_b32 exec_lo, exec_lo, s42
.LBB6_194:                              ;   in Loop: Header=BB6_130 Depth=2
	s_or_b32 exec_lo, exec_lo, s41
	v_cmp_gt_i16_sdwa s41, v11, v113 src0_sel:BYTE_0 src1_sel:DWORD
	s_mov_b32 s13, 0
	s_and_saveexec_b32 s42, s41
	s_xor_b32 s41, exec_lo, s42
	s_cbranch_execz .LBB6_2320
; %bb.195:                              ;   in Loop: Header=BB6_130 Depth=2
	v_cmp_eq_u16_sdwa s43, v11, v114 src0_sel:BYTE_0 src1_sel:DWORD
	s_mov_b32 s13, -1
	s_and_saveexec_b32 s42, s43
; %bb.196:                              ;   in Loop: Header=BB6_130 Depth=2
	s_xor_b32 s13, exec_lo, -1
; %bb.197:                              ;   in Loop: Header=BB6_130 Depth=2
	s_or_b32 exec_lo, exec_lo, s42
	s_and_b32 s13, s13, exec_lo
	s_or_saveexec_b32 s41, s41
	v_mov_b32_e32 v0, 0x7f800001
	s_xor_b32 exec_lo, exec_lo, s41
	s_cbranch_execnz .LBB6_2321
.LBB6_198:                              ;   in Loop: Header=BB6_130 Depth=2
	s_or_b32 exec_lo, exec_lo, s41
	s_and_saveexec_b32 s41, s13
	s_cbranch_execz .LBB6_200
.LBB6_199:                              ;   in Loop: Header=BB6_130 Depth=2
	v_and_b32_e32 v0, 7, v11
	v_bfe_u32 v3, v11, 3, 4
	v_lshlrev_b32_e32 v4, 24, v11
	v_ffbh_u32_e32 v1, v0
	v_cmp_eq_u32_e32 vcc_lo, 0, v3
	v_min_u32_e32 v1, 32, v1
	v_subrev_nc_u32_e32 v2, 28, v1
	v_sub_nc_u32_e32 v1, 29, v1
	v_lshlrev_b32_e32 v2, v2, v11
	v_cndmask_b32_e32 v1, v3, v1, vcc_lo
	v_and_b32_e32 v2, 7, v2
	v_lshl_add_u32 v1, v1, 23, 0x3b800000
	v_cndmask_b32_e32 v0, v0, v2, vcc_lo
	v_and_b32_e32 v2, 0x80000000, v4
	v_lshlrev_b32_e32 v0, 20, v0
	v_or3_b32 v0, v2, v1, v0
.LBB6_200:                              ;   in Loop: Header=BB6_130 Depth=2
	s_or_b32 exec_lo, exec_lo, s41
	v_mul_f32_e32 v0, s40, v0
	v_mov_b32_e32 v34, 0x80
	s_mov_b32 s41, exec_lo
	v_and_b32_e32 v1, 0x7f800000, v0
	v_cmpx_ne_u32_e32 0x7f800000, v1
	s_cbranch_execz .LBB6_208
; %bb.201:                              ;   in Loop: Header=BB6_130 Depth=2
	v_mov_b32_e32 v34, 0
	s_mov_b32 s42, exec_lo
	v_cmpx_ne_u32_e32 0, v0
	s_cbranch_execz .LBB6_207
; %bb.202:                              ;   in Loop: Header=BB6_130 Depth=2
	v_bfe_u32 v1, v0, 23, 8
	v_and_b32_e32 v2, 0x7fffff, v0
	v_sub_nc_u32_e32 v3, 0x78, v1
	v_cmp_gt_u32_e32 vcc_lo, 0x79, v1
	v_or_b32_e32 v4, 0x800000, v2
	v_cndmask_b32_e32 v3, 0, v3, vcc_lo
	v_cmp_eq_u32_e32 vcc_lo, 0, v1
	v_add_nc_u32_e32 v1, 0xffffff89, v1
	v_cndmask_b32_e64 v3, v3, 0x77, vcc_lo
	v_cndmask_b32_e32 v2, v4, v2, vcc_lo
	v_cndmask_b32_e64 v1, v1, 0xffffff8a, vcc_lo
	v_lshl_add_u32 v4, 0x100000, v3, -1
	v_lshrrev_b32_e32 v5, v3, v2
	v_lshlrev_b32_e64 v7, v3, 0x80000
	v_add_nc_u32_e32 v3, v3, v1
	v_and_b32_e32 v2, v4, v2
	v_bfe_u32 v6, v5, 20, 1
	v_cmp_eq_u32_e64 s13, v2, v7
	v_add_nc_u32_e32 v4, -1, v6
	v_cndmask_b32_e64 v2, 0, v4, s13
	v_lshrrev_b32_e32 v4, 23, v5
	s_mov_b32 s13, exec_lo
	v_add_nc_u32_e32 v2, v2, v5
	v_xor_b32_e32 v4, 1, v4
	v_and_b32_e32 v1, 0xfffff, v2
	v_add_nc_u32_e32 v2, v1, v5
                                        ; implicit-def: $vgpr1
	v_cmpx_ne_u32_e64 v3, v4
	s_xor_b32 s13, exec_lo, s13
; %bb.203:                              ;   in Loop: Header=BB6_130 Depth=2
	v_cmp_lt_u32_e32 vcc_lo, 0xffffff, v2
	v_sub_nc_u32_e32 v1, v3, v4
	v_cndmask_b32_e64 v3, 0, 1, vcc_lo
	v_add_co_ci_u32_e64 v1, null, 0, v1, vcc_lo
	v_lshrrev_b32_e32 v2, v3, v2
; %bb.204:                              ;   in Loop: Header=BB6_130 Depth=2
	s_andn2_saveexec_b32 s13, s13
; %bb.205:                              ;   in Loop: Header=BB6_130 Depth=2
	v_bfe_u32 v1, v2, 23, 1
; %bb.206:                              ;   in Loop: Header=BB6_130 Depth=2
	s_or_b32 exec_lo, exec_lo, s13
	v_lshrrev_b32_e32 v2, 20, v2
	v_min_i32_e32 v3, 15, v1
	v_cmp_gt_i32_e32 vcc_lo, 16, v1
	v_and_b32_sdwa v0, v0, v114 dst_sel:DWORD dst_unused:UNUSED_PAD src0_sel:BYTE_3 src1_sel:DWORD
	v_lshlrev_b32_e32 v3, 3, v3
	v_cndmask_b32_e32 v2, 7, v2, vcc_lo
	v_and_b32_e32 v3, 0xf8, v3
	v_and_b32_e32 v4, 7, v2
	v_or_b32_e32 v1, v1, v2
	v_or3_b32 v0, v3, v0, v4
	v_cmp_ne_u32_e32 vcc_lo, 0, v1
	v_cndmask_b32_e32 v34, 0, v0, vcc_lo
.LBB6_207:                              ;   in Loop: Header=BB6_130 Depth=2
	s_or_b32 exec_lo, exec_lo, s42
.LBB6_208:                              ;   in Loop: Header=BB6_130 Depth=2
	s_or_b32 exec_lo, exec_lo, s41
	v_cmp_gt_i16_sdwa s41, v11, v113 src0_sel:BYTE_1 src1_sel:DWORD
	s_mov_b32 s13, 0
	s_and_saveexec_b32 s42, s41
	s_xor_b32 s41, exec_lo, s42
	s_cbranch_execz .LBB6_2322
; %bb.209:                              ;   in Loop: Header=BB6_130 Depth=2
	v_cmp_eq_u16_sdwa s43, v11, v114 src0_sel:BYTE_1 src1_sel:DWORD
	s_mov_b32 s13, -1
	s_and_saveexec_b32 s42, s43
; %bb.210:                              ;   in Loop: Header=BB6_130 Depth=2
	s_xor_b32 s13, exec_lo, -1
; %bb.211:                              ;   in Loop: Header=BB6_130 Depth=2
	s_or_b32 exec_lo, exec_lo, s42
	s_and_b32 s13, s13, exec_lo
	s_or_saveexec_b32 s41, s41
	v_mov_b32_e32 v0, 0x7f800001
	s_xor_b32 exec_lo, exec_lo, s41
	s_cbranch_execnz .LBB6_2323
.LBB6_212:                              ;   in Loop: Header=BB6_130 Depth=2
	s_or_b32 exec_lo, exec_lo, s41
	s_and_saveexec_b32 s41, s13
	s_cbranch_execz .LBB6_214
.LBB6_213:                              ;   in Loop: Header=BB6_130 Depth=2
	v_and_b32_sdwa v0, v115, v11 dst_sel:DWORD dst_unused:UNUSED_PAD src0_sel:DWORD src1_sel:BYTE_1
	v_and_b32_e32 v1, 7, v0
	v_bfe_u32 v4, v0, 3, 4
	v_ffbh_u32_e32 v2, v1
	v_cmp_eq_u32_e32 vcc_lo, 0, v4
	v_min_u32_e32 v2, 32, v2
	v_subrev_nc_u32_e32 v3, 28, v2
	v_sub_nc_u32_e32 v2, 29, v2
	v_lshlrev_b32_e32 v0, v3, v0
	v_lshlrev_b32_sdwa v3, v116, v11 dst_sel:DWORD dst_unused:UNUSED_PAD src0_sel:DWORD src1_sel:BYTE_1
	v_cndmask_b32_e32 v2, v4, v2, vcc_lo
	v_and_b32_e32 v0, 7, v0
	v_lshl_add_u32 v2, v2, 23, 0x3b800000
	v_cndmask_b32_e32 v0, v1, v0, vcc_lo
	v_and_b32_e32 v1, 0x80000000, v3
	v_lshlrev_b32_e32 v0, 20, v0
	v_or3_b32 v0, v1, v2, v0
.LBB6_214:                              ;   in Loop: Header=BB6_130 Depth=2
	s_or_b32 exec_lo, exec_lo, s41
	v_mul_f32_e32 v0, s40, v0
	v_mov_b32_e32 v35, 0x8000
	s_mov_b32 s41, exec_lo
	v_and_b32_e32 v1, 0x7f800000, v0
	v_cmpx_ne_u32_e32 0x7f800000, v1
	s_cbranch_execz .LBB6_222
; %bb.215:                              ;   in Loop: Header=BB6_130 Depth=2
	v_mov_b32_e32 v35, 0
	s_mov_b32 s42, exec_lo
	v_cmpx_ne_u32_e32 0, v0
	s_cbranch_execz .LBB6_221
; %bb.216:                              ;   in Loop: Header=BB6_130 Depth=2
	v_bfe_u32 v1, v0, 23, 8
	v_and_b32_e32 v2, 0x7fffff, v0
	v_sub_nc_u32_e32 v3, 0x78, v1
	v_cmp_gt_u32_e32 vcc_lo, 0x79, v1
	v_or_b32_e32 v4, 0x800000, v2
	v_cndmask_b32_e32 v3, 0, v3, vcc_lo
	v_cmp_eq_u32_e32 vcc_lo, 0, v1
	v_add_nc_u32_e32 v1, 0xffffff89, v1
	v_cndmask_b32_e64 v3, v3, 0x77, vcc_lo
	v_cndmask_b32_e32 v2, v4, v2, vcc_lo
	v_cndmask_b32_e64 v1, v1, 0xffffff8a, vcc_lo
	v_lshl_add_u32 v4, 0x100000, v3, -1
	v_lshrrev_b32_e32 v5, v3, v2
	v_lshlrev_b32_e64 v7, v3, 0x80000
	v_add_nc_u32_e32 v3, v3, v1
	v_and_b32_e32 v2, v4, v2
	v_bfe_u32 v6, v5, 20, 1
	v_cmp_eq_u32_e64 s13, v2, v7
	v_add_nc_u32_e32 v4, -1, v6
	v_cndmask_b32_e64 v2, 0, v4, s13
	v_lshrrev_b32_e32 v4, 23, v5
	s_mov_b32 s13, exec_lo
	v_add_nc_u32_e32 v2, v2, v5
	v_xor_b32_e32 v4, 1, v4
	v_and_b32_e32 v1, 0xfffff, v2
	v_add_nc_u32_e32 v2, v1, v5
                                        ; implicit-def: $vgpr1
	v_cmpx_ne_u32_e64 v3, v4
	s_xor_b32 s13, exec_lo, s13
; %bb.217:                              ;   in Loop: Header=BB6_130 Depth=2
	v_cmp_lt_u32_e32 vcc_lo, 0xffffff, v2
	v_sub_nc_u32_e32 v1, v3, v4
	v_cndmask_b32_e64 v3, 0, 1, vcc_lo
	v_add_co_ci_u32_e64 v1, null, 0, v1, vcc_lo
	v_lshrrev_b32_e32 v2, v3, v2
; %bb.218:                              ;   in Loop: Header=BB6_130 Depth=2
	s_andn2_saveexec_b32 s13, s13
; %bb.219:                              ;   in Loop: Header=BB6_130 Depth=2
	v_bfe_u32 v1, v2, 23, 1
; %bb.220:                              ;   in Loop: Header=BB6_130 Depth=2
	s_or_b32 exec_lo, exec_lo, s13
	v_lshrrev_b32_e32 v2, 20, v2
	v_min_i32_e32 v3, 15, v1
	v_cmp_gt_i32_e32 vcc_lo, 16, v1
	v_and_b32_sdwa v0, v0, v114 dst_sel:DWORD dst_unused:UNUSED_PAD src0_sel:BYTE_3 src1_sel:DWORD
	v_lshlrev_b32_e32 v3, 3, v3
	v_cndmask_b32_e32 v2, 7, v2, vcc_lo
	v_and_b32_e32 v3, 0xf8, v3
	v_and_b32_e32 v4, 7, v2
	v_or_b32_e32 v1, v1, v2
	v_or3_b32 v0, v0, v3, v4
	v_cmp_ne_u32_e32 vcc_lo, 0, v1
	v_lshlrev_b32_e32 v0, 8, v0
	v_cndmask_b32_e32 v35, 0, v0, vcc_lo
.LBB6_221:                              ;   in Loop: Header=BB6_130 Depth=2
	s_or_b32 exec_lo, exec_lo, s42
.LBB6_222:                              ;   in Loop: Header=BB6_130 Depth=2
	s_or_b32 exec_lo, exec_lo, s41
	v_and_b32_sdwa v1, v11, v117 dst_sel:DWORD dst_unused:UNUSED_PAD src0_sel:WORD_1 src1_sel:DWORD
	s_mov_b32 s13, 0
	s_mov_b32 s41, exec_lo
	v_cmpx_lt_i16_e32 0x7f, v1
	s_xor_b32 s41, exec_lo, s41
	s_cbranch_execz .LBB6_2324
; %bb.223:                              ;   in Loop: Header=BB6_130 Depth=2
	s_mov_b32 s13, -1
	s_mov_b32 s42, exec_lo
	v_cmpx_eq_u16_e32 0x80, v1
; %bb.224:                              ;   in Loop: Header=BB6_130 Depth=2
	s_xor_b32 s13, exec_lo, -1
; %bb.225:                              ;   in Loop: Header=BB6_130 Depth=2
	s_or_b32 exec_lo, exec_lo, s42
	s_and_b32 s13, s13, exec_lo
                                        ; implicit-def: $vgpr1
	s_or_saveexec_b32 s41, s41
	v_mov_b32_e32 v0, 0x7f800001
	s_xor_b32 exec_lo, exec_lo, s41
	s_cbranch_execnz .LBB6_2325
.LBB6_226:                              ;   in Loop: Header=BB6_130 Depth=2
	s_or_b32 exec_lo, exec_lo, s41
	s_and_saveexec_b32 s41, s13
	s_cbranch_execz .LBB6_228
.LBB6_227:                              ;   in Loop: Header=BB6_130 Depth=2
	v_bfe_u32 v0, v11, 16, 3
	v_bfe_u32 v3, v11, 19, 4
	v_lshlrev_b32_e32 v4, 8, v11
	v_ffbh_u32_e32 v1, v0
	v_cmp_eq_u32_e32 vcc_lo, 0, v3
	v_min_u32_e32 v1, 32, v1
	v_subrev_nc_u32_e32 v2, 28, v1
	v_sub_nc_u32_e32 v1, 29, v1
	v_lshlrev_b32_sdwa v2, v2, v11 dst_sel:DWORD dst_unused:UNUSED_PAD src0_sel:DWORD src1_sel:WORD_1
	v_cndmask_b32_e32 v1, v3, v1, vcc_lo
	v_and_b32_e32 v2, 7, v2
	v_lshl_add_u32 v1, v1, 23, 0x3b800000
	v_cndmask_b32_e32 v0, v0, v2, vcc_lo
	v_and_b32_e32 v2, 0x80000000, v4
	v_lshlrev_b32_e32 v0, 20, v0
	v_or3_b32 v0, v2, v1, v0
.LBB6_228:                              ;   in Loop: Header=BB6_130 Depth=2
	s_or_b32 exec_lo, exec_lo, s41
	v_mul_f32_e32 v0, s40, v0
	v_and_b32_e32 v1, 0x7f800000, v0
	v_cmp_ne_u32_e32 vcc_lo, 0x7f800000, v1
	v_mov_b32_e32 v1, 0x80
	s_and_saveexec_b32 s41, vcc_lo
	s_cbranch_execz .LBB6_236
; %bb.229:                              ;   in Loop: Header=BB6_130 Depth=2
	v_mov_b32_e32 v1, 0
	s_mov_b32 s42, exec_lo
	v_cmpx_ne_u32_e32 0, v0
	s_cbranch_execz .LBB6_235
; %bb.230:                              ;   in Loop: Header=BB6_130 Depth=2
	v_bfe_u32 v1, v0, 23, 8
	v_and_b32_e32 v2, 0x7fffff, v0
	v_sub_nc_u32_e32 v3, 0x78, v1
	v_cmp_gt_u32_e32 vcc_lo, 0x79, v1
	v_or_b32_e32 v4, 0x800000, v2
	v_cndmask_b32_e32 v3, 0, v3, vcc_lo
	v_cmp_eq_u32_e32 vcc_lo, 0, v1
	v_add_nc_u32_e32 v1, 0xffffff89, v1
	v_cndmask_b32_e64 v3, v3, 0x77, vcc_lo
	v_cndmask_b32_e32 v2, v4, v2, vcc_lo
	v_cndmask_b32_e64 v1, v1, 0xffffff8a, vcc_lo
	v_lshl_add_u32 v4, 0x100000, v3, -1
	v_lshrrev_b32_e32 v5, v3, v2
	v_lshlrev_b32_e64 v7, v3, 0x80000
	v_add_nc_u32_e32 v3, v3, v1
	v_and_b32_e32 v2, v4, v2
	v_bfe_u32 v6, v5, 20, 1
	v_cmp_eq_u32_e64 s13, v2, v7
	v_add_nc_u32_e32 v4, -1, v6
	v_cndmask_b32_e64 v2, 0, v4, s13
	v_lshrrev_b32_e32 v4, 23, v5
	s_mov_b32 s13, exec_lo
	v_add_nc_u32_e32 v2, v2, v5
	v_xor_b32_e32 v4, 1, v4
	v_and_b32_e32 v1, 0xfffff, v2
	v_add_nc_u32_e32 v2, v1, v5
                                        ; implicit-def: $vgpr1
	v_cmpx_ne_u32_e64 v3, v4
	s_xor_b32 s13, exec_lo, s13
; %bb.231:                              ;   in Loop: Header=BB6_130 Depth=2
	v_cmp_lt_u32_e32 vcc_lo, 0xffffff, v2
	v_sub_nc_u32_e32 v1, v3, v4
	v_cndmask_b32_e64 v3, 0, 1, vcc_lo
	v_add_co_ci_u32_e64 v1, null, 0, v1, vcc_lo
	v_lshrrev_b32_e32 v2, v3, v2
; %bb.232:                              ;   in Loop: Header=BB6_130 Depth=2
	s_andn2_saveexec_b32 s13, s13
; %bb.233:                              ;   in Loop: Header=BB6_130 Depth=2
	v_bfe_u32 v1, v2, 23, 1
; %bb.234:                              ;   in Loop: Header=BB6_130 Depth=2
	s_or_b32 exec_lo, exec_lo, s13
	v_lshrrev_b32_e32 v2, 20, v2
	v_min_i32_e32 v3, 15, v1
	v_cmp_gt_i32_e32 vcc_lo, 16, v1
	v_and_b32_sdwa v0, v0, v114 dst_sel:DWORD dst_unused:UNUSED_PAD src0_sel:BYTE_3 src1_sel:DWORD
	v_lshlrev_b32_e32 v3, 3, v3
	v_cndmask_b32_e32 v2, 7, v2, vcc_lo
	v_and_b32_e32 v3, 0xf8, v3
	v_and_b32_e32 v4, 7, v2
	v_or_b32_e32 v1, v1, v2
	v_or3_b32 v0, v3, v0, v4
	v_cmp_ne_u32_e32 vcc_lo, 0, v1
	v_cndmask_b32_e32 v1, 0, v0, vcc_lo
.LBB6_235:                              ;   in Loop: Header=BB6_130 Depth=2
	s_or_b32 exec_lo, exec_lo, s42
.LBB6_236:                              ;   in Loop: Header=BB6_130 Depth=2
	s_or_b32 exec_lo, exec_lo, s41
	v_cmp_gt_i16_sdwa s41, v11, v113 src0_sel:BYTE_3 src1_sel:DWORD
	s_mov_b32 s13, 0
	s_and_saveexec_b32 s42, s41
	s_xor_b32 s41, exec_lo, s42
	s_cbranch_execz .LBB6_2326
; %bb.237:                              ;   in Loop: Header=BB6_130 Depth=2
	v_cmp_eq_u16_sdwa s43, v11, v114 src0_sel:BYTE_3 src1_sel:DWORD
	s_mov_b32 s13, -1
	s_and_saveexec_b32 s42, s43
; %bb.238:                              ;   in Loop: Header=BB6_130 Depth=2
	s_xor_b32 s13, exec_lo, -1
; %bb.239:                              ;   in Loop: Header=BB6_130 Depth=2
	s_or_b32 exec_lo, exec_lo, s42
	s_and_b32 s13, s13, exec_lo
	s_or_saveexec_b32 s41, s41
	v_mov_b32_e32 v0, 0x7f800001
	s_xor_b32 exec_lo, exec_lo, s41
	s_cbranch_execnz .LBB6_2327
.LBB6_240:                              ;   in Loop: Header=BB6_130 Depth=2
	s_or_b32 exec_lo, exec_lo, s41
	s_and_saveexec_b32 s41, s13
	s_cbranch_execz .LBB6_242
.LBB6_241:                              ;   in Loop: Header=BB6_130 Depth=2
	v_bfe_u32 v0, v11, 24, 3
	v_bfe_u32 v4, v11, 27, 4
	v_ffbh_u32_e32 v2, v0
	v_cmp_eq_u32_e32 vcc_lo, 0, v4
	v_min_u32_e32 v2, 32, v2
	v_subrev_nc_u32_e32 v3, 28, v2
	v_sub_nc_u32_e32 v2, 29, v2
	v_lshlrev_b32_sdwa v3, v3, v11 dst_sel:DWORD dst_unused:UNUSED_PAD src0_sel:DWORD src1_sel:BYTE_3
	v_cndmask_b32_e32 v2, v4, v2, vcc_lo
	v_and_b32_e32 v3, 7, v3
	v_lshl_add_u32 v2, v2, 23, 0x3b800000
	v_cndmask_b32_e32 v0, v0, v3, vcc_lo
	v_and_b32_e32 v3, 0x80000000, v11
	v_lshlrev_b32_e32 v0, 20, v0
	v_or3_b32 v0, v3, v2, v0
.LBB6_242:                              ;   in Loop: Header=BB6_130 Depth=2
	s_or_b32 exec_lo, exec_lo, s41
	v_mul_f32_e32 v0, s40, v0
	v_mov_b32_e32 v77, 0x8000
	s_mov_b32 s41, exec_lo
	v_and_b32_e32 v2, 0x7f800000, v0
	v_cmpx_ne_u32_e32 0x7f800000, v2
	s_cbranch_execz .LBB6_250
; %bb.243:                              ;   in Loop: Header=BB6_130 Depth=2
	v_mov_b32_e32 v77, 0
	s_mov_b32 s42, exec_lo
	v_cmpx_ne_u32_e32 0, v0
	s_cbranch_execz .LBB6_249
; %bb.244:                              ;   in Loop: Header=BB6_130 Depth=2
	v_bfe_u32 v2, v0, 23, 8
	v_and_b32_e32 v3, 0x7fffff, v0
	v_sub_nc_u32_e32 v4, 0x78, v2
	v_cmp_gt_u32_e32 vcc_lo, 0x79, v2
	v_or_b32_e32 v5, 0x800000, v3
	v_cndmask_b32_e32 v4, 0, v4, vcc_lo
	v_cmp_eq_u32_e32 vcc_lo, 0, v2
	v_add_nc_u32_e32 v2, 0xffffff89, v2
	v_cndmask_b32_e64 v4, v4, 0x77, vcc_lo
	v_cndmask_b32_e32 v3, v5, v3, vcc_lo
	v_cndmask_b32_e64 v2, v2, 0xffffff8a, vcc_lo
	v_lshl_add_u32 v5, 0x100000, v4, -1
	v_lshrrev_b32_e32 v6, v4, v3
	v_lshlrev_b32_e64 v8, v4, 0x80000
	v_add_nc_u32_e32 v4, v4, v2
	v_and_b32_e32 v3, v5, v3
	v_bfe_u32 v7, v6, 20, 1
	v_cmp_eq_u32_e64 s13, v3, v8
	v_add_nc_u32_e32 v5, -1, v7
	v_cndmask_b32_e64 v3, 0, v5, s13
	v_lshrrev_b32_e32 v5, 23, v6
	s_mov_b32 s13, exec_lo
	v_add_nc_u32_e32 v3, v3, v6
	v_xor_b32_e32 v5, 1, v5
	v_and_b32_e32 v2, 0xfffff, v3
	v_add_nc_u32_e32 v3, v2, v6
                                        ; implicit-def: $vgpr2
	v_cmpx_ne_u32_e64 v4, v5
	s_xor_b32 s13, exec_lo, s13
; %bb.245:                              ;   in Loop: Header=BB6_130 Depth=2
	v_cmp_lt_u32_e32 vcc_lo, 0xffffff, v3
	v_sub_nc_u32_e32 v2, v4, v5
	v_cndmask_b32_e64 v4, 0, 1, vcc_lo
	v_add_co_ci_u32_e64 v2, null, 0, v2, vcc_lo
	v_lshrrev_b32_e32 v3, v4, v3
; %bb.246:                              ;   in Loop: Header=BB6_130 Depth=2
	s_andn2_saveexec_b32 s13, s13
; %bb.247:                              ;   in Loop: Header=BB6_130 Depth=2
	v_bfe_u32 v2, v3, 23, 1
; %bb.248:                              ;   in Loop: Header=BB6_130 Depth=2
	s_or_b32 exec_lo, exec_lo, s13
	v_lshrrev_b32_e32 v3, 20, v3
	v_min_i32_e32 v4, 15, v2
	v_cmp_gt_i32_e32 vcc_lo, 16, v2
	v_and_b32_sdwa v0, v0, v114 dst_sel:DWORD dst_unused:UNUSED_PAD src0_sel:BYTE_3 src1_sel:DWORD
	v_lshlrev_b32_e32 v4, 3, v4
	v_cndmask_b32_e32 v3, 7, v3, vcc_lo
	v_and_b32_e32 v4, 0xf8, v4
	v_and_b32_e32 v5, 7, v3
	v_or_b32_e32 v2, v2, v3
	v_or3_b32 v0, v0, v4, v5
	v_cmp_ne_u32_e32 vcc_lo, 0, v2
	v_lshlrev_b32_e32 v0, 8, v0
	v_cndmask_b32_e32 v77, 0, v0, vcc_lo
.LBB6_249:                              ;   in Loop: Header=BB6_130 Depth=2
	s_or_b32 exec_lo, exec_lo, s42
.LBB6_250:                              ;   in Loop: Header=BB6_130 Depth=2
	s_or_b32 exec_lo, exec_lo, s41
	v_cmp_gt_i16_sdwa s41, v12, v113 src0_sel:BYTE_0 src1_sel:DWORD
	s_mov_b32 s13, 0
	s_and_saveexec_b32 s42, s41
	s_xor_b32 s41, exec_lo, s42
	s_cbranch_execz .LBB6_2328
; %bb.251:                              ;   in Loop: Header=BB6_130 Depth=2
	v_cmp_eq_u16_sdwa s43, v12, v114 src0_sel:BYTE_0 src1_sel:DWORD
	s_mov_b32 s13, -1
	s_and_saveexec_b32 s42, s43
; %bb.252:                              ;   in Loop: Header=BB6_130 Depth=2
	s_xor_b32 s13, exec_lo, -1
; %bb.253:                              ;   in Loop: Header=BB6_130 Depth=2
	s_or_b32 exec_lo, exec_lo, s42
	s_and_b32 s13, s13, exec_lo
	s_or_saveexec_b32 s41, s41
	v_mov_b32_e32 v0, 0x7f800001
	s_xor_b32 exec_lo, exec_lo, s41
	s_cbranch_execnz .LBB6_2329
.LBB6_254:                              ;   in Loop: Header=BB6_130 Depth=2
	s_or_b32 exec_lo, exec_lo, s41
	s_and_saveexec_b32 s41, s13
	s_cbranch_execz .LBB6_256
.LBB6_255:                              ;   in Loop: Header=BB6_130 Depth=2
	v_and_b32_e32 v0, 7, v12
	v_bfe_u32 v4, v12, 3, 4
	v_lshlrev_b32_e32 v5, 24, v12
	v_ffbh_u32_e32 v2, v0
	v_cmp_eq_u32_e32 vcc_lo, 0, v4
	v_min_u32_e32 v2, 32, v2
	v_subrev_nc_u32_e32 v3, 28, v2
	v_sub_nc_u32_e32 v2, 29, v2
	v_lshlrev_b32_e32 v3, v3, v12
	v_cndmask_b32_e32 v2, v4, v2, vcc_lo
	v_and_b32_e32 v3, 7, v3
	v_lshl_add_u32 v2, v2, 23, 0x3b800000
	v_cndmask_b32_e32 v0, v0, v3, vcc_lo
	v_and_b32_e32 v3, 0x80000000, v5
	v_lshlrev_b32_e32 v0, 20, v0
	v_or3_b32 v0, v3, v2, v0
.LBB6_256:                              ;   in Loop: Header=BB6_130 Depth=2
	s_or_b32 exec_lo, exec_lo, s41
	v_mul_f32_e32 v0, s40, v0
	v_mov_b32_e32 v90, 0x80
	s_mov_b32 s41, exec_lo
	v_and_b32_e32 v2, 0x7f800000, v0
	v_cmpx_ne_u32_e32 0x7f800000, v2
	s_cbranch_execz .LBB6_264
; %bb.257:                              ;   in Loop: Header=BB6_130 Depth=2
	v_mov_b32_e32 v90, 0
	s_mov_b32 s42, exec_lo
	v_cmpx_ne_u32_e32 0, v0
	s_cbranch_execz .LBB6_263
; %bb.258:                              ;   in Loop: Header=BB6_130 Depth=2
	v_bfe_u32 v2, v0, 23, 8
	v_and_b32_e32 v3, 0x7fffff, v0
	v_sub_nc_u32_e32 v4, 0x78, v2
	v_cmp_gt_u32_e32 vcc_lo, 0x79, v2
	v_or_b32_e32 v5, 0x800000, v3
	v_cndmask_b32_e32 v4, 0, v4, vcc_lo
	v_cmp_eq_u32_e32 vcc_lo, 0, v2
	v_add_nc_u32_e32 v2, 0xffffff89, v2
	v_cndmask_b32_e64 v4, v4, 0x77, vcc_lo
	v_cndmask_b32_e32 v3, v5, v3, vcc_lo
	v_cndmask_b32_e64 v2, v2, 0xffffff8a, vcc_lo
	v_lshl_add_u32 v5, 0x100000, v4, -1
	v_lshrrev_b32_e32 v6, v4, v3
	v_lshlrev_b32_e64 v8, v4, 0x80000
	v_add_nc_u32_e32 v4, v4, v2
	v_and_b32_e32 v3, v5, v3
	v_bfe_u32 v7, v6, 20, 1
	v_cmp_eq_u32_e64 s13, v3, v8
	v_add_nc_u32_e32 v5, -1, v7
	v_cndmask_b32_e64 v3, 0, v5, s13
	v_lshrrev_b32_e32 v5, 23, v6
	s_mov_b32 s13, exec_lo
	v_add_nc_u32_e32 v3, v3, v6
	v_xor_b32_e32 v5, 1, v5
	v_and_b32_e32 v2, 0xfffff, v3
	v_add_nc_u32_e32 v3, v2, v6
                                        ; implicit-def: $vgpr2
	v_cmpx_ne_u32_e64 v4, v5
	s_xor_b32 s13, exec_lo, s13
; %bb.259:                              ;   in Loop: Header=BB6_130 Depth=2
	v_cmp_lt_u32_e32 vcc_lo, 0xffffff, v3
	v_sub_nc_u32_e32 v2, v4, v5
	v_cndmask_b32_e64 v4, 0, 1, vcc_lo
	v_add_co_ci_u32_e64 v2, null, 0, v2, vcc_lo
	v_lshrrev_b32_e32 v3, v4, v3
; %bb.260:                              ;   in Loop: Header=BB6_130 Depth=2
	s_andn2_saveexec_b32 s13, s13
; %bb.261:                              ;   in Loop: Header=BB6_130 Depth=2
	v_bfe_u32 v2, v3, 23, 1
; %bb.262:                              ;   in Loop: Header=BB6_130 Depth=2
	s_or_b32 exec_lo, exec_lo, s13
	v_lshrrev_b32_e32 v3, 20, v3
	v_min_i32_e32 v4, 15, v2
	v_cmp_gt_i32_e32 vcc_lo, 16, v2
	v_and_b32_sdwa v0, v0, v114 dst_sel:DWORD dst_unused:UNUSED_PAD src0_sel:BYTE_3 src1_sel:DWORD
	v_lshlrev_b32_e32 v4, 3, v4
	v_cndmask_b32_e32 v3, 7, v3, vcc_lo
	v_and_b32_e32 v4, 0xf8, v4
	v_and_b32_e32 v5, 7, v3
	v_or_b32_e32 v2, v2, v3
	v_or3_b32 v0, v4, v0, v5
	v_cmp_ne_u32_e32 vcc_lo, 0, v2
	v_cndmask_b32_e32 v90, 0, v0, vcc_lo
.LBB6_263:                              ;   in Loop: Header=BB6_130 Depth=2
	s_or_b32 exec_lo, exec_lo, s42
.LBB6_264:                              ;   in Loop: Header=BB6_130 Depth=2
	s_or_b32 exec_lo, exec_lo, s41
	v_cmp_gt_i16_sdwa s41, v12, v113 src0_sel:BYTE_1 src1_sel:DWORD
	s_mov_b32 s13, 0
	s_and_saveexec_b32 s42, s41
	s_xor_b32 s41, exec_lo, s42
	s_cbranch_execz .LBB6_2330
; %bb.265:                              ;   in Loop: Header=BB6_130 Depth=2
	v_cmp_eq_u16_sdwa s43, v12, v114 src0_sel:BYTE_1 src1_sel:DWORD
	s_mov_b32 s13, -1
	s_and_saveexec_b32 s42, s43
; %bb.266:                              ;   in Loop: Header=BB6_130 Depth=2
	s_xor_b32 s13, exec_lo, -1
; %bb.267:                              ;   in Loop: Header=BB6_130 Depth=2
	s_or_b32 exec_lo, exec_lo, s42
	s_and_b32 s13, s13, exec_lo
	s_or_saveexec_b32 s41, s41
	v_mov_b32_e32 v0, 0x7f800001
	s_xor_b32 exec_lo, exec_lo, s41
	s_cbranch_execnz .LBB6_2331
.LBB6_268:                              ;   in Loop: Header=BB6_130 Depth=2
	s_or_b32 exec_lo, exec_lo, s41
	s_and_saveexec_b32 s41, s13
	s_cbranch_execz .LBB6_270
.LBB6_269:                              ;   in Loop: Header=BB6_130 Depth=2
	v_and_b32_sdwa v0, v115, v12 dst_sel:DWORD dst_unused:UNUSED_PAD src0_sel:DWORD src1_sel:BYTE_1
	v_and_b32_e32 v2, 7, v0
	v_bfe_u32 v5, v0, 3, 4
	v_ffbh_u32_e32 v3, v2
	v_cmp_eq_u32_e32 vcc_lo, 0, v5
	v_min_u32_e32 v3, 32, v3
	v_subrev_nc_u32_e32 v4, 28, v3
	v_sub_nc_u32_e32 v3, 29, v3
	v_lshlrev_b32_e32 v0, v4, v0
	v_lshlrev_b32_sdwa v4, v116, v12 dst_sel:DWORD dst_unused:UNUSED_PAD src0_sel:DWORD src1_sel:BYTE_1
	v_cndmask_b32_e32 v3, v5, v3, vcc_lo
	v_and_b32_e32 v0, 7, v0
	v_lshl_add_u32 v3, v3, 23, 0x3b800000
	v_cndmask_b32_e32 v0, v2, v0, vcc_lo
	v_and_b32_e32 v2, 0x80000000, v4
	v_lshlrev_b32_e32 v0, 20, v0
	v_or3_b32 v0, v2, v3, v0
.LBB6_270:                              ;   in Loop: Header=BB6_130 Depth=2
	s_or_b32 exec_lo, exec_lo, s41
	v_mul_f32_e32 v2, s40, v0
	v_and_b32_e32 v0, 0x7f800000, v2
	v_cmp_ne_u32_e32 vcc_lo, 0x7f800000, v0
	v_mov_b32_e32 v0, 0x8000
	s_and_saveexec_b32 s41, vcc_lo
	s_cbranch_execz .LBB6_278
; %bb.271:                              ;   in Loop: Header=BB6_130 Depth=2
	v_mov_b32_e32 v0, 0
	s_mov_b32 s42, exec_lo
	v_cmpx_ne_u32_e32 0, v2
	s_cbranch_execz .LBB6_277
; %bb.272:                              ;   in Loop: Header=BB6_130 Depth=2
	v_bfe_u32 v0, v2, 23, 8
	v_and_b32_e32 v3, 0x7fffff, v2
	v_sub_nc_u32_e32 v4, 0x78, v0
	v_cmp_gt_u32_e32 vcc_lo, 0x79, v0
	v_or_b32_e32 v5, 0x800000, v3
	v_cndmask_b32_e32 v4, 0, v4, vcc_lo
	v_cmp_eq_u32_e32 vcc_lo, 0, v0
	v_add_nc_u32_e32 v0, 0xffffff89, v0
	v_cndmask_b32_e64 v4, v4, 0x77, vcc_lo
	v_cndmask_b32_e32 v3, v5, v3, vcc_lo
	v_cndmask_b32_e64 v0, v0, 0xffffff8a, vcc_lo
	v_lshl_add_u32 v5, 0x100000, v4, -1
	v_lshrrev_b32_e32 v6, v4, v3
	v_lshlrev_b32_e64 v8, v4, 0x80000
	v_add_nc_u32_e32 v4, v4, v0
	v_and_b32_e32 v3, v5, v3
	v_bfe_u32 v7, v6, 20, 1
	v_cmp_eq_u32_e64 s13, v3, v8
	v_add_nc_u32_e32 v5, -1, v7
	v_cndmask_b32_e64 v3, 0, v5, s13
	v_lshrrev_b32_e32 v5, 23, v6
	s_mov_b32 s13, exec_lo
	v_add_nc_u32_e32 v3, v3, v6
	v_xor_b32_e32 v5, 1, v5
	v_and_b32_e32 v0, 0xfffff, v3
	v_add_nc_u32_e32 v3, v0, v6
                                        ; implicit-def: $vgpr0
	v_cmpx_ne_u32_e64 v4, v5
	s_xor_b32 s13, exec_lo, s13
; %bb.273:                              ;   in Loop: Header=BB6_130 Depth=2
	v_cmp_lt_u32_e32 vcc_lo, 0xffffff, v3
	v_sub_nc_u32_e32 v0, v4, v5
	v_cndmask_b32_e64 v4, 0, 1, vcc_lo
	v_add_co_ci_u32_e64 v0, null, 0, v0, vcc_lo
	v_lshrrev_b32_e32 v3, v4, v3
; %bb.274:                              ;   in Loop: Header=BB6_130 Depth=2
	s_andn2_saveexec_b32 s13, s13
; %bb.275:                              ;   in Loop: Header=BB6_130 Depth=2
	v_bfe_u32 v0, v3, 23, 1
; %bb.276:                              ;   in Loop: Header=BB6_130 Depth=2
	s_or_b32 exec_lo, exec_lo, s13
	v_lshrrev_b32_e32 v3, 20, v3
	v_min_i32_e32 v4, 15, v0
	v_cmp_gt_i32_e32 vcc_lo, 16, v0
	v_and_b32_sdwa v2, v2, v114 dst_sel:DWORD dst_unused:UNUSED_PAD src0_sel:BYTE_3 src1_sel:DWORD
	v_lshlrev_b32_e32 v4, 3, v4
	v_cndmask_b32_e32 v3, 7, v3, vcc_lo
	v_and_b32_e32 v4, 0xf8, v4
	v_and_b32_e32 v5, 7, v3
	v_or_b32_e32 v0, v0, v3
	v_or3_b32 v2, v2, v4, v5
	v_cmp_ne_u32_e32 vcc_lo, 0, v0
	v_lshlrev_b32_e32 v2, 8, v2
	v_cndmask_b32_e32 v0, 0, v2, vcc_lo
.LBB6_277:                              ;   in Loop: Header=BB6_130 Depth=2
	s_or_b32 exec_lo, exec_lo, s42
.LBB6_278:                              ;   in Loop: Header=BB6_130 Depth=2
	s_or_b32 exec_lo, exec_lo, s41
	v_and_b32_sdwa v3, v12, v117 dst_sel:DWORD dst_unused:UNUSED_PAD src0_sel:WORD_1 src1_sel:DWORD
	s_mov_b32 s13, 0
	s_mov_b32 s41, exec_lo
	v_cmpx_lt_i16_e32 0x7f, v3
	s_xor_b32 s41, exec_lo, s41
	s_cbranch_execz .LBB6_2332
; %bb.279:                              ;   in Loop: Header=BB6_130 Depth=2
	s_mov_b32 s13, -1
	s_mov_b32 s42, exec_lo
	v_cmpx_eq_u16_e32 0x80, v3
; %bb.280:                              ;   in Loop: Header=BB6_130 Depth=2
	s_xor_b32 s13, exec_lo, -1
; %bb.281:                              ;   in Loop: Header=BB6_130 Depth=2
	s_or_b32 exec_lo, exec_lo, s42
	s_and_b32 s13, s13, exec_lo
                                        ; implicit-def: $vgpr3
	s_or_saveexec_b32 s41, s41
	v_mov_b32_e32 v2, 0x7f800001
	s_xor_b32 exec_lo, exec_lo, s41
	s_cbranch_execnz .LBB6_2333
.LBB6_282:                              ;   in Loop: Header=BB6_130 Depth=2
	s_or_b32 exec_lo, exec_lo, s41
	s_and_saveexec_b32 s41, s13
	s_cbranch_execz .LBB6_284
.LBB6_283:                              ;   in Loop: Header=BB6_130 Depth=2
	v_bfe_u32 v2, v12, 16, 3
	v_bfe_u32 v5, v12, 19, 4
	v_lshlrev_b32_e32 v6, 8, v12
	v_ffbh_u32_e32 v3, v2
	v_cmp_eq_u32_e32 vcc_lo, 0, v5
	v_min_u32_e32 v3, 32, v3
	v_subrev_nc_u32_e32 v4, 28, v3
	v_sub_nc_u32_e32 v3, 29, v3
	v_lshlrev_b32_sdwa v4, v4, v12 dst_sel:DWORD dst_unused:UNUSED_PAD src0_sel:DWORD src1_sel:WORD_1
	v_cndmask_b32_e32 v3, v5, v3, vcc_lo
	v_and_b32_e32 v4, 7, v4
	v_lshl_add_u32 v3, v3, 23, 0x3b800000
	v_cndmask_b32_e32 v2, v2, v4, vcc_lo
	v_and_b32_e32 v4, 0x80000000, v6
	v_lshlrev_b32_e32 v2, 20, v2
	v_or3_b32 v2, v4, v3, v2
.LBB6_284:                              ;   in Loop: Header=BB6_130 Depth=2
	s_or_b32 exec_lo, exec_lo, s41
	v_mul_f32_e32 v2, s40, v2
	v_mov_b32_e32 v26, 0x80
	s_mov_b32 s41, exec_lo
	v_and_b32_e32 v3, 0x7f800000, v2
	v_cmpx_ne_u32_e32 0x7f800000, v3
	s_cbranch_execz .LBB6_292
; %bb.285:                              ;   in Loop: Header=BB6_130 Depth=2
	v_mov_b32_e32 v26, 0
	s_mov_b32 s42, exec_lo
	v_cmpx_ne_u32_e32 0, v2
	s_cbranch_execz .LBB6_291
; %bb.286:                              ;   in Loop: Header=BB6_130 Depth=2
	v_bfe_u32 v3, v2, 23, 8
	v_and_b32_e32 v4, 0x7fffff, v2
	v_sub_nc_u32_e32 v5, 0x78, v3
	v_cmp_gt_u32_e32 vcc_lo, 0x79, v3
	v_or_b32_e32 v6, 0x800000, v4
	v_cndmask_b32_e32 v5, 0, v5, vcc_lo
	v_cmp_eq_u32_e32 vcc_lo, 0, v3
	v_add_nc_u32_e32 v3, 0xffffff89, v3
	v_cndmask_b32_e64 v5, v5, 0x77, vcc_lo
	v_cndmask_b32_e32 v4, v6, v4, vcc_lo
	v_cndmask_b32_e64 v3, v3, 0xffffff8a, vcc_lo
	v_lshl_add_u32 v6, 0x100000, v5, -1
	v_lshrrev_b32_e32 v7, v5, v4
	v_lshlrev_b32_e64 v9, v5, 0x80000
	v_add_nc_u32_e32 v5, v5, v3
	v_and_b32_e32 v4, v6, v4
	v_bfe_u32 v8, v7, 20, 1
	v_cmp_eq_u32_e64 s13, v4, v9
	v_add_nc_u32_e32 v6, -1, v8
	v_cndmask_b32_e64 v4, 0, v6, s13
	v_lshrrev_b32_e32 v6, 23, v7
	s_mov_b32 s13, exec_lo
	v_add_nc_u32_e32 v4, v4, v7
	v_xor_b32_e32 v6, 1, v6
	v_and_b32_e32 v3, 0xfffff, v4
	v_add_nc_u32_e32 v4, v3, v7
                                        ; implicit-def: $vgpr3
	v_cmpx_ne_u32_e64 v5, v6
	s_xor_b32 s13, exec_lo, s13
; %bb.287:                              ;   in Loop: Header=BB6_130 Depth=2
	v_cmp_lt_u32_e32 vcc_lo, 0xffffff, v4
	v_sub_nc_u32_e32 v3, v5, v6
	v_cndmask_b32_e64 v5, 0, 1, vcc_lo
	v_add_co_ci_u32_e64 v3, null, 0, v3, vcc_lo
	v_lshrrev_b32_e32 v4, v5, v4
; %bb.288:                              ;   in Loop: Header=BB6_130 Depth=2
	s_andn2_saveexec_b32 s13, s13
; %bb.289:                              ;   in Loop: Header=BB6_130 Depth=2
	v_bfe_u32 v3, v4, 23, 1
; %bb.290:                              ;   in Loop: Header=BB6_130 Depth=2
	s_or_b32 exec_lo, exec_lo, s13
	v_lshrrev_b32_e32 v4, 20, v4
	v_min_i32_e32 v5, 15, v3
	v_cmp_gt_i32_e32 vcc_lo, 16, v3
	v_and_b32_sdwa v2, v2, v114 dst_sel:DWORD dst_unused:UNUSED_PAD src0_sel:BYTE_3 src1_sel:DWORD
	v_lshlrev_b32_e32 v5, 3, v5
	v_cndmask_b32_e32 v4, 7, v4, vcc_lo
	v_and_b32_e32 v5, 0xf8, v5
	v_and_b32_e32 v6, 7, v4
	v_or_b32_e32 v3, v3, v4
	v_or3_b32 v2, v5, v2, v6
	v_cmp_ne_u32_e32 vcc_lo, 0, v3
	v_cndmask_b32_e32 v26, 0, v2, vcc_lo
.LBB6_291:                              ;   in Loop: Header=BB6_130 Depth=2
	s_or_b32 exec_lo, exec_lo, s42
.LBB6_292:                              ;   in Loop: Header=BB6_130 Depth=2
	s_or_b32 exec_lo, exec_lo, s41
	v_cmp_gt_i16_sdwa s41, v12, v113 src0_sel:BYTE_3 src1_sel:DWORD
	s_mov_b32 s13, 0
	s_and_saveexec_b32 s42, s41
	s_xor_b32 s41, exec_lo, s42
	s_cbranch_execz .LBB6_2334
; %bb.293:                              ;   in Loop: Header=BB6_130 Depth=2
	v_cmp_eq_u16_sdwa s43, v12, v114 src0_sel:BYTE_3 src1_sel:DWORD
	s_mov_b32 s13, -1
	s_and_saveexec_b32 s42, s43
; %bb.294:                              ;   in Loop: Header=BB6_130 Depth=2
	s_xor_b32 s13, exec_lo, -1
; %bb.295:                              ;   in Loop: Header=BB6_130 Depth=2
	s_or_b32 exec_lo, exec_lo, s42
	s_and_b32 s13, s13, exec_lo
	s_or_saveexec_b32 s41, s41
	v_mov_b32_e32 v2, 0x7f800001
	s_xor_b32 exec_lo, exec_lo, s41
	s_cbranch_execnz .LBB6_2335
.LBB6_296:                              ;   in Loop: Header=BB6_130 Depth=2
	s_or_b32 exec_lo, exec_lo, s41
	s_and_saveexec_b32 s41, s13
	s_cbranch_execz .LBB6_298
.LBB6_297:                              ;   in Loop: Header=BB6_130 Depth=2
	v_bfe_u32 v2, v12, 24, 3
	v_bfe_u32 v5, v12, 27, 4
	v_ffbh_u32_e32 v3, v2
	v_cmp_eq_u32_e32 vcc_lo, 0, v5
	v_min_u32_e32 v3, 32, v3
	v_subrev_nc_u32_e32 v4, 28, v3
	v_sub_nc_u32_e32 v3, 29, v3
	v_lshlrev_b32_sdwa v4, v4, v12 dst_sel:DWORD dst_unused:UNUSED_PAD src0_sel:DWORD src1_sel:BYTE_3
	v_cndmask_b32_e32 v3, v5, v3, vcc_lo
	v_and_b32_e32 v4, 7, v4
	v_lshl_add_u32 v3, v3, 23, 0x3b800000
	v_cndmask_b32_e32 v2, v2, v4, vcc_lo
	v_and_b32_e32 v4, 0x80000000, v12
	v_lshlrev_b32_e32 v2, 20, v2
	v_or3_b32 v2, v4, v3, v2
.LBB6_298:                              ;   in Loop: Header=BB6_130 Depth=2
	s_or_b32 exec_lo, exec_lo, s41
	v_mul_f32_e32 v2, s40, v2
	v_mov_b32_e32 v27, 0x8000
	s_mov_b32 s41, exec_lo
	v_and_b32_e32 v3, 0x7f800000, v2
	v_cmpx_ne_u32_e32 0x7f800000, v3
	s_cbranch_execz .LBB6_306
; %bb.299:                              ;   in Loop: Header=BB6_130 Depth=2
	v_mov_b32_e32 v27, 0
	s_mov_b32 s42, exec_lo
	v_cmpx_ne_u32_e32 0, v2
	s_cbranch_execz .LBB6_305
; %bb.300:                              ;   in Loop: Header=BB6_130 Depth=2
	v_bfe_u32 v3, v2, 23, 8
	v_and_b32_e32 v4, 0x7fffff, v2
	v_sub_nc_u32_e32 v5, 0x78, v3
	v_cmp_gt_u32_e32 vcc_lo, 0x79, v3
	v_or_b32_e32 v6, 0x800000, v4
	v_cndmask_b32_e32 v5, 0, v5, vcc_lo
	v_cmp_eq_u32_e32 vcc_lo, 0, v3
	v_add_nc_u32_e32 v3, 0xffffff89, v3
	v_cndmask_b32_e64 v5, v5, 0x77, vcc_lo
	v_cndmask_b32_e32 v4, v6, v4, vcc_lo
	v_cndmask_b32_e64 v3, v3, 0xffffff8a, vcc_lo
	v_lshl_add_u32 v6, 0x100000, v5, -1
	v_lshrrev_b32_e32 v7, v5, v4
	v_lshlrev_b32_e64 v9, v5, 0x80000
	v_add_nc_u32_e32 v5, v5, v3
	v_and_b32_e32 v4, v6, v4
	v_bfe_u32 v8, v7, 20, 1
	v_cmp_eq_u32_e64 s13, v4, v9
	v_add_nc_u32_e32 v6, -1, v8
	v_cndmask_b32_e64 v4, 0, v6, s13
	v_lshrrev_b32_e32 v6, 23, v7
	s_mov_b32 s13, exec_lo
	v_add_nc_u32_e32 v4, v4, v7
	v_xor_b32_e32 v6, 1, v6
	v_and_b32_e32 v3, 0xfffff, v4
	v_add_nc_u32_e32 v4, v3, v7
                                        ; implicit-def: $vgpr3
	v_cmpx_ne_u32_e64 v5, v6
	s_xor_b32 s13, exec_lo, s13
; %bb.301:                              ;   in Loop: Header=BB6_130 Depth=2
	v_cmp_lt_u32_e32 vcc_lo, 0xffffff, v4
	v_sub_nc_u32_e32 v3, v5, v6
	v_cndmask_b32_e64 v5, 0, 1, vcc_lo
	v_add_co_ci_u32_e64 v3, null, 0, v3, vcc_lo
	v_lshrrev_b32_e32 v4, v5, v4
; %bb.302:                              ;   in Loop: Header=BB6_130 Depth=2
	s_andn2_saveexec_b32 s13, s13
; %bb.303:                              ;   in Loop: Header=BB6_130 Depth=2
	v_bfe_u32 v3, v4, 23, 1
; %bb.304:                              ;   in Loop: Header=BB6_130 Depth=2
	s_or_b32 exec_lo, exec_lo, s13
	v_lshrrev_b32_e32 v4, 20, v4
	v_min_i32_e32 v5, 15, v3
	v_cmp_gt_i32_e32 vcc_lo, 16, v3
	v_and_b32_sdwa v2, v2, v114 dst_sel:DWORD dst_unused:UNUSED_PAD src0_sel:BYTE_3 src1_sel:DWORD
	v_lshlrev_b32_e32 v5, 3, v5
	v_cndmask_b32_e32 v4, 7, v4, vcc_lo
	v_and_b32_e32 v5, 0xf8, v5
	v_and_b32_e32 v6, 7, v4
	v_or_b32_e32 v3, v3, v4
	v_or3_b32 v2, v2, v5, v6
	v_cmp_ne_u32_e32 vcc_lo, 0, v3
	v_lshlrev_b32_e32 v2, 8, v2
	v_cndmask_b32_e32 v27, 0, v2, vcc_lo
.LBB6_305:                              ;   in Loop: Header=BB6_130 Depth=2
	s_or_b32 exec_lo, exec_lo, s42
.LBB6_306:                              ;   in Loop: Header=BB6_130 Depth=2
	s_or_b32 exec_lo, exec_lo, s41
	v_cmp_gt_i16_sdwa s41, v13, v113 src0_sel:BYTE_0 src1_sel:DWORD
	s_mov_b32 s13, 0
	s_and_saveexec_b32 s42, s41
	s_xor_b32 s41, exec_lo, s42
	s_cbranch_execz .LBB6_2336
; %bb.307:                              ;   in Loop: Header=BB6_130 Depth=2
	v_cmp_eq_u16_sdwa s43, v13, v114 src0_sel:BYTE_0 src1_sel:DWORD
	s_mov_b32 s13, -1
	s_and_saveexec_b32 s42, s43
; %bb.308:                              ;   in Loop: Header=BB6_130 Depth=2
	s_xor_b32 s13, exec_lo, -1
; %bb.309:                              ;   in Loop: Header=BB6_130 Depth=2
	s_or_b32 exec_lo, exec_lo, s42
	s_and_b32 s13, s13, exec_lo
	s_or_saveexec_b32 s41, s41
	v_mov_b32_e32 v2, 0x7f800001
	s_xor_b32 exec_lo, exec_lo, s41
	s_cbranch_execnz .LBB6_2337
.LBB6_310:                              ;   in Loop: Header=BB6_130 Depth=2
	s_or_b32 exec_lo, exec_lo, s41
	s_and_saveexec_b32 s41, s13
	s_cbranch_execz .LBB6_312
.LBB6_311:                              ;   in Loop: Header=BB6_130 Depth=2
	v_and_b32_e32 v2, 7, v13
	v_bfe_u32 v5, v13, 3, 4
	v_lshlrev_b32_e32 v6, 24, v13
	v_ffbh_u32_e32 v3, v2
	v_cmp_eq_u32_e32 vcc_lo, 0, v5
	v_min_u32_e32 v3, 32, v3
	v_subrev_nc_u32_e32 v4, 28, v3
	v_sub_nc_u32_e32 v3, 29, v3
	v_lshlrev_b32_e32 v4, v4, v13
	v_cndmask_b32_e32 v3, v5, v3, vcc_lo
	v_and_b32_e32 v4, 7, v4
	v_lshl_add_u32 v3, v3, 23, 0x3b800000
	v_cndmask_b32_e32 v2, v2, v4, vcc_lo
	v_and_b32_e32 v4, 0x80000000, v6
	v_lshlrev_b32_e32 v2, 20, v2
	v_or3_b32 v2, v4, v3, v2
.LBB6_312:                              ;   in Loop: Header=BB6_130 Depth=2
	s_or_b32 exec_lo, exec_lo, s41
	v_mul_f32_e32 v2, s40, v2
	v_mov_b32_e32 v51, 0x80
	s_mov_b32 s41, exec_lo
	v_and_b32_e32 v3, 0x7f800000, v2
	v_cmpx_ne_u32_e32 0x7f800000, v3
	s_cbranch_execz .LBB6_320
; %bb.313:                              ;   in Loop: Header=BB6_130 Depth=2
	v_mov_b32_e32 v51, 0
	s_mov_b32 s42, exec_lo
	v_cmpx_ne_u32_e32 0, v2
	s_cbranch_execz .LBB6_319
; %bb.314:                              ;   in Loop: Header=BB6_130 Depth=2
	v_bfe_u32 v3, v2, 23, 8
	v_and_b32_e32 v4, 0x7fffff, v2
	v_sub_nc_u32_e32 v5, 0x78, v3
	v_cmp_gt_u32_e32 vcc_lo, 0x79, v3
	v_or_b32_e32 v6, 0x800000, v4
	v_cndmask_b32_e32 v5, 0, v5, vcc_lo
	v_cmp_eq_u32_e32 vcc_lo, 0, v3
	v_add_nc_u32_e32 v3, 0xffffff89, v3
	v_cndmask_b32_e64 v5, v5, 0x77, vcc_lo
	v_cndmask_b32_e32 v4, v6, v4, vcc_lo
	v_cndmask_b32_e64 v3, v3, 0xffffff8a, vcc_lo
	v_lshl_add_u32 v6, 0x100000, v5, -1
	v_lshrrev_b32_e32 v7, v5, v4
	v_lshlrev_b32_e64 v9, v5, 0x80000
	v_add_nc_u32_e32 v5, v5, v3
	v_and_b32_e32 v4, v6, v4
	v_bfe_u32 v8, v7, 20, 1
	v_cmp_eq_u32_e64 s13, v4, v9
	v_add_nc_u32_e32 v6, -1, v8
	v_cndmask_b32_e64 v4, 0, v6, s13
	v_lshrrev_b32_e32 v6, 23, v7
	s_mov_b32 s13, exec_lo
	v_add_nc_u32_e32 v4, v4, v7
	v_xor_b32_e32 v6, 1, v6
	v_and_b32_e32 v3, 0xfffff, v4
	v_add_nc_u32_e32 v4, v3, v7
                                        ; implicit-def: $vgpr3
	v_cmpx_ne_u32_e64 v5, v6
	s_xor_b32 s13, exec_lo, s13
; %bb.315:                              ;   in Loop: Header=BB6_130 Depth=2
	v_cmp_lt_u32_e32 vcc_lo, 0xffffff, v4
	v_sub_nc_u32_e32 v3, v5, v6
	v_cndmask_b32_e64 v5, 0, 1, vcc_lo
	v_add_co_ci_u32_e64 v3, null, 0, v3, vcc_lo
	v_lshrrev_b32_e32 v4, v5, v4
; %bb.316:                              ;   in Loop: Header=BB6_130 Depth=2
	s_andn2_saveexec_b32 s13, s13
; %bb.317:                              ;   in Loop: Header=BB6_130 Depth=2
	v_bfe_u32 v3, v4, 23, 1
; %bb.318:                              ;   in Loop: Header=BB6_130 Depth=2
	s_or_b32 exec_lo, exec_lo, s13
	v_lshrrev_b32_e32 v4, 20, v4
	v_min_i32_e32 v5, 15, v3
	v_cmp_gt_i32_e32 vcc_lo, 16, v3
	v_and_b32_sdwa v2, v2, v114 dst_sel:DWORD dst_unused:UNUSED_PAD src0_sel:BYTE_3 src1_sel:DWORD
	v_lshlrev_b32_e32 v5, 3, v5
	v_cndmask_b32_e32 v4, 7, v4, vcc_lo
	v_and_b32_e32 v5, 0xf8, v5
	v_and_b32_e32 v6, 7, v4
	v_or_b32_e32 v3, v3, v4
	v_or3_b32 v2, v5, v2, v6
	v_cmp_ne_u32_e32 vcc_lo, 0, v3
	v_cndmask_b32_e32 v51, 0, v2, vcc_lo
.LBB6_319:                              ;   in Loop: Header=BB6_130 Depth=2
	s_or_b32 exec_lo, exec_lo, s42
.LBB6_320:                              ;   in Loop: Header=BB6_130 Depth=2
	s_or_b32 exec_lo, exec_lo, s41
	v_cmp_gt_i16_sdwa s41, v13, v113 src0_sel:BYTE_1 src1_sel:DWORD
	s_mov_b32 s13, 0
	s_and_saveexec_b32 s42, s41
	s_xor_b32 s41, exec_lo, s42
	s_cbranch_execz .LBB6_2338
; %bb.321:                              ;   in Loop: Header=BB6_130 Depth=2
	v_cmp_eq_u16_sdwa s43, v13, v114 src0_sel:BYTE_1 src1_sel:DWORD
	s_mov_b32 s13, -1
	s_and_saveexec_b32 s42, s43
; %bb.322:                              ;   in Loop: Header=BB6_130 Depth=2
	s_xor_b32 s13, exec_lo, -1
; %bb.323:                              ;   in Loop: Header=BB6_130 Depth=2
	s_or_b32 exec_lo, exec_lo, s42
	s_and_b32 s13, s13, exec_lo
	s_or_saveexec_b32 s41, s41
	v_mov_b32_e32 v2, 0x7f800001
	s_xor_b32 exec_lo, exec_lo, s41
	s_cbranch_execnz .LBB6_2339
.LBB6_324:                              ;   in Loop: Header=BB6_130 Depth=2
	s_or_b32 exec_lo, exec_lo, s41
	s_and_saveexec_b32 s41, s13
	s_cbranch_execz .LBB6_326
.LBB6_325:                              ;   in Loop: Header=BB6_130 Depth=2
	v_and_b32_sdwa v2, v115, v13 dst_sel:DWORD dst_unused:UNUSED_PAD src0_sel:DWORD src1_sel:BYTE_1
	v_and_b32_e32 v3, 7, v2
	v_bfe_u32 v6, v2, 3, 4
	v_ffbh_u32_e32 v4, v3
	v_cmp_eq_u32_e32 vcc_lo, 0, v6
	v_min_u32_e32 v4, 32, v4
	v_subrev_nc_u32_e32 v5, 28, v4
	v_sub_nc_u32_e32 v4, 29, v4
	v_lshlrev_b32_e32 v2, v5, v2
	v_lshlrev_b32_sdwa v5, v116, v13 dst_sel:DWORD dst_unused:UNUSED_PAD src0_sel:DWORD src1_sel:BYTE_1
	v_cndmask_b32_e32 v4, v6, v4, vcc_lo
	v_and_b32_e32 v2, 7, v2
	v_lshl_add_u32 v4, v4, 23, 0x3b800000
	v_cndmask_b32_e32 v2, v3, v2, vcc_lo
	v_and_b32_e32 v3, 0x80000000, v5
	v_lshlrev_b32_e32 v2, 20, v2
	v_or3_b32 v2, v3, v4, v2
.LBB6_326:                              ;   in Loop: Header=BB6_130 Depth=2
	s_or_b32 exec_lo, exec_lo, s41
	v_mul_f32_e32 v2, s40, v2
	v_mov_b32_e32 v110, 0x8000
	s_mov_b32 s41, exec_lo
	v_and_b32_e32 v3, 0x7f800000, v2
	v_cmpx_ne_u32_e32 0x7f800000, v3
	s_cbranch_execz .LBB6_334
; %bb.327:                              ;   in Loop: Header=BB6_130 Depth=2
	v_mov_b32_e32 v110, 0
	s_mov_b32 s42, exec_lo
	v_cmpx_ne_u32_e32 0, v2
	s_cbranch_execz .LBB6_333
; %bb.328:                              ;   in Loop: Header=BB6_130 Depth=2
	v_bfe_u32 v3, v2, 23, 8
	v_and_b32_e32 v4, 0x7fffff, v2
	v_sub_nc_u32_e32 v5, 0x78, v3
	v_cmp_gt_u32_e32 vcc_lo, 0x79, v3
	v_or_b32_e32 v6, 0x800000, v4
	v_cndmask_b32_e32 v5, 0, v5, vcc_lo
	v_cmp_eq_u32_e32 vcc_lo, 0, v3
	v_add_nc_u32_e32 v3, 0xffffff89, v3
	v_cndmask_b32_e64 v5, v5, 0x77, vcc_lo
	v_cndmask_b32_e32 v4, v6, v4, vcc_lo
	v_cndmask_b32_e64 v3, v3, 0xffffff8a, vcc_lo
	v_lshl_add_u32 v6, 0x100000, v5, -1
	v_lshrrev_b32_e32 v7, v5, v4
	v_lshlrev_b32_e64 v9, v5, 0x80000
	v_add_nc_u32_e32 v5, v5, v3
	v_and_b32_e32 v4, v6, v4
	v_bfe_u32 v8, v7, 20, 1
	v_cmp_eq_u32_e64 s13, v4, v9
	v_add_nc_u32_e32 v6, -1, v8
	v_cndmask_b32_e64 v4, 0, v6, s13
	v_lshrrev_b32_e32 v6, 23, v7
	s_mov_b32 s13, exec_lo
	v_add_nc_u32_e32 v4, v4, v7
	v_xor_b32_e32 v6, 1, v6
	v_and_b32_e32 v3, 0xfffff, v4
	v_add_nc_u32_e32 v4, v3, v7
                                        ; implicit-def: $vgpr3
	v_cmpx_ne_u32_e64 v5, v6
	s_xor_b32 s13, exec_lo, s13
; %bb.329:                              ;   in Loop: Header=BB6_130 Depth=2
	v_cmp_lt_u32_e32 vcc_lo, 0xffffff, v4
	v_sub_nc_u32_e32 v3, v5, v6
	v_cndmask_b32_e64 v5, 0, 1, vcc_lo
	v_add_co_ci_u32_e64 v3, null, 0, v3, vcc_lo
	v_lshrrev_b32_e32 v4, v5, v4
; %bb.330:                              ;   in Loop: Header=BB6_130 Depth=2
	s_andn2_saveexec_b32 s13, s13
; %bb.331:                              ;   in Loop: Header=BB6_130 Depth=2
	v_bfe_u32 v3, v4, 23, 1
; %bb.332:                              ;   in Loop: Header=BB6_130 Depth=2
	s_or_b32 exec_lo, exec_lo, s13
	v_lshrrev_b32_e32 v4, 20, v4
	v_min_i32_e32 v5, 15, v3
	v_cmp_gt_i32_e32 vcc_lo, 16, v3
	v_and_b32_sdwa v2, v2, v114 dst_sel:DWORD dst_unused:UNUSED_PAD src0_sel:BYTE_3 src1_sel:DWORD
	v_lshlrev_b32_e32 v5, 3, v5
	v_cndmask_b32_e32 v4, 7, v4, vcc_lo
	v_and_b32_e32 v5, 0xf8, v5
	v_and_b32_e32 v6, 7, v4
	v_or_b32_e32 v3, v3, v4
	v_or3_b32 v2, v2, v5, v6
	v_cmp_ne_u32_e32 vcc_lo, 0, v3
	v_lshlrev_b32_e32 v2, 8, v2
	v_cndmask_b32_e32 v110, 0, v2, vcc_lo
.LBB6_333:                              ;   in Loop: Header=BB6_130 Depth=2
	s_or_b32 exec_lo, exec_lo, s42
.LBB6_334:                              ;   in Loop: Header=BB6_130 Depth=2
	s_or_b32 exec_lo, exec_lo, s41
	v_and_b32_sdwa v3, v13, v117 dst_sel:DWORD dst_unused:UNUSED_PAD src0_sel:WORD_1 src1_sel:DWORD
	s_mov_b32 s13, 0
	s_mov_b32 s41, exec_lo
	v_cmpx_lt_i16_e32 0x7f, v3
	s_xor_b32 s41, exec_lo, s41
	s_cbranch_execz .LBB6_2340
; %bb.335:                              ;   in Loop: Header=BB6_130 Depth=2
	s_mov_b32 s13, -1
	s_mov_b32 s42, exec_lo
	v_cmpx_eq_u16_e32 0x80, v3
; %bb.336:                              ;   in Loop: Header=BB6_130 Depth=2
	s_xor_b32 s13, exec_lo, -1
; %bb.337:                              ;   in Loop: Header=BB6_130 Depth=2
	s_or_b32 exec_lo, exec_lo, s42
	s_and_b32 s13, s13, exec_lo
                                        ; implicit-def: $vgpr3
	s_or_saveexec_b32 s41, s41
	v_mov_b32_e32 v2, 0x7f800001
	s_xor_b32 exec_lo, exec_lo, s41
	s_cbranch_execnz .LBB6_2341
.LBB6_338:                              ;   in Loop: Header=BB6_130 Depth=2
	s_or_b32 exec_lo, exec_lo, s41
	s_and_saveexec_b32 s41, s13
	s_cbranch_execz .LBB6_340
.LBB6_339:                              ;   in Loop: Header=BB6_130 Depth=2
	v_bfe_u32 v2, v13, 16, 3
	v_bfe_u32 v5, v13, 19, 4
	v_lshlrev_b32_e32 v6, 8, v13
	v_ffbh_u32_e32 v3, v2
	v_cmp_eq_u32_e32 vcc_lo, 0, v5
	v_min_u32_e32 v3, 32, v3
	v_subrev_nc_u32_e32 v4, 28, v3
	v_sub_nc_u32_e32 v3, 29, v3
	v_lshlrev_b32_sdwa v4, v4, v13 dst_sel:DWORD dst_unused:UNUSED_PAD src0_sel:DWORD src1_sel:WORD_1
	v_cndmask_b32_e32 v3, v5, v3, vcc_lo
	v_and_b32_e32 v4, 7, v4
	v_lshl_add_u32 v3, v3, 23, 0x3b800000
	v_cndmask_b32_e32 v2, v2, v4, vcc_lo
	v_and_b32_e32 v4, 0x80000000, v6
	v_lshlrev_b32_e32 v2, 20, v2
	v_or3_b32 v2, v4, v3, v2
.LBB6_340:                              ;   in Loop: Header=BB6_130 Depth=2
	s_or_b32 exec_lo, exec_lo, s41
	v_mul_f32_e32 v2, s40, v2
	v_mov_b32_e32 v124, 0x80
	s_mov_b32 s41, exec_lo
	v_and_b32_e32 v3, 0x7f800000, v2
	v_cmpx_ne_u32_e32 0x7f800000, v3
	s_cbranch_execz .LBB6_348
; %bb.341:                              ;   in Loop: Header=BB6_130 Depth=2
	v_mov_b32_e32 v124, 0
	s_mov_b32 s42, exec_lo
	v_cmpx_ne_u32_e32 0, v2
	s_cbranch_execz .LBB6_347
; %bb.342:                              ;   in Loop: Header=BB6_130 Depth=2
	v_bfe_u32 v3, v2, 23, 8
	v_and_b32_e32 v4, 0x7fffff, v2
	v_sub_nc_u32_e32 v5, 0x78, v3
	v_cmp_gt_u32_e32 vcc_lo, 0x79, v3
	v_or_b32_e32 v6, 0x800000, v4
	v_cndmask_b32_e32 v5, 0, v5, vcc_lo
	v_cmp_eq_u32_e32 vcc_lo, 0, v3
	v_add_nc_u32_e32 v3, 0xffffff89, v3
	v_cndmask_b32_e64 v5, v5, 0x77, vcc_lo
	v_cndmask_b32_e32 v4, v6, v4, vcc_lo
	v_cndmask_b32_e64 v3, v3, 0xffffff8a, vcc_lo
	v_lshl_add_u32 v6, 0x100000, v5, -1
	v_lshrrev_b32_e32 v7, v5, v4
	v_lshlrev_b32_e64 v9, v5, 0x80000
	v_add_nc_u32_e32 v5, v5, v3
	v_and_b32_e32 v4, v6, v4
	v_bfe_u32 v8, v7, 20, 1
	v_cmp_eq_u32_e64 s13, v4, v9
	v_add_nc_u32_e32 v6, -1, v8
	v_cndmask_b32_e64 v4, 0, v6, s13
	v_lshrrev_b32_e32 v6, 23, v7
	s_mov_b32 s13, exec_lo
	v_add_nc_u32_e32 v4, v4, v7
	v_xor_b32_e32 v6, 1, v6
	v_and_b32_e32 v3, 0xfffff, v4
	v_add_nc_u32_e32 v4, v3, v7
                                        ; implicit-def: $vgpr3
	v_cmpx_ne_u32_e64 v5, v6
	s_xor_b32 s13, exec_lo, s13
; %bb.343:                              ;   in Loop: Header=BB6_130 Depth=2
	v_cmp_lt_u32_e32 vcc_lo, 0xffffff, v4
	v_sub_nc_u32_e32 v3, v5, v6
	v_cndmask_b32_e64 v5, 0, 1, vcc_lo
	v_add_co_ci_u32_e64 v3, null, 0, v3, vcc_lo
	v_lshrrev_b32_e32 v4, v5, v4
; %bb.344:                              ;   in Loop: Header=BB6_130 Depth=2
	s_andn2_saveexec_b32 s13, s13
; %bb.345:                              ;   in Loop: Header=BB6_130 Depth=2
	v_bfe_u32 v3, v4, 23, 1
; %bb.346:                              ;   in Loop: Header=BB6_130 Depth=2
	s_or_b32 exec_lo, exec_lo, s13
	v_lshrrev_b32_e32 v4, 20, v4
	v_min_i32_e32 v5, 15, v3
	v_cmp_gt_i32_e32 vcc_lo, 16, v3
	v_and_b32_sdwa v2, v2, v114 dst_sel:DWORD dst_unused:UNUSED_PAD src0_sel:BYTE_3 src1_sel:DWORD
	v_lshlrev_b32_e32 v5, 3, v5
	v_cndmask_b32_e32 v4, 7, v4, vcc_lo
	v_and_b32_e32 v5, 0xf8, v5
	v_and_b32_e32 v6, 7, v4
	v_or_b32_e32 v3, v3, v4
	v_or3_b32 v2, v5, v2, v6
	v_cmp_ne_u32_e32 vcc_lo, 0, v3
	v_cndmask_b32_e32 v124, 0, v2, vcc_lo
.LBB6_347:                              ;   in Loop: Header=BB6_130 Depth=2
	s_or_b32 exec_lo, exec_lo, s42
.LBB6_348:                              ;   in Loop: Header=BB6_130 Depth=2
	s_or_b32 exec_lo, exec_lo, s41
	v_cmp_gt_i16_sdwa s41, v13, v113 src0_sel:BYTE_3 src1_sel:DWORD
	s_mov_b32 s13, 0
	s_and_saveexec_b32 s42, s41
	s_xor_b32 s41, exec_lo, s42
	s_cbranch_execz .LBB6_2342
; %bb.349:                              ;   in Loop: Header=BB6_130 Depth=2
	v_cmp_eq_u16_sdwa s43, v13, v114 src0_sel:BYTE_3 src1_sel:DWORD
	s_mov_b32 s13, -1
	s_and_saveexec_b32 s42, s43
; %bb.350:                              ;   in Loop: Header=BB6_130 Depth=2
	s_xor_b32 s13, exec_lo, -1
; %bb.351:                              ;   in Loop: Header=BB6_130 Depth=2
	s_or_b32 exec_lo, exec_lo, s42
	s_and_b32 s13, s13, exec_lo
	s_or_saveexec_b32 s41, s41
	v_mov_b32_e32 v2, 0x7f800001
	s_xor_b32 exec_lo, exec_lo, s41
	s_cbranch_execnz .LBB6_2343
.LBB6_352:                              ;   in Loop: Header=BB6_130 Depth=2
	s_or_b32 exec_lo, exec_lo, s41
	s_and_saveexec_b32 s41, s13
	s_cbranch_execz .LBB6_354
.LBB6_353:                              ;   in Loop: Header=BB6_130 Depth=2
	v_bfe_u32 v2, v13, 24, 3
	v_bfe_u32 v5, v13, 27, 4
	v_ffbh_u32_e32 v3, v2
	v_cmp_eq_u32_e32 vcc_lo, 0, v5
	v_min_u32_e32 v3, 32, v3
	v_subrev_nc_u32_e32 v4, 28, v3
	v_sub_nc_u32_e32 v3, 29, v3
	v_lshlrev_b32_sdwa v4, v4, v13 dst_sel:DWORD dst_unused:UNUSED_PAD src0_sel:DWORD src1_sel:BYTE_3
	v_cndmask_b32_e32 v3, v5, v3, vcc_lo
	v_and_b32_e32 v4, 7, v4
	v_lshl_add_u32 v3, v3, 23, 0x3b800000
	v_cndmask_b32_e32 v2, v2, v4, vcc_lo
	v_and_b32_e32 v4, 0x80000000, v13
	v_lshlrev_b32_e32 v2, 20, v2
	v_or3_b32 v2, v4, v3, v2
.LBB6_354:                              ;   in Loop: Header=BB6_130 Depth=2
	s_or_b32 exec_lo, exec_lo, s41
	v_mul_f32_e32 v2, s40, v2
	v_mov_b32_e32 v50, 0x8000
	s_mov_b32 s41, exec_lo
	v_and_b32_e32 v3, 0x7f800000, v2
	v_cmpx_ne_u32_e32 0x7f800000, v3
	s_cbranch_execz .LBB6_362
; %bb.355:                              ;   in Loop: Header=BB6_130 Depth=2
	v_mov_b32_e32 v50, 0
	s_mov_b32 s42, exec_lo
	v_cmpx_ne_u32_e32 0, v2
	s_cbranch_execz .LBB6_361
; %bb.356:                              ;   in Loop: Header=BB6_130 Depth=2
	v_bfe_u32 v3, v2, 23, 8
	v_and_b32_e32 v4, 0x7fffff, v2
	v_sub_nc_u32_e32 v5, 0x78, v3
	v_cmp_gt_u32_e32 vcc_lo, 0x79, v3
	v_or_b32_e32 v6, 0x800000, v4
	v_cndmask_b32_e32 v5, 0, v5, vcc_lo
	v_cmp_eq_u32_e32 vcc_lo, 0, v3
	v_add_nc_u32_e32 v3, 0xffffff89, v3
	v_cndmask_b32_e64 v5, v5, 0x77, vcc_lo
	v_cndmask_b32_e32 v4, v6, v4, vcc_lo
	v_cndmask_b32_e64 v3, v3, 0xffffff8a, vcc_lo
	v_lshl_add_u32 v6, 0x100000, v5, -1
	v_lshrrev_b32_e32 v7, v5, v4
	v_lshlrev_b32_e64 v9, v5, 0x80000
	v_add_nc_u32_e32 v5, v5, v3
	v_and_b32_e32 v4, v6, v4
	v_bfe_u32 v8, v7, 20, 1
	v_cmp_eq_u32_e64 s13, v4, v9
	v_add_nc_u32_e32 v6, -1, v8
	v_cndmask_b32_e64 v4, 0, v6, s13
	v_lshrrev_b32_e32 v6, 23, v7
	s_mov_b32 s13, exec_lo
	v_add_nc_u32_e32 v4, v4, v7
	v_xor_b32_e32 v6, 1, v6
	v_and_b32_e32 v3, 0xfffff, v4
	v_add_nc_u32_e32 v4, v3, v7
                                        ; implicit-def: $vgpr3
	v_cmpx_ne_u32_e64 v5, v6
	s_xor_b32 s13, exec_lo, s13
; %bb.357:                              ;   in Loop: Header=BB6_130 Depth=2
	v_cmp_lt_u32_e32 vcc_lo, 0xffffff, v4
	v_sub_nc_u32_e32 v3, v5, v6
	v_cndmask_b32_e64 v5, 0, 1, vcc_lo
	v_add_co_ci_u32_e64 v3, null, 0, v3, vcc_lo
	v_lshrrev_b32_e32 v4, v5, v4
; %bb.358:                              ;   in Loop: Header=BB6_130 Depth=2
	s_andn2_saveexec_b32 s13, s13
; %bb.359:                              ;   in Loop: Header=BB6_130 Depth=2
	v_bfe_u32 v3, v4, 23, 1
; %bb.360:                              ;   in Loop: Header=BB6_130 Depth=2
	s_or_b32 exec_lo, exec_lo, s13
	v_lshrrev_b32_e32 v4, 20, v4
	v_min_i32_e32 v5, 15, v3
	v_cmp_gt_i32_e32 vcc_lo, 16, v3
	v_and_b32_sdwa v2, v2, v114 dst_sel:DWORD dst_unused:UNUSED_PAD src0_sel:BYTE_3 src1_sel:DWORD
	v_lshlrev_b32_e32 v5, 3, v5
	v_cndmask_b32_e32 v4, 7, v4, vcc_lo
	v_and_b32_e32 v5, 0xf8, v5
	v_and_b32_e32 v6, 7, v4
	v_or_b32_e32 v3, v3, v4
	v_or3_b32 v2, v2, v5, v6
	v_cmp_ne_u32_e32 vcc_lo, 0, v3
	v_lshlrev_b32_e32 v2, 8, v2
	v_cndmask_b32_e32 v50, 0, v2, vcc_lo
.LBB6_361:                              ;   in Loop: Header=BB6_130 Depth=2
	s_or_b32 exec_lo, exec_lo, s42
.LBB6_362:                              ;   in Loop: Header=BB6_130 Depth=2
	s_or_b32 exec_lo, exec_lo, s41
	global_load_dwordx4 v[10:13], v[70:71], off offset:512 slc
	s_mov_b32 s13, 0
	s_waitcnt vmcnt(0)
	v_cmp_gt_i16_sdwa s41, v10, v113 src0_sel:BYTE_0 src1_sel:DWORD
	s_and_saveexec_b32 s42, s41
	s_xor_b32 s41, exec_lo, s42
	s_cbranch_execz .LBB6_2344
; %bb.363:                              ;   in Loop: Header=BB6_130 Depth=2
	v_cmp_eq_u16_sdwa s43, v10, v114 src0_sel:BYTE_0 src1_sel:DWORD
	s_mov_b32 s13, -1
	s_and_saveexec_b32 s42, s43
; %bb.364:                              ;   in Loop: Header=BB6_130 Depth=2
	s_xor_b32 s13, exec_lo, -1
; %bb.365:                              ;   in Loop: Header=BB6_130 Depth=2
	s_or_b32 exec_lo, exec_lo, s42
	s_and_b32 s13, s13, exec_lo
	s_or_saveexec_b32 s41, s41
	v_mov_b32_e32 v2, 0x7f800001
	s_xor_b32 exec_lo, exec_lo, s41
	s_cbranch_execnz .LBB6_2345
.LBB6_366:                              ;   in Loop: Header=BB6_130 Depth=2
	s_or_b32 exec_lo, exec_lo, s41
	s_and_saveexec_b32 s41, s13
	s_cbranch_execz .LBB6_368
.LBB6_367:                              ;   in Loop: Header=BB6_130 Depth=2
	v_and_b32_e32 v2, 7, v10
	v_bfe_u32 v5, v10, 3, 4
	v_lshlrev_b32_e32 v6, 24, v10
	v_ffbh_u32_e32 v3, v2
	v_cmp_eq_u32_e32 vcc_lo, 0, v5
	v_min_u32_e32 v3, 32, v3
	v_subrev_nc_u32_e32 v4, 28, v3
	v_sub_nc_u32_e32 v3, 29, v3
	v_lshlrev_b32_e32 v4, v4, v10
	v_cndmask_b32_e32 v3, v5, v3, vcc_lo
	v_and_b32_e32 v4, 7, v4
	v_lshl_add_u32 v3, v3, 23, 0x3b800000
	v_cndmask_b32_e32 v2, v2, v4, vcc_lo
	v_and_b32_e32 v4, 0x80000000, v6
	v_lshlrev_b32_e32 v2, 20, v2
	v_or3_b32 v2, v4, v3, v2
.LBB6_368:                              ;   in Loop: Header=BB6_130 Depth=2
	s_or_b32 exec_lo, exec_lo, s41
	v_mul_f32_e32 v2, s40, v2
	v_mov_b32_e32 v30, 0x80
	s_mov_b32 s41, exec_lo
	v_and_b32_e32 v3, 0x7f800000, v2
	v_cmpx_ne_u32_e32 0x7f800000, v3
	s_cbranch_execz .LBB6_376
; %bb.369:                              ;   in Loop: Header=BB6_130 Depth=2
	v_mov_b32_e32 v30, 0
	s_mov_b32 s42, exec_lo
	v_cmpx_ne_u32_e32 0, v2
	s_cbranch_execz .LBB6_375
; %bb.370:                              ;   in Loop: Header=BB6_130 Depth=2
	v_bfe_u32 v3, v2, 23, 8
	v_and_b32_e32 v4, 0x7fffff, v2
	v_sub_nc_u32_e32 v5, 0x78, v3
	v_cmp_gt_u32_e32 vcc_lo, 0x79, v3
	v_or_b32_e32 v6, 0x800000, v4
	v_cndmask_b32_e32 v5, 0, v5, vcc_lo
	v_cmp_eq_u32_e32 vcc_lo, 0, v3
	v_add_nc_u32_e32 v3, 0xffffff89, v3
	v_cndmask_b32_e64 v5, v5, 0x77, vcc_lo
	v_cndmask_b32_e32 v4, v6, v4, vcc_lo
	v_cndmask_b32_e64 v3, v3, 0xffffff8a, vcc_lo
	v_lshl_add_u32 v6, 0x100000, v5, -1
	v_lshrrev_b32_e32 v7, v5, v4
	v_lshlrev_b32_e64 v9, v5, 0x80000
	v_add_nc_u32_e32 v5, v5, v3
	v_and_b32_e32 v4, v6, v4
	v_bfe_u32 v8, v7, 20, 1
	v_cmp_eq_u32_e64 s13, v4, v9
	v_add_nc_u32_e32 v6, -1, v8
	v_cndmask_b32_e64 v4, 0, v6, s13
	v_lshrrev_b32_e32 v6, 23, v7
	s_mov_b32 s13, exec_lo
	v_add_nc_u32_e32 v4, v4, v7
	v_xor_b32_e32 v6, 1, v6
	v_and_b32_e32 v3, 0xfffff, v4
	v_add_nc_u32_e32 v4, v3, v7
                                        ; implicit-def: $vgpr3
	v_cmpx_ne_u32_e64 v5, v6
	s_xor_b32 s13, exec_lo, s13
; %bb.371:                              ;   in Loop: Header=BB6_130 Depth=2
	v_cmp_lt_u32_e32 vcc_lo, 0xffffff, v4
	v_sub_nc_u32_e32 v3, v5, v6
	v_cndmask_b32_e64 v5, 0, 1, vcc_lo
	v_add_co_ci_u32_e64 v3, null, 0, v3, vcc_lo
	v_lshrrev_b32_e32 v4, v5, v4
; %bb.372:                              ;   in Loop: Header=BB6_130 Depth=2
	s_andn2_saveexec_b32 s13, s13
; %bb.373:                              ;   in Loop: Header=BB6_130 Depth=2
	v_bfe_u32 v3, v4, 23, 1
; %bb.374:                              ;   in Loop: Header=BB6_130 Depth=2
	s_or_b32 exec_lo, exec_lo, s13
	v_lshrrev_b32_e32 v4, 20, v4
	v_min_i32_e32 v5, 15, v3
	v_cmp_gt_i32_e32 vcc_lo, 16, v3
	v_and_b32_sdwa v2, v2, v114 dst_sel:DWORD dst_unused:UNUSED_PAD src0_sel:BYTE_3 src1_sel:DWORD
	v_lshlrev_b32_e32 v5, 3, v5
	v_cndmask_b32_e32 v4, 7, v4, vcc_lo
	v_and_b32_e32 v5, 0xf8, v5
	v_and_b32_e32 v6, 7, v4
	v_or_b32_e32 v3, v3, v4
	v_or3_b32 v2, v5, v2, v6
	v_cmp_ne_u32_e32 vcc_lo, 0, v3
	v_cndmask_b32_e32 v30, 0, v2, vcc_lo
.LBB6_375:                              ;   in Loop: Header=BB6_130 Depth=2
	s_or_b32 exec_lo, exec_lo, s42
.LBB6_376:                              ;   in Loop: Header=BB6_130 Depth=2
	s_or_b32 exec_lo, exec_lo, s41
	v_cmp_gt_i16_sdwa s41, v10, v113 src0_sel:BYTE_1 src1_sel:DWORD
	s_mov_b32 s13, 0
	s_and_saveexec_b32 s42, s41
	s_xor_b32 s41, exec_lo, s42
	s_cbranch_execz .LBB6_2346
; %bb.377:                              ;   in Loop: Header=BB6_130 Depth=2
	v_cmp_eq_u16_sdwa s43, v10, v114 src0_sel:BYTE_1 src1_sel:DWORD
	s_mov_b32 s13, -1
	s_and_saveexec_b32 s42, s43
; %bb.378:                              ;   in Loop: Header=BB6_130 Depth=2
	s_xor_b32 s13, exec_lo, -1
; %bb.379:                              ;   in Loop: Header=BB6_130 Depth=2
	s_or_b32 exec_lo, exec_lo, s42
	s_and_b32 s13, s13, exec_lo
	s_or_saveexec_b32 s41, s41
	v_mov_b32_e32 v2, 0x7f800001
	s_xor_b32 exec_lo, exec_lo, s41
	s_cbranch_execnz .LBB6_2347
.LBB6_380:                              ;   in Loop: Header=BB6_130 Depth=2
	s_or_b32 exec_lo, exec_lo, s41
	s_and_saveexec_b32 s41, s13
	s_cbranch_execz .LBB6_382
.LBB6_381:                              ;   in Loop: Header=BB6_130 Depth=2
	v_and_b32_sdwa v2, v115, v10 dst_sel:DWORD dst_unused:UNUSED_PAD src0_sel:DWORD src1_sel:BYTE_1
	v_and_b32_e32 v3, 7, v2
	v_bfe_u32 v6, v2, 3, 4
	v_ffbh_u32_e32 v4, v3
	v_cmp_eq_u32_e32 vcc_lo, 0, v6
	v_min_u32_e32 v4, 32, v4
	v_subrev_nc_u32_e32 v5, 28, v4
	v_sub_nc_u32_e32 v4, 29, v4
	v_lshlrev_b32_e32 v2, v5, v2
	v_lshlrev_b32_sdwa v5, v116, v10 dst_sel:DWORD dst_unused:UNUSED_PAD src0_sel:DWORD src1_sel:BYTE_1
	v_cndmask_b32_e32 v4, v6, v4, vcc_lo
	v_and_b32_e32 v2, 7, v2
	v_lshl_add_u32 v4, v4, 23, 0x3b800000
	v_cndmask_b32_e32 v2, v3, v2, vcc_lo
	v_and_b32_e32 v3, 0x80000000, v5
	v_lshlrev_b32_e32 v2, 20, v2
	v_or3_b32 v2, v3, v4, v2
.LBB6_382:                              ;   in Loop: Header=BB6_130 Depth=2
	s_or_b32 exec_lo, exec_lo, s41
	v_mul_f32_e32 v2, s40, v2
	v_mov_b32_e32 v86, 0x8000
	s_mov_b32 s41, exec_lo
	v_and_b32_e32 v3, 0x7f800000, v2
	v_cmpx_ne_u32_e32 0x7f800000, v3
	s_cbranch_execz .LBB6_390
; %bb.383:                              ;   in Loop: Header=BB6_130 Depth=2
	v_mov_b32_e32 v86, 0
	s_mov_b32 s42, exec_lo
	v_cmpx_ne_u32_e32 0, v2
	s_cbranch_execz .LBB6_389
; %bb.384:                              ;   in Loop: Header=BB6_130 Depth=2
	v_bfe_u32 v3, v2, 23, 8
	v_and_b32_e32 v4, 0x7fffff, v2
	v_sub_nc_u32_e32 v5, 0x78, v3
	v_cmp_gt_u32_e32 vcc_lo, 0x79, v3
	v_or_b32_e32 v6, 0x800000, v4
	v_cndmask_b32_e32 v5, 0, v5, vcc_lo
	v_cmp_eq_u32_e32 vcc_lo, 0, v3
	v_add_nc_u32_e32 v3, 0xffffff89, v3
	v_cndmask_b32_e64 v5, v5, 0x77, vcc_lo
	v_cndmask_b32_e32 v4, v6, v4, vcc_lo
	v_cndmask_b32_e64 v3, v3, 0xffffff8a, vcc_lo
	v_lshl_add_u32 v6, 0x100000, v5, -1
	v_lshrrev_b32_e32 v7, v5, v4
	v_lshlrev_b32_e64 v9, v5, 0x80000
	v_add_nc_u32_e32 v5, v5, v3
	v_and_b32_e32 v4, v6, v4
	v_bfe_u32 v8, v7, 20, 1
	v_cmp_eq_u32_e64 s13, v4, v9
	v_add_nc_u32_e32 v6, -1, v8
	v_cndmask_b32_e64 v4, 0, v6, s13
	v_lshrrev_b32_e32 v6, 23, v7
	s_mov_b32 s13, exec_lo
	v_add_nc_u32_e32 v4, v4, v7
	v_xor_b32_e32 v6, 1, v6
	v_and_b32_e32 v3, 0xfffff, v4
	v_add_nc_u32_e32 v4, v3, v7
                                        ; implicit-def: $vgpr3
	v_cmpx_ne_u32_e64 v5, v6
	s_xor_b32 s13, exec_lo, s13
; %bb.385:                              ;   in Loop: Header=BB6_130 Depth=2
	v_cmp_lt_u32_e32 vcc_lo, 0xffffff, v4
	v_sub_nc_u32_e32 v3, v5, v6
	v_cndmask_b32_e64 v5, 0, 1, vcc_lo
	v_add_co_ci_u32_e64 v3, null, 0, v3, vcc_lo
	v_lshrrev_b32_e32 v4, v5, v4
; %bb.386:                              ;   in Loop: Header=BB6_130 Depth=2
	s_andn2_saveexec_b32 s13, s13
; %bb.387:                              ;   in Loop: Header=BB6_130 Depth=2
	v_bfe_u32 v3, v4, 23, 1
; %bb.388:                              ;   in Loop: Header=BB6_130 Depth=2
	s_or_b32 exec_lo, exec_lo, s13
	v_lshrrev_b32_e32 v4, 20, v4
	v_min_i32_e32 v5, 15, v3
	v_cmp_gt_i32_e32 vcc_lo, 16, v3
	v_and_b32_sdwa v2, v2, v114 dst_sel:DWORD dst_unused:UNUSED_PAD src0_sel:BYTE_3 src1_sel:DWORD
	v_lshlrev_b32_e32 v5, 3, v5
	v_cndmask_b32_e32 v4, 7, v4, vcc_lo
	v_and_b32_e32 v5, 0xf8, v5
	v_and_b32_e32 v6, 7, v4
	v_or_b32_e32 v3, v3, v4
	v_or3_b32 v2, v2, v5, v6
	v_cmp_ne_u32_e32 vcc_lo, 0, v3
	v_lshlrev_b32_e32 v2, 8, v2
	v_cndmask_b32_e32 v86, 0, v2, vcc_lo
.LBB6_389:                              ;   in Loop: Header=BB6_130 Depth=2
	s_or_b32 exec_lo, exec_lo, s42
.LBB6_390:                              ;   in Loop: Header=BB6_130 Depth=2
	s_or_b32 exec_lo, exec_lo, s41
	v_and_b32_sdwa v3, v10, v117 dst_sel:DWORD dst_unused:UNUSED_PAD src0_sel:WORD_1 src1_sel:DWORD
	s_mov_b32 s13, 0
	s_mov_b32 s41, exec_lo
	v_cmpx_lt_i16_e32 0x7f, v3
	s_xor_b32 s41, exec_lo, s41
	s_cbranch_execz .LBB6_2348
; %bb.391:                              ;   in Loop: Header=BB6_130 Depth=2
	s_mov_b32 s13, -1
	s_mov_b32 s42, exec_lo
	v_cmpx_eq_u16_e32 0x80, v3
; %bb.392:                              ;   in Loop: Header=BB6_130 Depth=2
	s_xor_b32 s13, exec_lo, -1
; %bb.393:                              ;   in Loop: Header=BB6_130 Depth=2
	s_or_b32 exec_lo, exec_lo, s42
	s_and_b32 s13, s13, exec_lo
                                        ; implicit-def: $vgpr3
	s_or_saveexec_b32 s41, s41
	v_mov_b32_e32 v2, 0x7f800001
	s_xor_b32 exec_lo, exec_lo, s41
	s_cbranch_execnz .LBB6_2349
.LBB6_394:                              ;   in Loop: Header=BB6_130 Depth=2
	s_or_b32 exec_lo, exec_lo, s41
	s_and_saveexec_b32 s41, s13
	s_cbranch_execz .LBB6_396
.LBB6_395:                              ;   in Loop: Header=BB6_130 Depth=2
	v_bfe_u32 v2, v10, 16, 3
	v_bfe_u32 v5, v10, 19, 4
	v_lshlrev_b32_e32 v6, 8, v10
	v_ffbh_u32_e32 v3, v2
	v_cmp_eq_u32_e32 vcc_lo, 0, v5
	v_min_u32_e32 v3, 32, v3
	v_subrev_nc_u32_e32 v4, 28, v3
	v_sub_nc_u32_e32 v3, 29, v3
	v_lshlrev_b32_sdwa v4, v4, v10 dst_sel:DWORD dst_unused:UNUSED_PAD src0_sel:DWORD src1_sel:WORD_1
	v_cndmask_b32_e32 v3, v5, v3, vcc_lo
	v_and_b32_e32 v4, 7, v4
	v_lshl_add_u32 v3, v3, 23, 0x3b800000
	v_cndmask_b32_e32 v2, v2, v4, vcc_lo
	v_and_b32_e32 v4, 0x80000000, v6
	v_lshlrev_b32_e32 v2, 20, v2
	v_or3_b32 v2, v4, v3, v2
.LBB6_396:                              ;   in Loop: Header=BB6_130 Depth=2
	s_or_b32 exec_lo, exec_lo, s41
	v_mul_f32_e32 v2, s40, v2
	v_mov_b32_e32 v31, 0x80
	s_mov_b32 s41, exec_lo
	v_and_b32_e32 v3, 0x7f800000, v2
	v_cmpx_ne_u32_e32 0x7f800000, v3
	s_cbranch_execz .LBB6_404
; %bb.397:                              ;   in Loop: Header=BB6_130 Depth=2
	v_mov_b32_e32 v31, 0
	s_mov_b32 s42, exec_lo
	v_cmpx_ne_u32_e32 0, v2
	s_cbranch_execz .LBB6_403
; %bb.398:                              ;   in Loop: Header=BB6_130 Depth=2
	v_bfe_u32 v3, v2, 23, 8
	v_and_b32_e32 v4, 0x7fffff, v2
	v_sub_nc_u32_e32 v5, 0x78, v3
	v_cmp_gt_u32_e32 vcc_lo, 0x79, v3
	v_or_b32_e32 v6, 0x800000, v4
	v_cndmask_b32_e32 v5, 0, v5, vcc_lo
	v_cmp_eq_u32_e32 vcc_lo, 0, v3
	v_add_nc_u32_e32 v3, 0xffffff89, v3
	v_cndmask_b32_e64 v5, v5, 0x77, vcc_lo
	v_cndmask_b32_e32 v4, v6, v4, vcc_lo
	v_cndmask_b32_e64 v3, v3, 0xffffff8a, vcc_lo
	v_lshl_add_u32 v6, 0x100000, v5, -1
	v_lshrrev_b32_e32 v7, v5, v4
	v_lshlrev_b32_e64 v9, v5, 0x80000
	v_add_nc_u32_e32 v5, v5, v3
	v_and_b32_e32 v4, v6, v4
	v_bfe_u32 v8, v7, 20, 1
	v_cmp_eq_u32_e64 s13, v4, v9
	v_add_nc_u32_e32 v6, -1, v8
	v_cndmask_b32_e64 v4, 0, v6, s13
	v_lshrrev_b32_e32 v6, 23, v7
	s_mov_b32 s13, exec_lo
	v_add_nc_u32_e32 v4, v4, v7
	v_xor_b32_e32 v6, 1, v6
	v_and_b32_e32 v3, 0xfffff, v4
	v_add_nc_u32_e32 v4, v3, v7
                                        ; implicit-def: $vgpr3
	v_cmpx_ne_u32_e64 v5, v6
	s_xor_b32 s13, exec_lo, s13
; %bb.399:                              ;   in Loop: Header=BB6_130 Depth=2
	v_cmp_lt_u32_e32 vcc_lo, 0xffffff, v4
	v_sub_nc_u32_e32 v3, v5, v6
	v_cndmask_b32_e64 v5, 0, 1, vcc_lo
	v_add_co_ci_u32_e64 v3, null, 0, v3, vcc_lo
	v_lshrrev_b32_e32 v4, v5, v4
; %bb.400:                              ;   in Loop: Header=BB6_130 Depth=2
	s_andn2_saveexec_b32 s13, s13
; %bb.401:                              ;   in Loop: Header=BB6_130 Depth=2
	v_bfe_u32 v3, v4, 23, 1
; %bb.402:                              ;   in Loop: Header=BB6_130 Depth=2
	s_or_b32 exec_lo, exec_lo, s13
	v_lshrrev_b32_e32 v4, 20, v4
	v_min_i32_e32 v5, 15, v3
	v_cmp_gt_i32_e32 vcc_lo, 16, v3
	v_and_b32_sdwa v2, v2, v114 dst_sel:DWORD dst_unused:UNUSED_PAD src0_sel:BYTE_3 src1_sel:DWORD
	v_lshlrev_b32_e32 v5, 3, v5
	v_cndmask_b32_e32 v4, 7, v4, vcc_lo
	v_and_b32_e32 v5, 0xf8, v5
	v_and_b32_e32 v6, 7, v4
	v_or_b32_e32 v3, v3, v4
	v_or3_b32 v2, v5, v2, v6
	v_cmp_ne_u32_e32 vcc_lo, 0, v3
	v_cndmask_b32_e32 v31, 0, v2, vcc_lo
.LBB6_403:                              ;   in Loop: Header=BB6_130 Depth=2
	s_or_b32 exec_lo, exec_lo, s42
.LBB6_404:                              ;   in Loop: Header=BB6_130 Depth=2
	s_or_b32 exec_lo, exec_lo, s41
	v_cmp_gt_i16_sdwa s41, v10, v113 src0_sel:BYTE_3 src1_sel:DWORD
	s_mov_b32 s13, 0
	s_and_saveexec_b32 s42, s41
	s_xor_b32 s41, exec_lo, s42
	s_cbranch_execz .LBB6_2350
; %bb.405:                              ;   in Loop: Header=BB6_130 Depth=2
	v_cmp_eq_u16_sdwa s43, v10, v114 src0_sel:BYTE_3 src1_sel:DWORD
	s_mov_b32 s13, -1
	s_and_saveexec_b32 s42, s43
; %bb.406:                              ;   in Loop: Header=BB6_130 Depth=2
	s_xor_b32 s13, exec_lo, -1
; %bb.407:                              ;   in Loop: Header=BB6_130 Depth=2
	s_or_b32 exec_lo, exec_lo, s42
	s_and_b32 s13, s13, exec_lo
	s_or_saveexec_b32 s41, s41
	v_mov_b32_e32 v2, 0x7f800001
	s_xor_b32 exec_lo, exec_lo, s41
	s_cbranch_execnz .LBB6_2351
.LBB6_408:                              ;   in Loop: Header=BB6_130 Depth=2
	s_or_b32 exec_lo, exec_lo, s41
	s_and_saveexec_b32 s41, s13
	s_cbranch_execz .LBB6_410
.LBB6_409:                              ;   in Loop: Header=BB6_130 Depth=2
	v_bfe_u32 v2, v10, 24, 3
	v_bfe_u32 v5, v10, 27, 4
	v_ffbh_u32_e32 v3, v2
	v_cmp_eq_u32_e32 vcc_lo, 0, v5
	v_min_u32_e32 v3, 32, v3
	v_subrev_nc_u32_e32 v4, 28, v3
	v_sub_nc_u32_e32 v3, 29, v3
	v_lshlrev_b32_sdwa v4, v4, v10 dst_sel:DWORD dst_unused:UNUSED_PAD src0_sel:DWORD src1_sel:BYTE_3
	v_cndmask_b32_e32 v3, v5, v3, vcc_lo
	v_and_b32_e32 v4, 7, v4
	v_lshl_add_u32 v3, v3, 23, 0x3b800000
	v_cndmask_b32_e32 v2, v2, v4, vcc_lo
	v_and_b32_e32 v4, 0x80000000, v10
	v_lshlrev_b32_e32 v2, 20, v2
	v_or3_b32 v2, v4, v3, v2
.LBB6_410:                              ;   in Loop: Header=BB6_130 Depth=2
	s_or_b32 exec_lo, exec_lo, s41
	v_mul_f32_e32 v2, s40, v2
	v_mov_b32_e32 v85, 0x8000
	s_mov_b32 s41, exec_lo
	v_and_b32_e32 v3, 0x7f800000, v2
	v_cmpx_ne_u32_e32 0x7f800000, v3
	s_cbranch_execz .LBB6_418
; %bb.411:                              ;   in Loop: Header=BB6_130 Depth=2
	v_mov_b32_e32 v85, 0
	s_mov_b32 s42, exec_lo
	v_cmpx_ne_u32_e32 0, v2
	s_cbranch_execz .LBB6_417
; %bb.412:                              ;   in Loop: Header=BB6_130 Depth=2
	v_bfe_u32 v3, v2, 23, 8
	v_and_b32_e32 v4, 0x7fffff, v2
	v_sub_nc_u32_e32 v5, 0x78, v3
	v_cmp_gt_u32_e32 vcc_lo, 0x79, v3
	v_or_b32_e32 v6, 0x800000, v4
	v_cndmask_b32_e32 v5, 0, v5, vcc_lo
	v_cmp_eq_u32_e32 vcc_lo, 0, v3
	v_add_nc_u32_e32 v3, 0xffffff89, v3
	v_cndmask_b32_e64 v5, v5, 0x77, vcc_lo
	v_cndmask_b32_e32 v4, v6, v4, vcc_lo
	v_cndmask_b32_e64 v3, v3, 0xffffff8a, vcc_lo
	v_lshl_add_u32 v6, 0x100000, v5, -1
	v_lshrrev_b32_e32 v7, v5, v4
	v_lshlrev_b32_e64 v9, v5, 0x80000
	v_add_nc_u32_e32 v5, v5, v3
	v_and_b32_e32 v4, v6, v4
	v_bfe_u32 v8, v7, 20, 1
	v_cmp_eq_u32_e64 s13, v4, v9
	v_add_nc_u32_e32 v6, -1, v8
	v_cndmask_b32_e64 v4, 0, v6, s13
	v_lshrrev_b32_e32 v6, 23, v7
	s_mov_b32 s13, exec_lo
	v_add_nc_u32_e32 v4, v4, v7
	v_xor_b32_e32 v6, 1, v6
	v_and_b32_e32 v3, 0xfffff, v4
	v_add_nc_u32_e32 v4, v3, v7
                                        ; implicit-def: $vgpr3
	v_cmpx_ne_u32_e64 v5, v6
	s_xor_b32 s13, exec_lo, s13
; %bb.413:                              ;   in Loop: Header=BB6_130 Depth=2
	v_cmp_lt_u32_e32 vcc_lo, 0xffffff, v4
	v_sub_nc_u32_e32 v3, v5, v6
	v_cndmask_b32_e64 v5, 0, 1, vcc_lo
	v_add_co_ci_u32_e64 v3, null, 0, v3, vcc_lo
	v_lshrrev_b32_e32 v4, v5, v4
; %bb.414:                              ;   in Loop: Header=BB6_130 Depth=2
	s_andn2_saveexec_b32 s13, s13
; %bb.415:                              ;   in Loop: Header=BB6_130 Depth=2
	v_bfe_u32 v3, v4, 23, 1
; %bb.416:                              ;   in Loop: Header=BB6_130 Depth=2
	s_or_b32 exec_lo, exec_lo, s13
	v_lshrrev_b32_e32 v4, 20, v4
	v_min_i32_e32 v5, 15, v3
	v_cmp_gt_i32_e32 vcc_lo, 16, v3
	v_and_b32_sdwa v2, v2, v114 dst_sel:DWORD dst_unused:UNUSED_PAD src0_sel:BYTE_3 src1_sel:DWORD
	v_lshlrev_b32_e32 v5, 3, v5
	v_cndmask_b32_e32 v4, 7, v4, vcc_lo
	v_and_b32_e32 v5, 0xf8, v5
	v_and_b32_e32 v6, 7, v4
	v_or_b32_e32 v3, v3, v4
	v_or3_b32 v2, v2, v5, v6
	v_cmp_ne_u32_e32 vcc_lo, 0, v3
	v_lshlrev_b32_e32 v2, 8, v2
	v_cndmask_b32_e32 v85, 0, v2, vcc_lo
.LBB6_417:                              ;   in Loop: Header=BB6_130 Depth=2
	s_or_b32 exec_lo, exec_lo, s42
.LBB6_418:                              ;   in Loop: Header=BB6_130 Depth=2
	s_or_b32 exec_lo, exec_lo, s41
	v_cmp_gt_i16_sdwa s41, v11, v113 src0_sel:BYTE_0 src1_sel:DWORD
	s_mov_b32 s13, 0
	s_and_saveexec_b32 s42, s41
	s_xor_b32 s41, exec_lo, s42
	s_cbranch_execz .LBB6_2352
; %bb.419:                              ;   in Loop: Header=BB6_130 Depth=2
	v_cmp_eq_u16_sdwa s43, v11, v114 src0_sel:BYTE_0 src1_sel:DWORD
	s_mov_b32 s13, -1
	s_and_saveexec_b32 s42, s43
; %bb.420:                              ;   in Loop: Header=BB6_130 Depth=2
	s_xor_b32 s13, exec_lo, -1
; %bb.421:                              ;   in Loop: Header=BB6_130 Depth=2
	s_or_b32 exec_lo, exec_lo, s42
	s_and_b32 s13, s13, exec_lo
	s_or_saveexec_b32 s41, s41
	v_mov_b32_e32 v2, 0x7f800001
	s_xor_b32 exec_lo, exec_lo, s41
	s_cbranch_execnz .LBB6_2353
.LBB6_422:                              ;   in Loop: Header=BB6_130 Depth=2
	s_or_b32 exec_lo, exec_lo, s41
	s_and_saveexec_b32 s41, s13
	s_cbranch_execz .LBB6_424
.LBB6_423:                              ;   in Loop: Header=BB6_130 Depth=2
	v_and_b32_e32 v2, 7, v11
	v_bfe_u32 v5, v11, 3, 4
	v_lshlrev_b32_e32 v6, 24, v11
	v_ffbh_u32_e32 v3, v2
	v_cmp_eq_u32_e32 vcc_lo, 0, v5
	v_min_u32_e32 v3, 32, v3
	v_subrev_nc_u32_e32 v4, 28, v3
	v_sub_nc_u32_e32 v3, 29, v3
	v_lshlrev_b32_e32 v4, v4, v11
	v_cndmask_b32_e32 v3, v5, v3, vcc_lo
	v_and_b32_e32 v4, 7, v4
	v_lshl_add_u32 v3, v3, 23, 0x3b800000
	v_cndmask_b32_e32 v2, v2, v4, vcc_lo
	v_and_b32_e32 v4, 0x80000000, v6
	v_lshlrev_b32_e32 v2, 20, v2
	v_or3_b32 v2, v4, v3, v2
.LBB6_424:                              ;   in Loop: Header=BB6_130 Depth=2
	s_or_b32 exec_lo, exec_lo, s41
	v_mul_f32_e32 v2, s40, v2
	v_mov_b32_e32 v28, 0x80
	s_mov_b32 s41, exec_lo
	v_and_b32_e32 v3, 0x7f800000, v2
	v_cmpx_ne_u32_e32 0x7f800000, v3
	s_cbranch_execz .LBB6_432
; %bb.425:                              ;   in Loop: Header=BB6_130 Depth=2
	v_mov_b32_e32 v28, 0
	s_mov_b32 s42, exec_lo
	v_cmpx_ne_u32_e32 0, v2
	s_cbranch_execz .LBB6_431
; %bb.426:                              ;   in Loop: Header=BB6_130 Depth=2
	v_bfe_u32 v3, v2, 23, 8
	v_and_b32_e32 v4, 0x7fffff, v2
	v_sub_nc_u32_e32 v5, 0x78, v3
	v_cmp_gt_u32_e32 vcc_lo, 0x79, v3
	v_or_b32_e32 v6, 0x800000, v4
	v_cndmask_b32_e32 v5, 0, v5, vcc_lo
	v_cmp_eq_u32_e32 vcc_lo, 0, v3
	v_add_nc_u32_e32 v3, 0xffffff89, v3
	v_cndmask_b32_e64 v5, v5, 0x77, vcc_lo
	v_cndmask_b32_e32 v4, v6, v4, vcc_lo
	v_cndmask_b32_e64 v3, v3, 0xffffff8a, vcc_lo
	v_lshl_add_u32 v6, 0x100000, v5, -1
	v_lshrrev_b32_e32 v7, v5, v4
	v_lshlrev_b32_e64 v9, v5, 0x80000
	v_add_nc_u32_e32 v5, v5, v3
	v_and_b32_e32 v4, v6, v4
	v_bfe_u32 v8, v7, 20, 1
	v_cmp_eq_u32_e64 s13, v4, v9
	v_add_nc_u32_e32 v6, -1, v8
	v_cndmask_b32_e64 v4, 0, v6, s13
	v_lshrrev_b32_e32 v6, 23, v7
	s_mov_b32 s13, exec_lo
	v_add_nc_u32_e32 v4, v4, v7
	v_xor_b32_e32 v6, 1, v6
	v_and_b32_e32 v3, 0xfffff, v4
	v_add_nc_u32_e32 v4, v3, v7
                                        ; implicit-def: $vgpr3
	v_cmpx_ne_u32_e64 v5, v6
	s_xor_b32 s13, exec_lo, s13
; %bb.427:                              ;   in Loop: Header=BB6_130 Depth=2
	v_cmp_lt_u32_e32 vcc_lo, 0xffffff, v4
	v_sub_nc_u32_e32 v3, v5, v6
	v_cndmask_b32_e64 v5, 0, 1, vcc_lo
	v_add_co_ci_u32_e64 v3, null, 0, v3, vcc_lo
	v_lshrrev_b32_e32 v4, v5, v4
; %bb.428:                              ;   in Loop: Header=BB6_130 Depth=2
	s_andn2_saveexec_b32 s13, s13
; %bb.429:                              ;   in Loop: Header=BB6_130 Depth=2
	v_bfe_u32 v3, v4, 23, 1
; %bb.430:                              ;   in Loop: Header=BB6_130 Depth=2
	s_or_b32 exec_lo, exec_lo, s13
	v_lshrrev_b32_e32 v4, 20, v4
	v_min_i32_e32 v5, 15, v3
	v_cmp_gt_i32_e32 vcc_lo, 16, v3
	v_and_b32_sdwa v2, v2, v114 dst_sel:DWORD dst_unused:UNUSED_PAD src0_sel:BYTE_3 src1_sel:DWORD
	v_lshlrev_b32_e32 v5, 3, v5
	v_cndmask_b32_e32 v4, 7, v4, vcc_lo
	v_and_b32_e32 v5, 0xf8, v5
	v_and_b32_e32 v6, 7, v4
	v_or_b32_e32 v3, v3, v4
	v_or3_b32 v2, v5, v2, v6
	v_cmp_ne_u32_e32 vcc_lo, 0, v3
	v_cndmask_b32_e32 v28, 0, v2, vcc_lo
.LBB6_431:                              ;   in Loop: Header=BB6_130 Depth=2
	s_or_b32 exec_lo, exec_lo, s42
.LBB6_432:                              ;   in Loop: Header=BB6_130 Depth=2
	s_or_b32 exec_lo, exec_lo, s41
	v_cmp_gt_i16_sdwa s41, v11, v113 src0_sel:BYTE_1 src1_sel:DWORD
	s_mov_b32 s13, 0
	s_and_saveexec_b32 s42, s41
	s_xor_b32 s41, exec_lo, s42
	s_cbranch_execz .LBB6_2354
; %bb.433:                              ;   in Loop: Header=BB6_130 Depth=2
	v_cmp_eq_u16_sdwa s43, v11, v114 src0_sel:BYTE_1 src1_sel:DWORD
	s_mov_b32 s13, -1
	s_and_saveexec_b32 s42, s43
; %bb.434:                              ;   in Loop: Header=BB6_130 Depth=2
	s_xor_b32 s13, exec_lo, -1
; %bb.435:                              ;   in Loop: Header=BB6_130 Depth=2
	s_or_b32 exec_lo, exec_lo, s42
	s_and_b32 s13, s13, exec_lo
	s_or_saveexec_b32 s41, s41
	v_mov_b32_e32 v2, 0x7f800001
	s_xor_b32 exec_lo, exec_lo, s41
	s_cbranch_execnz .LBB6_2355
.LBB6_436:                              ;   in Loop: Header=BB6_130 Depth=2
	s_or_b32 exec_lo, exec_lo, s41
	s_and_saveexec_b32 s41, s13
	s_cbranch_execz .LBB6_438
.LBB6_437:                              ;   in Loop: Header=BB6_130 Depth=2
	v_and_b32_sdwa v2, v115, v11 dst_sel:DWORD dst_unused:UNUSED_PAD src0_sel:DWORD src1_sel:BYTE_1
	v_and_b32_e32 v3, 7, v2
	v_bfe_u32 v6, v2, 3, 4
	v_ffbh_u32_e32 v4, v3
	v_cmp_eq_u32_e32 vcc_lo, 0, v6
	v_min_u32_e32 v4, 32, v4
	v_subrev_nc_u32_e32 v5, 28, v4
	v_sub_nc_u32_e32 v4, 29, v4
	v_lshlrev_b32_e32 v2, v5, v2
	v_lshlrev_b32_sdwa v5, v116, v11 dst_sel:DWORD dst_unused:UNUSED_PAD src0_sel:DWORD src1_sel:BYTE_1
	v_cndmask_b32_e32 v4, v6, v4, vcc_lo
	v_and_b32_e32 v2, 7, v2
	v_lshl_add_u32 v4, v4, 23, 0x3b800000
	v_cndmask_b32_e32 v2, v3, v2, vcc_lo
	v_and_b32_e32 v3, 0x80000000, v5
	v_lshlrev_b32_e32 v2, 20, v2
	v_or3_b32 v2, v3, v4, v2
.LBB6_438:                              ;   in Loop: Header=BB6_130 Depth=2
	s_or_b32 exec_lo, exec_lo, s41
	v_mul_f32_e32 v2, s40, v2
	v_mov_b32_e32 v29, 0x8000
	s_mov_b32 s41, exec_lo
	v_and_b32_e32 v3, 0x7f800000, v2
	v_cmpx_ne_u32_e32 0x7f800000, v3
	s_cbranch_execz .LBB6_446
; %bb.439:                              ;   in Loop: Header=BB6_130 Depth=2
	v_mov_b32_e32 v29, 0
	s_mov_b32 s42, exec_lo
	v_cmpx_ne_u32_e32 0, v2
	s_cbranch_execz .LBB6_445
; %bb.440:                              ;   in Loop: Header=BB6_130 Depth=2
	v_bfe_u32 v3, v2, 23, 8
	v_and_b32_e32 v4, 0x7fffff, v2
	v_sub_nc_u32_e32 v5, 0x78, v3
	v_cmp_gt_u32_e32 vcc_lo, 0x79, v3
	v_or_b32_e32 v6, 0x800000, v4
	v_cndmask_b32_e32 v5, 0, v5, vcc_lo
	v_cmp_eq_u32_e32 vcc_lo, 0, v3
	v_add_nc_u32_e32 v3, 0xffffff89, v3
	v_cndmask_b32_e64 v5, v5, 0x77, vcc_lo
	v_cndmask_b32_e32 v4, v6, v4, vcc_lo
	v_cndmask_b32_e64 v3, v3, 0xffffff8a, vcc_lo
	v_lshl_add_u32 v6, 0x100000, v5, -1
	v_lshrrev_b32_e32 v7, v5, v4
	v_lshlrev_b32_e64 v9, v5, 0x80000
	v_add_nc_u32_e32 v5, v5, v3
	v_and_b32_e32 v4, v6, v4
	v_bfe_u32 v8, v7, 20, 1
	v_cmp_eq_u32_e64 s13, v4, v9
	v_add_nc_u32_e32 v6, -1, v8
	v_cndmask_b32_e64 v4, 0, v6, s13
	v_lshrrev_b32_e32 v6, 23, v7
	s_mov_b32 s13, exec_lo
	v_add_nc_u32_e32 v4, v4, v7
	v_xor_b32_e32 v6, 1, v6
	v_and_b32_e32 v3, 0xfffff, v4
	v_add_nc_u32_e32 v4, v3, v7
                                        ; implicit-def: $vgpr3
	v_cmpx_ne_u32_e64 v5, v6
	s_xor_b32 s13, exec_lo, s13
; %bb.441:                              ;   in Loop: Header=BB6_130 Depth=2
	v_cmp_lt_u32_e32 vcc_lo, 0xffffff, v4
	v_sub_nc_u32_e32 v3, v5, v6
	v_cndmask_b32_e64 v5, 0, 1, vcc_lo
	v_add_co_ci_u32_e64 v3, null, 0, v3, vcc_lo
	v_lshrrev_b32_e32 v4, v5, v4
; %bb.442:                              ;   in Loop: Header=BB6_130 Depth=2
	s_andn2_saveexec_b32 s13, s13
; %bb.443:                              ;   in Loop: Header=BB6_130 Depth=2
	v_bfe_u32 v3, v4, 23, 1
; %bb.444:                              ;   in Loop: Header=BB6_130 Depth=2
	s_or_b32 exec_lo, exec_lo, s13
	v_lshrrev_b32_e32 v4, 20, v4
	v_min_i32_e32 v5, 15, v3
	v_cmp_gt_i32_e32 vcc_lo, 16, v3
	v_and_b32_sdwa v2, v2, v114 dst_sel:DWORD dst_unused:UNUSED_PAD src0_sel:BYTE_3 src1_sel:DWORD
	v_lshlrev_b32_e32 v5, 3, v5
	v_cndmask_b32_e32 v4, 7, v4, vcc_lo
	v_and_b32_e32 v5, 0xf8, v5
	v_and_b32_e32 v6, 7, v4
	v_or_b32_e32 v3, v3, v4
	v_or3_b32 v2, v2, v5, v6
	v_cmp_ne_u32_e32 vcc_lo, 0, v3
	v_lshlrev_b32_e32 v2, 8, v2
	v_cndmask_b32_e32 v29, 0, v2, vcc_lo
.LBB6_445:                              ;   in Loop: Header=BB6_130 Depth=2
	s_or_b32 exec_lo, exec_lo, s42
.LBB6_446:                              ;   in Loop: Header=BB6_130 Depth=2
	s_or_b32 exec_lo, exec_lo, s41
	v_and_b32_sdwa v3, v11, v117 dst_sel:DWORD dst_unused:UNUSED_PAD src0_sel:WORD_1 src1_sel:DWORD
	s_mov_b32 s13, 0
	s_mov_b32 s41, exec_lo
	v_cmpx_lt_i16_e32 0x7f, v3
	s_xor_b32 s41, exec_lo, s41
	s_cbranch_execz .LBB6_2356
; %bb.447:                              ;   in Loop: Header=BB6_130 Depth=2
	s_mov_b32 s13, -1
	s_mov_b32 s42, exec_lo
	v_cmpx_eq_u16_e32 0x80, v3
; %bb.448:                              ;   in Loop: Header=BB6_130 Depth=2
	s_xor_b32 s13, exec_lo, -1
; %bb.449:                              ;   in Loop: Header=BB6_130 Depth=2
	s_or_b32 exec_lo, exec_lo, s42
	s_and_b32 s13, s13, exec_lo
                                        ; implicit-def: $vgpr3
	s_or_saveexec_b32 s41, s41
	v_mov_b32_e32 v2, 0x7f800001
	s_xor_b32 exec_lo, exec_lo, s41
	s_cbranch_execnz .LBB6_2357
.LBB6_450:                              ;   in Loop: Header=BB6_130 Depth=2
	s_or_b32 exec_lo, exec_lo, s41
	s_and_saveexec_b32 s41, s13
	s_cbranch_execz .LBB6_452
.LBB6_451:                              ;   in Loop: Header=BB6_130 Depth=2
	v_bfe_u32 v2, v11, 16, 3
	v_bfe_u32 v5, v11, 19, 4
	v_lshlrev_b32_e32 v6, 8, v11
	v_ffbh_u32_e32 v3, v2
	v_cmp_eq_u32_e32 vcc_lo, 0, v5
	v_min_u32_e32 v3, 32, v3
	v_subrev_nc_u32_e32 v4, 28, v3
	v_sub_nc_u32_e32 v3, 29, v3
	v_lshlrev_b32_sdwa v4, v4, v11 dst_sel:DWORD dst_unused:UNUSED_PAD src0_sel:DWORD src1_sel:WORD_1
	v_cndmask_b32_e32 v3, v5, v3, vcc_lo
	v_and_b32_e32 v4, 7, v4
	v_lshl_add_u32 v3, v3, 23, 0x3b800000
	v_cndmask_b32_e32 v2, v2, v4, vcc_lo
	v_and_b32_e32 v4, 0x80000000, v6
	v_lshlrev_b32_e32 v2, 20, v2
	v_or3_b32 v2, v4, v3, v2
.LBB6_452:                              ;   in Loop: Header=BB6_130 Depth=2
	s_or_b32 exec_lo, exec_lo, s41
	v_mul_f32_e32 v2, s40, v2
	v_mov_b32_e32 v112, 0x80
	s_mov_b32 s41, exec_lo
	v_and_b32_e32 v3, 0x7f800000, v2
	v_cmpx_ne_u32_e32 0x7f800000, v3
	s_cbranch_execz .LBB6_460
; %bb.453:                              ;   in Loop: Header=BB6_130 Depth=2
	v_mov_b32_e32 v112, 0
	s_mov_b32 s42, exec_lo
	v_cmpx_ne_u32_e32 0, v2
	s_cbranch_execz .LBB6_459
; %bb.454:                              ;   in Loop: Header=BB6_130 Depth=2
	v_bfe_u32 v3, v2, 23, 8
	v_and_b32_e32 v4, 0x7fffff, v2
	v_sub_nc_u32_e32 v5, 0x78, v3
	v_cmp_gt_u32_e32 vcc_lo, 0x79, v3
	v_or_b32_e32 v6, 0x800000, v4
	v_cndmask_b32_e32 v5, 0, v5, vcc_lo
	v_cmp_eq_u32_e32 vcc_lo, 0, v3
	v_add_nc_u32_e32 v3, 0xffffff89, v3
	v_cndmask_b32_e64 v5, v5, 0x77, vcc_lo
	v_cndmask_b32_e32 v4, v6, v4, vcc_lo
	v_cndmask_b32_e64 v3, v3, 0xffffff8a, vcc_lo
	v_lshl_add_u32 v6, 0x100000, v5, -1
	v_lshrrev_b32_e32 v7, v5, v4
	v_lshlrev_b32_e64 v9, v5, 0x80000
	v_add_nc_u32_e32 v5, v5, v3
	v_and_b32_e32 v4, v6, v4
	v_bfe_u32 v8, v7, 20, 1
	v_cmp_eq_u32_e64 s13, v4, v9
	v_add_nc_u32_e32 v6, -1, v8
	v_cndmask_b32_e64 v4, 0, v6, s13
	v_lshrrev_b32_e32 v6, 23, v7
	s_mov_b32 s13, exec_lo
	v_add_nc_u32_e32 v4, v4, v7
	v_xor_b32_e32 v6, 1, v6
	v_and_b32_e32 v3, 0xfffff, v4
	v_add_nc_u32_e32 v4, v3, v7
                                        ; implicit-def: $vgpr3
	v_cmpx_ne_u32_e64 v5, v6
	s_xor_b32 s13, exec_lo, s13
; %bb.455:                              ;   in Loop: Header=BB6_130 Depth=2
	v_cmp_lt_u32_e32 vcc_lo, 0xffffff, v4
	v_sub_nc_u32_e32 v3, v5, v6
	v_cndmask_b32_e64 v5, 0, 1, vcc_lo
	v_add_co_ci_u32_e64 v3, null, 0, v3, vcc_lo
	v_lshrrev_b32_e32 v4, v5, v4
; %bb.456:                              ;   in Loop: Header=BB6_130 Depth=2
	s_andn2_saveexec_b32 s13, s13
; %bb.457:                              ;   in Loop: Header=BB6_130 Depth=2
	v_bfe_u32 v3, v4, 23, 1
; %bb.458:                              ;   in Loop: Header=BB6_130 Depth=2
	s_or_b32 exec_lo, exec_lo, s13
	v_lshrrev_b32_e32 v4, 20, v4
	v_min_i32_e32 v5, 15, v3
	v_cmp_gt_i32_e32 vcc_lo, 16, v3
	v_and_b32_sdwa v2, v2, v114 dst_sel:DWORD dst_unused:UNUSED_PAD src0_sel:BYTE_3 src1_sel:DWORD
	v_lshlrev_b32_e32 v5, 3, v5
	v_cndmask_b32_e32 v4, 7, v4, vcc_lo
	v_and_b32_e32 v5, 0xf8, v5
	v_and_b32_e32 v6, 7, v4
	v_or_b32_e32 v3, v3, v4
	v_or3_b32 v2, v5, v2, v6
	v_cmp_ne_u32_e32 vcc_lo, 0, v3
	v_cndmask_b32_e32 v112, 0, v2, vcc_lo
.LBB6_459:                              ;   in Loop: Header=BB6_130 Depth=2
	s_or_b32 exec_lo, exec_lo, s42
.LBB6_460:                              ;   in Loop: Header=BB6_130 Depth=2
	s_or_b32 exec_lo, exec_lo, s41
	v_cmp_gt_i16_sdwa s41, v11, v113 src0_sel:BYTE_3 src1_sel:DWORD
	s_mov_b32 s13, 0
	s_and_saveexec_b32 s42, s41
	s_xor_b32 s41, exec_lo, s42
	s_cbranch_execz .LBB6_2358
; %bb.461:                              ;   in Loop: Header=BB6_130 Depth=2
	v_cmp_eq_u16_sdwa s43, v11, v114 src0_sel:BYTE_3 src1_sel:DWORD
	s_mov_b32 s13, -1
	s_and_saveexec_b32 s42, s43
; %bb.462:                              ;   in Loop: Header=BB6_130 Depth=2
	s_xor_b32 s13, exec_lo, -1
; %bb.463:                              ;   in Loop: Header=BB6_130 Depth=2
	s_or_b32 exec_lo, exec_lo, s42
	s_and_b32 s13, s13, exec_lo
	s_or_saveexec_b32 s41, s41
	v_mov_b32_e32 v2, 0x7f800001
	s_xor_b32 exec_lo, exec_lo, s41
	s_cbranch_execnz .LBB6_2359
.LBB6_464:                              ;   in Loop: Header=BB6_130 Depth=2
	s_or_b32 exec_lo, exec_lo, s41
	s_and_saveexec_b32 s41, s13
	s_cbranch_execz .LBB6_466
.LBB6_465:                              ;   in Loop: Header=BB6_130 Depth=2
	v_bfe_u32 v2, v11, 24, 3
	v_bfe_u32 v5, v11, 27, 4
	v_ffbh_u32_e32 v3, v2
	v_cmp_eq_u32_e32 vcc_lo, 0, v5
	v_min_u32_e32 v3, 32, v3
	v_subrev_nc_u32_e32 v4, 28, v3
	v_sub_nc_u32_e32 v3, 29, v3
	v_lshlrev_b32_sdwa v4, v4, v11 dst_sel:DWORD dst_unused:UNUSED_PAD src0_sel:DWORD src1_sel:BYTE_3
	v_cndmask_b32_e32 v3, v5, v3, vcc_lo
	v_and_b32_e32 v4, 7, v4
	v_lshl_add_u32 v3, v3, 23, 0x3b800000
	v_cndmask_b32_e32 v2, v2, v4, vcc_lo
	v_and_b32_e32 v4, 0x80000000, v11
	v_lshlrev_b32_e32 v2, 20, v2
	v_or3_b32 v2, v4, v3, v2
.LBB6_466:                              ;   in Loop: Header=BB6_130 Depth=2
	s_or_b32 exec_lo, exec_lo, s41
	v_mul_f32_e32 v2, s40, v2
	v_mov_b32_e32 v103, 0x8000
	s_mov_b32 s41, exec_lo
	v_and_b32_e32 v3, 0x7f800000, v2
	v_cmpx_ne_u32_e32 0x7f800000, v3
	s_cbranch_execz .LBB6_474
; %bb.467:                              ;   in Loop: Header=BB6_130 Depth=2
	v_mov_b32_e32 v103, 0
	s_mov_b32 s42, exec_lo
	v_cmpx_ne_u32_e32 0, v2
	s_cbranch_execz .LBB6_473
; %bb.468:                              ;   in Loop: Header=BB6_130 Depth=2
	v_bfe_u32 v3, v2, 23, 8
	v_and_b32_e32 v4, 0x7fffff, v2
	v_sub_nc_u32_e32 v5, 0x78, v3
	v_cmp_gt_u32_e32 vcc_lo, 0x79, v3
	v_or_b32_e32 v6, 0x800000, v4
	v_cndmask_b32_e32 v5, 0, v5, vcc_lo
	v_cmp_eq_u32_e32 vcc_lo, 0, v3
	v_add_nc_u32_e32 v3, 0xffffff89, v3
	v_cndmask_b32_e64 v5, v5, 0x77, vcc_lo
	v_cndmask_b32_e32 v4, v6, v4, vcc_lo
	v_cndmask_b32_e64 v3, v3, 0xffffff8a, vcc_lo
	v_lshl_add_u32 v6, 0x100000, v5, -1
	v_lshrrev_b32_e32 v7, v5, v4
	v_lshlrev_b32_e64 v9, v5, 0x80000
	v_add_nc_u32_e32 v5, v5, v3
	v_and_b32_e32 v4, v6, v4
	v_bfe_u32 v8, v7, 20, 1
	v_cmp_eq_u32_e64 s13, v4, v9
	v_add_nc_u32_e32 v6, -1, v8
	v_cndmask_b32_e64 v4, 0, v6, s13
	v_lshrrev_b32_e32 v6, 23, v7
	s_mov_b32 s13, exec_lo
	v_add_nc_u32_e32 v4, v4, v7
	v_xor_b32_e32 v6, 1, v6
	v_and_b32_e32 v3, 0xfffff, v4
	v_add_nc_u32_e32 v4, v3, v7
                                        ; implicit-def: $vgpr3
	v_cmpx_ne_u32_e64 v5, v6
	s_xor_b32 s13, exec_lo, s13
; %bb.469:                              ;   in Loop: Header=BB6_130 Depth=2
	v_cmp_lt_u32_e32 vcc_lo, 0xffffff, v4
	v_sub_nc_u32_e32 v3, v5, v6
	v_cndmask_b32_e64 v5, 0, 1, vcc_lo
	v_add_co_ci_u32_e64 v3, null, 0, v3, vcc_lo
	v_lshrrev_b32_e32 v4, v5, v4
; %bb.470:                              ;   in Loop: Header=BB6_130 Depth=2
	s_andn2_saveexec_b32 s13, s13
; %bb.471:                              ;   in Loop: Header=BB6_130 Depth=2
	v_bfe_u32 v3, v4, 23, 1
; %bb.472:                              ;   in Loop: Header=BB6_130 Depth=2
	s_or_b32 exec_lo, exec_lo, s13
	v_lshrrev_b32_e32 v4, 20, v4
	v_min_i32_e32 v5, 15, v3
	v_cmp_gt_i32_e32 vcc_lo, 16, v3
	v_and_b32_sdwa v2, v2, v114 dst_sel:DWORD dst_unused:UNUSED_PAD src0_sel:BYTE_3 src1_sel:DWORD
	v_lshlrev_b32_e32 v5, 3, v5
	v_cndmask_b32_e32 v4, 7, v4, vcc_lo
	v_and_b32_e32 v5, 0xf8, v5
	v_and_b32_e32 v6, 7, v4
	v_or_b32_e32 v3, v3, v4
	v_or3_b32 v2, v2, v5, v6
	v_cmp_ne_u32_e32 vcc_lo, 0, v3
	v_lshlrev_b32_e32 v2, 8, v2
	v_cndmask_b32_e32 v103, 0, v2, vcc_lo
.LBB6_473:                              ;   in Loop: Header=BB6_130 Depth=2
	s_or_b32 exec_lo, exec_lo, s42
.LBB6_474:                              ;   in Loop: Header=BB6_130 Depth=2
	s_or_b32 exec_lo, exec_lo, s41
	v_cmp_gt_i16_sdwa s41, v12, v113 src0_sel:BYTE_0 src1_sel:DWORD
	s_mov_b32 s13, 0
	s_and_saveexec_b32 s42, s41
	s_xor_b32 s41, exec_lo, s42
	s_cbranch_execz .LBB6_2360
; %bb.475:                              ;   in Loop: Header=BB6_130 Depth=2
	v_cmp_eq_u16_sdwa s43, v12, v114 src0_sel:BYTE_0 src1_sel:DWORD
	s_mov_b32 s13, -1
	s_and_saveexec_b32 s42, s43
; %bb.476:                              ;   in Loop: Header=BB6_130 Depth=2
	s_xor_b32 s13, exec_lo, -1
; %bb.477:                              ;   in Loop: Header=BB6_130 Depth=2
	s_or_b32 exec_lo, exec_lo, s42
	s_and_b32 s13, s13, exec_lo
	s_or_saveexec_b32 s41, s41
	v_mov_b32_e32 v2, 0x7f800001
	s_xor_b32 exec_lo, exec_lo, s41
	s_cbranch_execnz .LBB6_2361
.LBB6_478:                              ;   in Loop: Header=BB6_130 Depth=2
	s_or_b32 exec_lo, exec_lo, s41
	s_and_saveexec_b32 s41, s13
	s_cbranch_execz .LBB6_480
.LBB6_479:                              ;   in Loop: Header=BB6_130 Depth=2
	v_and_b32_e32 v2, 7, v12
	v_bfe_u32 v5, v12, 3, 4
	v_lshlrev_b32_e32 v6, 24, v12
	v_ffbh_u32_e32 v3, v2
	v_cmp_eq_u32_e32 vcc_lo, 0, v5
	v_min_u32_e32 v3, 32, v3
	v_subrev_nc_u32_e32 v4, 28, v3
	v_sub_nc_u32_e32 v3, 29, v3
	v_lshlrev_b32_e32 v4, v4, v12
	v_cndmask_b32_e32 v3, v5, v3, vcc_lo
	v_and_b32_e32 v4, 7, v4
	v_lshl_add_u32 v3, v3, 23, 0x3b800000
	v_cndmask_b32_e32 v2, v2, v4, vcc_lo
	v_and_b32_e32 v4, 0x80000000, v6
	v_lshlrev_b32_e32 v2, 20, v2
	v_or3_b32 v2, v4, v3, v2
.LBB6_480:                              ;   in Loop: Header=BB6_130 Depth=2
	s_or_b32 exec_lo, exec_lo, s41
	v_mul_f32_e32 v2, s40, v2
	v_mov_b32_e32 v96, 0x80
	s_mov_b32 s41, exec_lo
	v_and_b32_e32 v3, 0x7f800000, v2
	v_cmpx_ne_u32_e32 0x7f800000, v3
	s_cbranch_execz .LBB6_488
; %bb.481:                              ;   in Loop: Header=BB6_130 Depth=2
	v_mov_b32_e32 v96, 0
	s_mov_b32 s42, exec_lo
	v_cmpx_ne_u32_e32 0, v2
	s_cbranch_execz .LBB6_487
; %bb.482:                              ;   in Loop: Header=BB6_130 Depth=2
	v_bfe_u32 v3, v2, 23, 8
	v_and_b32_e32 v4, 0x7fffff, v2
	v_sub_nc_u32_e32 v5, 0x78, v3
	v_cmp_gt_u32_e32 vcc_lo, 0x79, v3
	v_or_b32_e32 v6, 0x800000, v4
	v_cndmask_b32_e32 v5, 0, v5, vcc_lo
	v_cmp_eq_u32_e32 vcc_lo, 0, v3
	v_add_nc_u32_e32 v3, 0xffffff89, v3
	v_cndmask_b32_e64 v5, v5, 0x77, vcc_lo
	v_cndmask_b32_e32 v4, v6, v4, vcc_lo
	v_cndmask_b32_e64 v3, v3, 0xffffff8a, vcc_lo
	v_lshl_add_u32 v6, 0x100000, v5, -1
	v_lshrrev_b32_e32 v7, v5, v4
	v_lshlrev_b32_e64 v9, v5, 0x80000
	v_add_nc_u32_e32 v5, v5, v3
	v_and_b32_e32 v4, v6, v4
	v_bfe_u32 v8, v7, 20, 1
	v_cmp_eq_u32_e64 s13, v4, v9
	v_add_nc_u32_e32 v6, -1, v8
	v_cndmask_b32_e64 v4, 0, v6, s13
	v_lshrrev_b32_e32 v6, 23, v7
	s_mov_b32 s13, exec_lo
	v_add_nc_u32_e32 v4, v4, v7
	v_xor_b32_e32 v6, 1, v6
	v_and_b32_e32 v3, 0xfffff, v4
	v_add_nc_u32_e32 v4, v3, v7
                                        ; implicit-def: $vgpr3
	v_cmpx_ne_u32_e64 v5, v6
	s_xor_b32 s13, exec_lo, s13
; %bb.483:                              ;   in Loop: Header=BB6_130 Depth=2
	v_cmp_lt_u32_e32 vcc_lo, 0xffffff, v4
	v_sub_nc_u32_e32 v3, v5, v6
	v_cndmask_b32_e64 v5, 0, 1, vcc_lo
	v_add_co_ci_u32_e64 v3, null, 0, v3, vcc_lo
	v_lshrrev_b32_e32 v4, v5, v4
; %bb.484:                              ;   in Loop: Header=BB6_130 Depth=2
	s_andn2_saveexec_b32 s13, s13
; %bb.485:                              ;   in Loop: Header=BB6_130 Depth=2
	v_bfe_u32 v3, v4, 23, 1
; %bb.486:                              ;   in Loop: Header=BB6_130 Depth=2
	s_or_b32 exec_lo, exec_lo, s13
	v_lshrrev_b32_e32 v4, 20, v4
	v_min_i32_e32 v5, 15, v3
	v_cmp_gt_i32_e32 vcc_lo, 16, v3
	v_and_b32_sdwa v2, v2, v114 dst_sel:DWORD dst_unused:UNUSED_PAD src0_sel:BYTE_3 src1_sel:DWORD
	v_lshlrev_b32_e32 v5, 3, v5
	v_cndmask_b32_e32 v4, 7, v4, vcc_lo
	v_and_b32_e32 v5, 0xf8, v5
	v_and_b32_e32 v6, 7, v4
	v_or_b32_e32 v3, v3, v4
	v_or3_b32 v2, v5, v2, v6
	v_cmp_ne_u32_e32 vcc_lo, 0, v3
	v_cndmask_b32_e32 v96, 0, v2, vcc_lo
.LBB6_487:                              ;   in Loop: Header=BB6_130 Depth=2
	s_or_b32 exec_lo, exec_lo, s42
.LBB6_488:                              ;   in Loop: Header=BB6_130 Depth=2
	s_or_b32 exec_lo, exec_lo, s41
	v_cmp_gt_i16_sdwa s41, v12, v113 src0_sel:BYTE_1 src1_sel:DWORD
	s_mov_b32 s13, 0
	s_and_saveexec_b32 s42, s41
	s_xor_b32 s41, exec_lo, s42
	s_cbranch_execz .LBB6_2362
; %bb.489:                              ;   in Loop: Header=BB6_130 Depth=2
	v_cmp_eq_u16_sdwa s43, v12, v114 src0_sel:BYTE_1 src1_sel:DWORD
	s_mov_b32 s13, -1
	s_and_saveexec_b32 s42, s43
; %bb.490:                              ;   in Loop: Header=BB6_130 Depth=2
	s_xor_b32 s13, exec_lo, -1
; %bb.491:                              ;   in Loop: Header=BB6_130 Depth=2
	s_or_b32 exec_lo, exec_lo, s42
	s_and_b32 s13, s13, exec_lo
	s_or_saveexec_b32 s41, s41
	v_mov_b32_e32 v2, 0x7f800001
	s_xor_b32 exec_lo, exec_lo, s41
	s_cbranch_execnz .LBB6_2363
.LBB6_492:                              ;   in Loop: Header=BB6_130 Depth=2
	s_or_b32 exec_lo, exec_lo, s41
	s_and_saveexec_b32 s41, s13
	s_cbranch_execz .LBB6_494
.LBB6_493:                              ;   in Loop: Header=BB6_130 Depth=2
	v_and_b32_sdwa v2, v115, v12 dst_sel:DWORD dst_unused:UNUSED_PAD src0_sel:DWORD src1_sel:BYTE_1
	v_and_b32_e32 v3, 7, v2
	v_bfe_u32 v6, v2, 3, 4
	v_ffbh_u32_e32 v4, v3
	v_cmp_eq_u32_e32 vcc_lo, 0, v6
	v_min_u32_e32 v4, 32, v4
	v_subrev_nc_u32_e32 v5, 28, v4
	v_sub_nc_u32_e32 v4, 29, v4
	v_lshlrev_b32_e32 v2, v5, v2
	v_lshlrev_b32_sdwa v5, v116, v12 dst_sel:DWORD dst_unused:UNUSED_PAD src0_sel:DWORD src1_sel:BYTE_1
	v_cndmask_b32_e32 v4, v6, v4, vcc_lo
	v_and_b32_e32 v2, 7, v2
	v_lshl_add_u32 v4, v4, 23, 0x3b800000
	v_cndmask_b32_e32 v2, v3, v2, vcc_lo
	v_and_b32_e32 v3, 0x80000000, v5
	v_lshlrev_b32_e32 v2, 20, v2
	v_or3_b32 v2, v3, v4, v2
.LBB6_494:                              ;   in Loop: Header=BB6_130 Depth=2
	s_or_b32 exec_lo, exec_lo, s41
	v_mul_f32_e32 v2, s40, v2
	v_mov_b32_e32 v98, 0x8000
	s_mov_b32 s41, exec_lo
	v_and_b32_e32 v3, 0x7f800000, v2
	v_cmpx_ne_u32_e32 0x7f800000, v3
	s_cbranch_execz .LBB6_502
; %bb.495:                              ;   in Loop: Header=BB6_130 Depth=2
	v_mov_b32_e32 v98, 0
	s_mov_b32 s42, exec_lo
	v_cmpx_ne_u32_e32 0, v2
	s_cbranch_execz .LBB6_501
; %bb.496:                              ;   in Loop: Header=BB6_130 Depth=2
	v_bfe_u32 v3, v2, 23, 8
	v_and_b32_e32 v4, 0x7fffff, v2
	v_sub_nc_u32_e32 v5, 0x78, v3
	v_cmp_gt_u32_e32 vcc_lo, 0x79, v3
	v_or_b32_e32 v6, 0x800000, v4
	v_cndmask_b32_e32 v5, 0, v5, vcc_lo
	v_cmp_eq_u32_e32 vcc_lo, 0, v3
	v_add_nc_u32_e32 v3, 0xffffff89, v3
	v_cndmask_b32_e64 v5, v5, 0x77, vcc_lo
	v_cndmask_b32_e32 v4, v6, v4, vcc_lo
	v_cndmask_b32_e64 v3, v3, 0xffffff8a, vcc_lo
	v_lshl_add_u32 v6, 0x100000, v5, -1
	v_lshrrev_b32_e32 v7, v5, v4
	v_lshlrev_b32_e64 v9, v5, 0x80000
	v_add_nc_u32_e32 v5, v5, v3
	v_and_b32_e32 v4, v6, v4
	v_bfe_u32 v8, v7, 20, 1
	v_cmp_eq_u32_e64 s13, v4, v9
	v_add_nc_u32_e32 v6, -1, v8
	v_cndmask_b32_e64 v4, 0, v6, s13
	v_lshrrev_b32_e32 v6, 23, v7
	s_mov_b32 s13, exec_lo
	v_add_nc_u32_e32 v4, v4, v7
	v_xor_b32_e32 v6, 1, v6
	v_and_b32_e32 v3, 0xfffff, v4
	v_add_nc_u32_e32 v4, v3, v7
                                        ; implicit-def: $vgpr3
	v_cmpx_ne_u32_e64 v5, v6
	s_xor_b32 s13, exec_lo, s13
; %bb.497:                              ;   in Loop: Header=BB6_130 Depth=2
	v_cmp_lt_u32_e32 vcc_lo, 0xffffff, v4
	v_sub_nc_u32_e32 v3, v5, v6
	v_cndmask_b32_e64 v5, 0, 1, vcc_lo
	v_add_co_ci_u32_e64 v3, null, 0, v3, vcc_lo
	v_lshrrev_b32_e32 v4, v5, v4
; %bb.498:                              ;   in Loop: Header=BB6_130 Depth=2
	s_andn2_saveexec_b32 s13, s13
; %bb.499:                              ;   in Loop: Header=BB6_130 Depth=2
	v_bfe_u32 v3, v4, 23, 1
; %bb.500:                              ;   in Loop: Header=BB6_130 Depth=2
	s_or_b32 exec_lo, exec_lo, s13
	v_lshrrev_b32_e32 v4, 20, v4
	v_min_i32_e32 v5, 15, v3
	v_cmp_gt_i32_e32 vcc_lo, 16, v3
	v_and_b32_sdwa v2, v2, v114 dst_sel:DWORD dst_unused:UNUSED_PAD src0_sel:BYTE_3 src1_sel:DWORD
	v_lshlrev_b32_e32 v5, 3, v5
	v_cndmask_b32_e32 v4, 7, v4, vcc_lo
	v_and_b32_e32 v5, 0xf8, v5
	v_and_b32_e32 v6, 7, v4
	v_or_b32_e32 v3, v3, v4
	v_or3_b32 v2, v2, v5, v6
	v_cmp_ne_u32_e32 vcc_lo, 0, v3
	v_lshlrev_b32_e32 v2, 8, v2
	v_cndmask_b32_e32 v98, 0, v2, vcc_lo
.LBB6_501:                              ;   in Loop: Header=BB6_130 Depth=2
	s_or_b32 exec_lo, exec_lo, s42
.LBB6_502:                              ;   in Loop: Header=BB6_130 Depth=2
	s_or_b32 exec_lo, exec_lo, s41
	v_and_b32_sdwa v3, v12, v117 dst_sel:DWORD dst_unused:UNUSED_PAD src0_sel:WORD_1 src1_sel:DWORD
	s_mov_b32 s13, 0
	s_mov_b32 s41, exec_lo
	v_cmpx_lt_i16_e32 0x7f, v3
	s_xor_b32 s41, exec_lo, s41
	s_cbranch_execz .LBB6_2364
; %bb.503:                              ;   in Loop: Header=BB6_130 Depth=2
	s_mov_b32 s13, -1
	s_mov_b32 s42, exec_lo
	v_cmpx_eq_u16_e32 0x80, v3
; %bb.504:                              ;   in Loop: Header=BB6_130 Depth=2
	s_xor_b32 s13, exec_lo, -1
; %bb.505:                              ;   in Loop: Header=BB6_130 Depth=2
	s_or_b32 exec_lo, exec_lo, s42
	s_and_b32 s13, s13, exec_lo
                                        ; implicit-def: $vgpr3
	s_or_saveexec_b32 s41, s41
	v_mov_b32_e32 v2, 0x7f800001
	s_xor_b32 exec_lo, exec_lo, s41
	s_cbranch_execnz .LBB6_2365
.LBB6_506:                              ;   in Loop: Header=BB6_130 Depth=2
	s_or_b32 exec_lo, exec_lo, s41
	s_and_saveexec_b32 s41, s13
	s_cbranch_execz .LBB6_508
.LBB6_507:                              ;   in Loop: Header=BB6_130 Depth=2
	v_bfe_u32 v2, v12, 16, 3
	v_bfe_u32 v5, v12, 19, 4
	v_lshlrev_b32_e32 v6, 8, v12
	v_ffbh_u32_e32 v3, v2
	v_cmp_eq_u32_e32 vcc_lo, 0, v5
	v_min_u32_e32 v3, 32, v3
	v_subrev_nc_u32_e32 v4, 28, v3
	v_sub_nc_u32_e32 v3, 29, v3
	v_lshlrev_b32_sdwa v4, v4, v12 dst_sel:DWORD dst_unused:UNUSED_PAD src0_sel:DWORD src1_sel:WORD_1
	v_cndmask_b32_e32 v3, v5, v3, vcc_lo
	v_and_b32_e32 v4, 7, v4
	v_lshl_add_u32 v3, v3, 23, 0x3b800000
	v_cndmask_b32_e32 v2, v2, v4, vcc_lo
	v_and_b32_e32 v4, 0x80000000, v6
	v_lshlrev_b32_e32 v2, 20, v2
	v_or3_b32 v2, v4, v3, v2
.LBB6_508:                              ;   in Loop: Header=BB6_130 Depth=2
	s_or_b32 exec_lo, exec_lo, s41
	v_mul_f32_e32 v2, s40, v2
	v_mov_b32_e32 v126, 0x80
	s_mov_b32 s41, exec_lo
	v_and_b32_e32 v3, 0x7f800000, v2
	v_cmpx_ne_u32_e32 0x7f800000, v3
	s_cbranch_execz .LBB6_516
; %bb.509:                              ;   in Loop: Header=BB6_130 Depth=2
	v_mov_b32_e32 v126, 0
	s_mov_b32 s42, exec_lo
	v_cmpx_ne_u32_e32 0, v2
	s_cbranch_execz .LBB6_515
; %bb.510:                              ;   in Loop: Header=BB6_130 Depth=2
	v_bfe_u32 v3, v2, 23, 8
	v_and_b32_e32 v4, 0x7fffff, v2
	v_sub_nc_u32_e32 v5, 0x78, v3
	v_cmp_gt_u32_e32 vcc_lo, 0x79, v3
	v_or_b32_e32 v6, 0x800000, v4
	v_cndmask_b32_e32 v5, 0, v5, vcc_lo
	v_cmp_eq_u32_e32 vcc_lo, 0, v3
	v_add_nc_u32_e32 v3, 0xffffff89, v3
	v_cndmask_b32_e64 v5, v5, 0x77, vcc_lo
	v_cndmask_b32_e32 v4, v6, v4, vcc_lo
	v_cndmask_b32_e64 v3, v3, 0xffffff8a, vcc_lo
	v_lshl_add_u32 v6, 0x100000, v5, -1
	v_lshrrev_b32_e32 v7, v5, v4
	v_lshlrev_b32_e64 v9, v5, 0x80000
	v_add_nc_u32_e32 v5, v5, v3
	v_and_b32_e32 v4, v6, v4
	v_bfe_u32 v8, v7, 20, 1
	v_cmp_eq_u32_e64 s13, v4, v9
	v_add_nc_u32_e32 v6, -1, v8
	v_cndmask_b32_e64 v4, 0, v6, s13
	v_lshrrev_b32_e32 v6, 23, v7
	s_mov_b32 s13, exec_lo
	v_add_nc_u32_e32 v4, v4, v7
	v_xor_b32_e32 v6, 1, v6
	v_and_b32_e32 v3, 0xfffff, v4
	v_add_nc_u32_e32 v4, v3, v7
                                        ; implicit-def: $vgpr3
	v_cmpx_ne_u32_e64 v5, v6
	s_xor_b32 s13, exec_lo, s13
; %bb.511:                              ;   in Loop: Header=BB6_130 Depth=2
	v_cmp_lt_u32_e32 vcc_lo, 0xffffff, v4
	v_sub_nc_u32_e32 v3, v5, v6
	v_cndmask_b32_e64 v5, 0, 1, vcc_lo
	v_add_co_ci_u32_e64 v3, null, 0, v3, vcc_lo
	v_lshrrev_b32_e32 v4, v5, v4
; %bb.512:                              ;   in Loop: Header=BB6_130 Depth=2
	s_andn2_saveexec_b32 s13, s13
; %bb.513:                              ;   in Loop: Header=BB6_130 Depth=2
	v_bfe_u32 v3, v4, 23, 1
; %bb.514:                              ;   in Loop: Header=BB6_130 Depth=2
	s_or_b32 exec_lo, exec_lo, s13
	v_lshrrev_b32_e32 v4, 20, v4
	v_min_i32_e32 v5, 15, v3
	v_cmp_gt_i32_e32 vcc_lo, 16, v3
	v_and_b32_sdwa v2, v2, v114 dst_sel:DWORD dst_unused:UNUSED_PAD src0_sel:BYTE_3 src1_sel:DWORD
	v_lshlrev_b32_e32 v5, 3, v5
	v_cndmask_b32_e32 v4, 7, v4, vcc_lo
	v_and_b32_e32 v5, 0xf8, v5
	v_and_b32_e32 v6, 7, v4
	v_or_b32_e32 v3, v3, v4
	v_or3_b32 v2, v5, v2, v6
	v_cmp_ne_u32_e32 vcc_lo, 0, v3
	v_cndmask_b32_e32 v126, 0, v2, vcc_lo
.LBB6_515:                              ;   in Loop: Header=BB6_130 Depth=2
	s_or_b32 exec_lo, exec_lo, s42
.LBB6_516:                              ;   in Loop: Header=BB6_130 Depth=2
	s_or_b32 exec_lo, exec_lo, s41
	v_cmp_gt_i16_sdwa s41, v12, v113 src0_sel:BYTE_3 src1_sel:DWORD
	s_mov_b32 s13, 0
	s_and_saveexec_b32 s42, s41
	s_xor_b32 s41, exec_lo, s42
	s_cbranch_execz .LBB6_2366
; %bb.517:                              ;   in Loop: Header=BB6_130 Depth=2
	v_cmp_eq_u16_sdwa s43, v12, v114 src0_sel:BYTE_3 src1_sel:DWORD
	s_mov_b32 s13, -1
	s_and_saveexec_b32 s42, s43
; %bb.518:                              ;   in Loop: Header=BB6_130 Depth=2
	s_xor_b32 s13, exec_lo, -1
; %bb.519:                              ;   in Loop: Header=BB6_130 Depth=2
	s_or_b32 exec_lo, exec_lo, s42
	s_and_b32 s13, s13, exec_lo
	s_or_saveexec_b32 s41, s41
	v_mov_b32_e32 v2, 0x7f800001
	s_xor_b32 exec_lo, exec_lo, s41
	s_cbranch_execnz .LBB6_2367
.LBB6_520:                              ;   in Loop: Header=BB6_130 Depth=2
	s_or_b32 exec_lo, exec_lo, s41
	s_and_saveexec_b32 s41, s13
	s_cbranch_execz .LBB6_522
.LBB6_521:                              ;   in Loop: Header=BB6_130 Depth=2
	v_bfe_u32 v2, v12, 24, 3
	v_bfe_u32 v5, v12, 27, 4
	v_ffbh_u32_e32 v3, v2
	v_cmp_eq_u32_e32 vcc_lo, 0, v5
	v_min_u32_e32 v3, 32, v3
	v_subrev_nc_u32_e32 v4, 28, v3
	v_sub_nc_u32_e32 v3, 29, v3
	v_lshlrev_b32_sdwa v4, v4, v12 dst_sel:DWORD dst_unused:UNUSED_PAD src0_sel:DWORD src1_sel:BYTE_3
	v_cndmask_b32_e32 v3, v5, v3, vcc_lo
	v_and_b32_e32 v4, 7, v4
	v_lshl_add_u32 v3, v3, 23, 0x3b800000
	v_cndmask_b32_e32 v2, v2, v4, vcc_lo
	v_and_b32_e32 v4, 0x80000000, v12
	v_lshlrev_b32_e32 v2, 20, v2
	v_or3_b32 v2, v4, v3, v2
.LBB6_522:                              ;   in Loop: Header=BB6_130 Depth=2
	s_or_b32 exec_lo, exec_lo, s41
	v_mul_f32_e32 v2, s40, v2
	v_mov_b32_e32 v87, 0x8000
	s_mov_b32 s41, exec_lo
	v_and_b32_e32 v3, 0x7f800000, v2
	v_cmpx_ne_u32_e32 0x7f800000, v3
	s_cbranch_execz .LBB6_530
; %bb.523:                              ;   in Loop: Header=BB6_130 Depth=2
	v_mov_b32_e32 v87, 0
	s_mov_b32 s42, exec_lo
	v_cmpx_ne_u32_e32 0, v2
	s_cbranch_execz .LBB6_529
; %bb.524:                              ;   in Loop: Header=BB6_130 Depth=2
	v_bfe_u32 v3, v2, 23, 8
	v_and_b32_e32 v4, 0x7fffff, v2
	v_sub_nc_u32_e32 v5, 0x78, v3
	v_cmp_gt_u32_e32 vcc_lo, 0x79, v3
	v_or_b32_e32 v6, 0x800000, v4
	v_cndmask_b32_e32 v5, 0, v5, vcc_lo
	v_cmp_eq_u32_e32 vcc_lo, 0, v3
	v_add_nc_u32_e32 v3, 0xffffff89, v3
	v_cndmask_b32_e64 v5, v5, 0x77, vcc_lo
	v_cndmask_b32_e32 v4, v6, v4, vcc_lo
	v_cndmask_b32_e64 v3, v3, 0xffffff8a, vcc_lo
	v_lshl_add_u32 v6, 0x100000, v5, -1
	v_lshrrev_b32_e32 v7, v5, v4
	v_lshlrev_b32_e64 v9, v5, 0x80000
	v_add_nc_u32_e32 v5, v5, v3
	v_and_b32_e32 v4, v6, v4
	v_bfe_u32 v8, v7, 20, 1
	v_cmp_eq_u32_e64 s13, v4, v9
	v_add_nc_u32_e32 v6, -1, v8
	v_cndmask_b32_e64 v4, 0, v6, s13
	v_lshrrev_b32_e32 v6, 23, v7
	s_mov_b32 s13, exec_lo
	v_add_nc_u32_e32 v4, v4, v7
	v_xor_b32_e32 v6, 1, v6
	v_and_b32_e32 v3, 0xfffff, v4
	v_add_nc_u32_e32 v4, v3, v7
                                        ; implicit-def: $vgpr3
	v_cmpx_ne_u32_e64 v5, v6
	s_xor_b32 s13, exec_lo, s13
; %bb.525:                              ;   in Loop: Header=BB6_130 Depth=2
	v_cmp_lt_u32_e32 vcc_lo, 0xffffff, v4
	v_sub_nc_u32_e32 v3, v5, v6
	v_cndmask_b32_e64 v5, 0, 1, vcc_lo
	v_add_co_ci_u32_e64 v3, null, 0, v3, vcc_lo
	v_lshrrev_b32_e32 v4, v5, v4
; %bb.526:                              ;   in Loop: Header=BB6_130 Depth=2
	s_andn2_saveexec_b32 s13, s13
; %bb.527:                              ;   in Loop: Header=BB6_130 Depth=2
	v_bfe_u32 v3, v4, 23, 1
; %bb.528:                              ;   in Loop: Header=BB6_130 Depth=2
	s_or_b32 exec_lo, exec_lo, s13
	v_lshrrev_b32_e32 v4, 20, v4
	v_min_i32_e32 v5, 15, v3
	v_cmp_gt_i32_e32 vcc_lo, 16, v3
	v_and_b32_sdwa v2, v2, v114 dst_sel:DWORD dst_unused:UNUSED_PAD src0_sel:BYTE_3 src1_sel:DWORD
	v_lshlrev_b32_e32 v5, 3, v5
	v_cndmask_b32_e32 v4, 7, v4, vcc_lo
	v_and_b32_e32 v5, 0xf8, v5
	v_and_b32_e32 v6, 7, v4
	v_or_b32_e32 v3, v3, v4
	v_or3_b32 v2, v2, v5, v6
	v_cmp_ne_u32_e32 vcc_lo, 0, v3
	v_lshlrev_b32_e32 v2, 8, v2
	v_cndmask_b32_e32 v87, 0, v2, vcc_lo
.LBB6_529:                              ;   in Loop: Header=BB6_130 Depth=2
	s_or_b32 exec_lo, exec_lo, s42
.LBB6_530:                              ;   in Loop: Header=BB6_130 Depth=2
	s_or_b32 exec_lo, exec_lo, s41
	v_cmp_gt_i16_sdwa s41, v13, v113 src0_sel:BYTE_0 src1_sel:DWORD
	s_mov_b32 s13, 0
	s_and_saveexec_b32 s42, s41
	s_xor_b32 s41, exec_lo, s42
	s_cbranch_execz .LBB6_2368
; %bb.531:                              ;   in Loop: Header=BB6_130 Depth=2
	v_cmp_eq_u16_sdwa s43, v13, v114 src0_sel:BYTE_0 src1_sel:DWORD
	s_mov_b32 s13, -1
	s_and_saveexec_b32 s42, s43
; %bb.532:                              ;   in Loop: Header=BB6_130 Depth=2
	s_xor_b32 s13, exec_lo, -1
; %bb.533:                              ;   in Loop: Header=BB6_130 Depth=2
	s_or_b32 exec_lo, exec_lo, s42
	s_and_b32 s13, s13, exec_lo
	s_or_saveexec_b32 s41, s41
	v_mov_b32_e32 v2, 0x7f800001
	s_xor_b32 exec_lo, exec_lo, s41
	s_cbranch_execnz .LBB6_2369
.LBB6_534:                              ;   in Loop: Header=BB6_130 Depth=2
	s_or_b32 exec_lo, exec_lo, s41
	s_and_saveexec_b32 s41, s13
	s_cbranch_execz .LBB6_536
.LBB6_535:                              ;   in Loop: Header=BB6_130 Depth=2
	v_and_b32_e32 v2, 7, v13
	v_bfe_u32 v5, v13, 3, 4
	v_lshlrev_b32_e32 v6, 24, v13
	v_ffbh_u32_e32 v3, v2
	v_cmp_eq_u32_e32 vcc_lo, 0, v5
	v_min_u32_e32 v3, 32, v3
	v_subrev_nc_u32_e32 v4, 28, v3
	v_sub_nc_u32_e32 v3, 29, v3
	v_lshlrev_b32_e32 v4, v4, v13
	v_cndmask_b32_e32 v3, v5, v3, vcc_lo
	v_and_b32_e32 v4, 7, v4
	v_lshl_add_u32 v3, v3, 23, 0x3b800000
	v_cndmask_b32_e32 v2, v2, v4, vcc_lo
	v_and_b32_e32 v4, 0x80000000, v6
	v_lshlrev_b32_e32 v2, 20, v2
	v_or3_b32 v2, v4, v3, v2
.LBB6_536:                              ;   in Loop: Header=BB6_130 Depth=2
	s_or_b32 exec_lo, exec_lo, s41
	v_mul_f32_e32 v2, s40, v2
	v_and_b32_e32 v3, 0x7f800000, v2
	v_cmp_ne_u32_e32 vcc_lo, 0x7f800000, v3
	v_mov_b32_e32 v3, 0x80
	s_and_saveexec_b32 s41, vcc_lo
	s_cbranch_execz .LBB6_544
; %bb.537:                              ;   in Loop: Header=BB6_130 Depth=2
	v_mov_b32_e32 v3, 0
	s_mov_b32 s42, exec_lo
	v_cmpx_ne_u32_e32 0, v2
	s_cbranch_execz .LBB6_543
; %bb.538:                              ;   in Loop: Header=BB6_130 Depth=2
	v_bfe_u32 v3, v2, 23, 8
	v_and_b32_e32 v4, 0x7fffff, v2
	v_sub_nc_u32_e32 v5, 0x78, v3
	v_cmp_gt_u32_e32 vcc_lo, 0x79, v3
	v_or_b32_e32 v6, 0x800000, v4
	v_cndmask_b32_e32 v5, 0, v5, vcc_lo
	v_cmp_eq_u32_e32 vcc_lo, 0, v3
	v_add_nc_u32_e32 v3, 0xffffff89, v3
	v_cndmask_b32_e64 v5, v5, 0x77, vcc_lo
	v_cndmask_b32_e32 v4, v6, v4, vcc_lo
	v_cndmask_b32_e64 v3, v3, 0xffffff8a, vcc_lo
	v_lshl_add_u32 v6, 0x100000, v5, -1
	v_lshrrev_b32_e32 v7, v5, v4
	v_lshlrev_b32_e64 v9, v5, 0x80000
	v_add_nc_u32_e32 v5, v5, v3
	v_and_b32_e32 v4, v6, v4
	v_bfe_u32 v8, v7, 20, 1
	v_cmp_eq_u32_e64 s13, v4, v9
	v_add_nc_u32_e32 v6, -1, v8
	v_cndmask_b32_e64 v4, 0, v6, s13
	v_lshrrev_b32_e32 v6, 23, v7
	s_mov_b32 s13, exec_lo
	v_add_nc_u32_e32 v4, v4, v7
	v_xor_b32_e32 v6, 1, v6
	v_and_b32_e32 v3, 0xfffff, v4
	v_add_nc_u32_e32 v4, v3, v7
                                        ; implicit-def: $vgpr3
	v_cmpx_ne_u32_e64 v5, v6
	s_xor_b32 s13, exec_lo, s13
; %bb.539:                              ;   in Loop: Header=BB6_130 Depth=2
	v_cmp_lt_u32_e32 vcc_lo, 0xffffff, v4
	v_sub_nc_u32_e32 v3, v5, v6
	v_cndmask_b32_e64 v5, 0, 1, vcc_lo
	v_add_co_ci_u32_e64 v3, null, 0, v3, vcc_lo
	v_lshrrev_b32_e32 v4, v5, v4
; %bb.540:                              ;   in Loop: Header=BB6_130 Depth=2
	s_andn2_saveexec_b32 s13, s13
; %bb.541:                              ;   in Loop: Header=BB6_130 Depth=2
	v_bfe_u32 v3, v4, 23, 1
; %bb.542:                              ;   in Loop: Header=BB6_130 Depth=2
	s_or_b32 exec_lo, exec_lo, s13
	v_lshrrev_b32_e32 v4, 20, v4
	v_min_i32_e32 v5, 15, v3
	v_cmp_gt_i32_e32 vcc_lo, 16, v3
	v_and_b32_sdwa v2, v2, v114 dst_sel:DWORD dst_unused:UNUSED_PAD src0_sel:BYTE_3 src1_sel:DWORD
	v_lshlrev_b32_e32 v5, 3, v5
	v_cndmask_b32_e32 v4, 7, v4, vcc_lo
	v_and_b32_e32 v5, 0xf8, v5
	v_and_b32_e32 v6, 7, v4
	v_or_b32_e32 v3, v3, v4
	v_or3_b32 v2, v5, v2, v6
	v_cmp_ne_u32_e32 vcc_lo, 0, v3
	v_cndmask_b32_e32 v3, 0, v2, vcc_lo
.LBB6_543:                              ;   in Loop: Header=BB6_130 Depth=2
	s_or_b32 exec_lo, exec_lo, s42
.LBB6_544:                              ;   in Loop: Header=BB6_130 Depth=2
	s_or_b32 exec_lo, exec_lo, s41
	v_cmp_gt_i16_sdwa s41, v13, v113 src0_sel:BYTE_1 src1_sel:DWORD
	s_mov_b32 s13, 0
	s_and_saveexec_b32 s42, s41
	s_xor_b32 s41, exec_lo, s42
	s_cbranch_execz .LBB6_2370
; %bb.545:                              ;   in Loop: Header=BB6_130 Depth=2
	v_cmp_eq_u16_sdwa s43, v13, v114 src0_sel:BYTE_1 src1_sel:DWORD
	s_mov_b32 s13, -1
	s_and_saveexec_b32 s42, s43
; %bb.546:                              ;   in Loop: Header=BB6_130 Depth=2
	s_xor_b32 s13, exec_lo, -1
; %bb.547:                              ;   in Loop: Header=BB6_130 Depth=2
	s_or_b32 exec_lo, exec_lo, s42
	s_and_b32 s13, s13, exec_lo
	s_or_saveexec_b32 s41, s41
	v_mov_b32_e32 v2, 0x7f800001
	s_xor_b32 exec_lo, exec_lo, s41
	s_cbranch_execnz .LBB6_2371
.LBB6_548:                              ;   in Loop: Header=BB6_130 Depth=2
	s_or_b32 exec_lo, exec_lo, s41
	s_and_saveexec_b32 s41, s13
	s_cbranch_execz .LBB6_550
.LBB6_549:                              ;   in Loop: Header=BB6_130 Depth=2
	v_and_b32_sdwa v2, v115, v13 dst_sel:DWORD dst_unused:UNUSED_PAD src0_sel:DWORD src1_sel:BYTE_1
	v_and_b32_e32 v4, 7, v2
	v_bfe_u32 v7, v2, 3, 4
	v_ffbh_u32_e32 v5, v4
	v_cmp_eq_u32_e32 vcc_lo, 0, v7
	v_min_u32_e32 v5, 32, v5
	v_subrev_nc_u32_e32 v6, 28, v5
	v_sub_nc_u32_e32 v5, 29, v5
	v_lshlrev_b32_e32 v2, v6, v2
	v_lshlrev_b32_sdwa v6, v116, v13 dst_sel:DWORD dst_unused:UNUSED_PAD src0_sel:DWORD src1_sel:BYTE_1
	v_cndmask_b32_e32 v5, v7, v5, vcc_lo
	v_and_b32_e32 v2, 7, v2
	v_lshl_add_u32 v5, v5, 23, 0x3b800000
	v_cndmask_b32_e32 v2, v4, v2, vcc_lo
	v_and_b32_e32 v4, 0x80000000, v6
	v_lshlrev_b32_e32 v2, 20, v2
	v_or3_b32 v2, v4, v5, v2
.LBB6_550:                              ;   in Loop: Header=BB6_130 Depth=2
	s_or_b32 exec_lo, exec_lo, s41
	v_mul_f32_e32 v2, s40, v2
	v_mov_b32_e32 v125, 0x8000
	s_mov_b32 s41, exec_lo
	v_and_b32_e32 v4, 0x7f800000, v2
	v_cmpx_ne_u32_e32 0x7f800000, v4
	s_cbranch_execz .LBB6_558
; %bb.551:                              ;   in Loop: Header=BB6_130 Depth=2
	v_mov_b32_e32 v125, 0
	s_mov_b32 s42, exec_lo
	v_cmpx_ne_u32_e32 0, v2
	s_cbranch_execz .LBB6_557
; %bb.552:                              ;   in Loop: Header=BB6_130 Depth=2
	v_bfe_u32 v4, v2, 23, 8
	v_and_b32_e32 v5, 0x7fffff, v2
	v_sub_nc_u32_e32 v6, 0x78, v4
	v_cmp_gt_u32_e32 vcc_lo, 0x79, v4
	v_or_b32_e32 v7, 0x800000, v5
	v_cndmask_b32_e32 v6, 0, v6, vcc_lo
	v_cmp_eq_u32_e32 vcc_lo, 0, v4
	v_add_nc_u32_e32 v4, 0xffffff89, v4
	v_cndmask_b32_e64 v6, v6, 0x77, vcc_lo
	v_cndmask_b32_e32 v5, v7, v5, vcc_lo
	v_cndmask_b32_e64 v4, v4, 0xffffff8a, vcc_lo
	v_lshl_add_u32 v7, 0x100000, v6, -1
	v_lshrrev_b32_e32 v8, v6, v5
	v_lshlrev_b32_e64 v10, v6, 0x80000
	v_add_nc_u32_e32 v6, v6, v4
	v_and_b32_e32 v5, v7, v5
	v_bfe_u32 v9, v8, 20, 1
	v_cmp_eq_u32_e64 s13, v5, v10
	v_add_nc_u32_e32 v7, -1, v9
	v_cndmask_b32_e64 v5, 0, v7, s13
	v_lshrrev_b32_e32 v7, 23, v8
	s_mov_b32 s13, exec_lo
	v_add_nc_u32_e32 v5, v5, v8
	v_xor_b32_e32 v7, 1, v7
	v_and_b32_e32 v4, 0xfffff, v5
	v_add_nc_u32_e32 v5, v4, v8
                                        ; implicit-def: $vgpr4
	v_cmpx_ne_u32_e64 v6, v7
	s_xor_b32 s13, exec_lo, s13
; %bb.553:                              ;   in Loop: Header=BB6_130 Depth=2
	v_cmp_lt_u32_e32 vcc_lo, 0xffffff, v5
	v_sub_nc_u32_e32 v4, v6, v7
	v_cndmask_b32_e64 v6, 0, 1, vcc_lo
	v_add_co_ci_u32_e64 v4, null, 0, v4, vcc_lo
	v_lshrrev_b32_e32 v5, v6, v5
; %bb.554:                              ;   in Loop: Header=BB6_130 Depth=2
	s_andn2_saveexec_b32 s13, s13
; %bb.555:                              ;   in Loop: Header=BB6_130 Depth=2
	v_bfe_u32 v4, v5, 23, 1
; %bb.556:                              ;   in Loop: Header=BB6_130 Depth=2
	s_or_b32 exec_lo, exec_lo, s13
	v_lshrrev_b32_e32 v5, 20, v5
	v_min_i32_e32 v6, 15, v4
	v_cmp_gt_i32_e32 vcc_lo, 16, v4
	v_and_b32_sdwa v2, v2, v114 dst_sel:DWORD dst_unused:UNUSED_PAD src0_sel:BYTE_3 src1_sel:DWORD
	v_lshlrev_b32_e32 v6, 3, v6
	v_cndmask_b32_e32 v5, 7, v5, vcc_lo
	v_and_b32_e32 v6, 0xf8, v6
	v_and_b32_e32 v7, 7, v5
	v_or_b32_e32 v4, v4, v5
	v_or3_b32 v2, v2, v6, v7
	v_cmp_ne_u32_e32 vcc_lo, 0, v4
	v_lshlrev_b32_e32 v2, 8, v2
	v_cndmask_b32_e32 v125, 0, v2, vcc_lo
.LBB6_557:                              ;   in Loop: Header=BB6_130 Depth=2
	s_or_b32 exec_lo, exec_lo, s42
.LBB6_558:                              ;   in Loop: Header=BB6_130 Depth=2
	s_or_b32 exec_lo, exec_lo, s41
	v_and_b32_sdwa v4, v13, v117 dst_sel:DWORD dst_unused:UNUSED_PAD src0_sel:WORD_1 src1_sel:DWORD
	s_mov_b32 s13, 0
	s_mov_b32 s41, exec_lo
	v_cmpx_lt_i16_e32 0x7f, v4
	s_xor_b32 s41, exec_lo, s41
	s_cbranch_execz .LBB6_2372
; %bb.559:                              ;   in Loop: Header=BB6_130 Depth=2
	s_mov_b32 s13, -1
	s_mov_b32 s42, exec_lo
	v_cmpx_eq_u16_e32 0x80, v4
; %bb.560:                              ;   in Loop: Header=BB6_130 Depth=2
	s_xor_b32 s13, exec_lo, -1
; %bb.561:                              ;   in Loop: Header=BB6_130 Depth=2
	s_or_b32 exec_lo, exec_lo, s42
	s_and_b32 s13, s13, exec_lo
                                        ; implicit-def: $vgpr4
	s_or_saveexec_b32 s41, s41
	v_mov_b32_e32 v2, 0x7f800001
	s_xor_b32 exec_lo, exec_lo, s41
	s_cbranch_execnz .LBB6_2373
.LBB6_562:                              ;   in Loop: Header=BB6_130 Depth=2
	s_or_b32 exec_lo, exec_lo, s41
	s_and_saveexec_b32 s41, s13
	s_cbranch_execz .LBB6_564
.LBB6_563:                              ;   in Loop: Header=BB6_130 Depth=2
	v_bfe_u32 v2, v13, 16, 3
	v_bfe_u32 v6, v13, 19, 4
	v_lshlrev_b32_e32 v7, 8, v13
	v_ffbh_u32_e32 v4, v2
	v_cmp_eq_u32_e32 vcc_lo, 0, v6
	v_min_u32_e32 v4, 32, v4
	v_subrev_nc_u32_e32 v5, 28, v4
	v_sub_nc_u32_e32 v4, 29, v4
	v_lshlrev_b32_sdwa v5, v5, v13 dst_sel:DWORD dst_unused:UNUSED_PAD src0_sel:DWORD src1_sel:WORD_1
	v_cndmask_b32_e32 v4, v6, v4, vcc_lo
	v_and_b32_e32 v5, 7, v5
	v_lshl_add_u32 v4, v4, 23, 0x3b800000
	v_cndmask_b32_e32 v2, v2, v5, vcc_lo
	v_and_b32_e32 v5, 0x80000000, v7
	v_lshlrev_b32_e32 v2, 20, v2
	v_or3_b32 v2, v5, v4, v2
.LBB6_564:                              ;   in Loop: Header=BB6_130 Depth=2
	s_or_b32 exec_lo, exec_lo, s41
	v_mul_f32_e32 v2, s40, v2
	v_mov_b32_e32 v123, 0x80
	s_mov_b32 s41, exec_lo
	v_and_b32_e32 v4, 0x7f800000, v2
	v_cmpx_ne_u32_e32 0x7f800000, v4
	s_cbranch_execz .LBB6_572
; %bb.565:                              ;   in Loop: Header=BB6_130 Depth=2
	v_mov_b32_e32 v123, 0
	s_mov_b32 s42, exec_lo
	v_cmpx_ne_u32_e32 0, v2
	s_cbranch_execz .LBB6_571
; %bb.566:                              ;   in Loop: Header=BB6_130 Depth=2
	v_bfe_u32 v4, v2, 23, 8
	v_and_b32_e32 v5, 0x7fffff, v2
	v_sub_nc_u32_e32 v6, 0x78, v4
	v_cmp_gt_u32_e32 vcc_lo, 0x79, v4
	v_or_b32_e32 v7, 0x800000, v5
	v_cndmask_b32_e32 v6, 0, v6, vcc_lo
	v_cmp_eq_u32_e32 vcc_lo, 0, v4
	v_add_nc_u32_e32 v4, 0xffffff89, v4
	v_cndmask_b32_e64 v6, v6, 0x77, vcc_lo
	v_cndmask_b32_e32 v5, v7, v5, vcc_lo
	v_cndmask_b32_e64 v4, v4, 0xffffff8a, vcc_lo
	v_lshl_add_u32 v7, 0x100000, v6, -1
	v_lshrrev_b32_e32 v8, v6, v5
	v_lshlrev_b32_e64 v10, v6, 0x80000
	v_add_nc_u32_e32 v6, v6, v4
	v_and_b32_e32 v5, v7, v5
	v_bfe_u32 v9, v8, 20, 1
	v_cmp_eq_u32_e64 s13, v5, v10
	v_add_nc_u32_e32 v7, -1, v9
	v_cndmask_b32_e64 v5, 0, v7, s13
	v_lshrrev_b32_e32 v7, 23, v8
	s_mov_b32 s13, exec_lo
	v_add_nc_u32_e32 v5, v5, v8
	v_xor_b32_e32 v7, 1, v7
	v_and_b32_e32 v4, 0xfffff, v5
	v_add_nc_u32_e32 v5, v4, v8
                                        ; implicit-def: $vgpr4
	v_cmpx_ne_u32_e64 v6, v7
	s_xor_b32 s13, exec_lo, s13
; %bb.567:                              ;   in Loop: Header=BB6_130 Depth=2
	v_cmp_lt_u32_e32 vcc_lo, 0xffffff, v5
	v_sub_nc_u32_e32 v4, v6, v7
	v_cndmask_b32_e64 v6, 0, 1, vcc_lo
	v_add_co_ci_u32_e64 v4, null, 0, v4, vcc_lo
	v_lshrrev_b32_e32 v5, v6, v5
; %bb.568:                              ;   in Loop: Header=BB6_130 Depth=2
	s_andn2_saveexec_b32 s13, s13
; %bb.569:                              ;   in Loop: Header=BB6_130 Depth=2
	v_bfe_u32 v4, v5, 23, 1
; %bb.570:                              ;   in Loop: Header=BB6_130 Depth=2
	s_or_b32 exec_lo, exec_lo, s13
	v_lshrrev_b32_e32 v5, 20, v5
	v_min_i32_e32 v6, 15, v4
	v_cmp_gt_i32_e32 vcc_lo, 16, v4
	v_and_b32_sdwa v2, v2, v114 dst_sel:DWORD dst_unused:UNUSED_PAD src0_sel:BYTE_3 src1_sel:DWORD
	v_lshlrev_b32_e32 v6, 3, v6
	v_cndmask_b32_e32 v5, 7, v5, vcc_lo
	v_and_b32_e32 v6, 0xf8, v6
	v_and_b32_e32 v7, 7, v5
	v_or_b32_e32 v4, v4, v5
	v_or3_b32 v2, v6, v2, v7
	v_cmp_ne_u32_e32 vcc_lo, 0, v4
	v_cndmask_b32_e32 v123, 0, v2, vcc_lo
.LBB6_571:                              ;   in Loop: Header=BB6_130 Depth=2
	s_or_b32 exec_lo, exec_lo, s42
.LBB6_572:                              ;   in Loop: Header=BB6_130 Depth=2
	s_or_b32 exec_lo, exec_lo, s41
	v_cmp_gt_i16_sdwa s41, v13, v113 src0_sel:BYTE_3 src1_sel:DWORD
	s_mov_b32 s13, 0
	s_and_saveexec_b32 s42, s41
	s_xor_b32 s41, exec_lo, s42
	s_cbranch_execz .LBB6_2374
; %bb.573:                              ;   in Loop: Header=BB6_130 Depth=2
	v_cmp_eq_u16_sdwa s43, v13, v114 src0_sel:BYTE_3 src1_sel:DWORD
	s_mov_b32 s13, -1
	s_and_saveexec_b32 s42, s43
; %bb.574:                              ;   in Loop: Header=BB6_130 Depth=2
	s_xor_b32 s13, exec_lo, -1
; %bb.575:                              ;   in Loop: Header=BB6_130 Depth=2
	s_or_b32 exec_lo, exec_lo, s42
	s_and_b32 s13, s13, exec_lo
	s_or_saveexec_b32 s41, s41
	v_mov_b32_e32 v2, 0x7f800001
	s_xor_b32 exec_lo, exec_lo, s41
	s_cbranch_execnz .LBB6_2375
.LBB6_576:                              ;   in Loop: Header=BB6_130 Depth=2
	s_or_b32 exec_lo, exec_lo, s41
	s_and_saveexec_b32 s41, s13
	s_cbranch_execz .LBB6_578
.LBB6_577:                              ;   in Loop: Header=BB6_130 Depth=2
	v_bfe_u32 v2, v13, 24, 3
	v_bfe_u32 v6, v13, 27, 4
	v_ffbh_u32_e32 v4, v2
	v_cmp_eq_u32_e32 vcc_lo, 0, v6
	v_min_u32_e32 v4, 32, v4
	v_subrev_nc_u32_e32 v5, 28, v4
	v_sub_nc_u32_e32 v4, 29, v4
	v_lshlrev_b32_sdwa v5, v5, v13 dst_sel:DWORD dst_unused:UNUSED_PAD src0_sel:DWORD src1_sel:BYTE_3
	v_cndmask_b32_e32 v4, v6, v4, vcc_lo
	v_and_b32_e32 v5, 7, v5
	v_lshl_add_u32 v4, v4, 23, 0x3b800000
	v_cndmask_b32_e32 v2, v2, v5, vcc_lo
	v_and_b32_e32 v5, 0x80000000, v13
	v_lshlrev_b32_e32 v2, 20, v2
	v_or3_b32 v2, v5, v4, v2
.LBB6_578:                              ;   in Loop: Header=BB6_130 Depth=2
	s_or_b32 exec_lo, exec_lo, s41
	v_mul_f32_e32 v4, s40, v2
	v_and_b32_e32 v2, 0x7f800000, v4
	v_cmp_ne_u32_e32 vcc_lo, 0x7f800000, v2
	v_mov_b32_e32 v2, 0x8000
	s_and_saveexec_b32 s41, vcc_lo
	s_cbranch_execz .LBB6_586
; %bb.579:                              ;   in Loop: Header=BB6_130 Depth=2
	v_mov_b32_e32 v2, 0
	s_mov_b32 s42, exec_lo
	v_cmpx_ne_u32_e32 0, v4
	s_cbranch_execz .LBB6_585
; %bb.580:                              ;   in Loop: Header=BB6_130 Depth=2
	v_bfe_u32 v2, v4, 23, 8
	v_and_b32_e32 v5, 0x7fffff, v4
	v_sub_nc_u32_e32 v6, 0x78, v2
	v_cmp_gt_u32_e32 vcc_lo, 0x79, v2
	v_or_b32_e32 v7, 0x800000, v5
	v_cndmask_b32_e32 v6, 0, v6, vcc_lo
	v_cmp_eq_u32_e32 vcc_lo, 0, v2
	v_add_nc_u32_e32 v2, 0xffffff89, v2
	v_cndmask_b32_e64 v6, v6, 0x77, vcc_lo
	v_cndmask_b32_e32 v5, v7, v5, vcc_lo
	v_cndmask_b32_e64 v2, v2, 0xffffff8a, vcc_lo
	v_lshl_add_u32 v7, 0x100000, v6, -1
	v_lshrrev_b32_e32 v8, v6, v5
	v_lshlrev_b32_e64 v10, v6, 0x80000
	v_add_nc_u32_e32 v6, v6, v2
	v_and_b32_e32 v5, v7, v5
	v_bfe_u32 v9, v8, 20, 1
	v_cmp_eq_u32_e64 s13, v5, v10
	v_add_nc_u32_e32 v7, -1, v9
	v_cndmask_b32_e64 v5, 0, v7, s13
	v_lshrrev_b32_e32 v7, 23, v8
	s_mov_b32 s13, exec_lo
	v_add_nc_u32_e32 v5, v5, v8
	v_xor_b32_e32 v7, 1, v7
	v_and_b32_e32 v2, 0xfffff, v5
	v_add_nc_u32_e32 v5, v2, v8
                                        ; implicit-def: $vgpr2
	v_cmpx_ne_u32_e64 v6, v7
	s_xor_b32 s13, exec_lo, s13
; %bb.581:                              ;   in Loop: Header=BB6_130 Depth=2
	v_cmp_lt_u32_e32 vcc_lo, 0xffffff, v5
	v_sub_nc_u32_e32 v2, v6, v7
	v_cndmask_b32_e64 v6, 0, 1, vcc_lo
	v_add_co_ci_u32_e64 v2, null, 0, v2, vcc_lo
	v_lshrrev_b32_e32 v5, v6, v5
; %bb.582:                              ;   in Loop: Header=BB6_130 Depth=2
	s_andn2_saveexec_b32 s13, s13
; %bb.583:                              ;   in Loop: Header=BB6_130 Depth=2
	v_bfe_u32 v2, v5, 23, 1
; %bb.584:                              ;   in Loop: Header=BB6_130 Depth=2
	s_or_b32 exec_lo, exec_lo, s13
	v_lshrrev_b32_e32 v5, 20, v5
	v_min_i32_e32 v6, 15, v2
	v_cmp_gt_i32_e32 vcc_lo, 16, v2
	v_and_b32_sdwa v4, v4, v114 dst_sel:DWORD dst_unused:UNUSED_PAD src0_sel:BYTE_3 src1_sel:DWORD
	v_lshlrev_b32_e32 v6, 3, v6
	v_cndmask_b32_e32 v5, 7, v5, vcc_lo
	v_and_b32_e32 v6, 0xf8, v6
	v_and_b32_e32 v7, 7, v5
	v_or_b32_e32 v2, v2, v5
	v_or3_b32 v4, v4, v6, v7
	v_cmp_ne_u32_e32 vcc_lo, 0, v2
	v_lshlrev_b32_e32 v4, 8, v4
	v_cndmask_b32_e32 v2, 0, v4, vcc_lo
.LBB6_585:                              ;   in Loop: Header=BB6_130 Depth=2
	s_or_b32 exec_lo, exec_lo, s42
.LBB6_586:                              ;   in Loop: Header=BB6_130 Depth=2
	s_or_b32 exec_lo, exec_lo, s41
	global_load_dwordx4 v[10:13], v[70:71], off offset:1024 slc
	s_mov_b32 s13, 0
	s_waitcnt vmcnt(0)
	v_cmp_gt_i16_sdwa s41, v10, v113 src0_sel:BYTE_0 src1_sel:DWORD
	s_and_saveexec_b32 s42, s41
	s_xor_b32 s41, exec_lo, s42
	s_cbranch_execz .LBB6_2376
; %bb.587:                              ;   in Loop: Header=BB6_130 Depth=2
	v_cmp_eq_u16_sdwa s43, v10, v114 src0_sel:BYTE_0 src1_sel:DWORD
	s_mov_b32 s13, -1
	s_and_saveexec_b32 s42, s43
; %bb.588:                              ;   in Loop: Header=BB6_130 Depth=2
	s_xor_b32 s13, exec_lo, -1
; %bb.589:                              ;   in Loop: Header=BB6_130 Depth=2
	s_or_b32 exec_lo, exec_lo, s42
	s_and_b32 s13, s13, exec_lo
	s_or_saveexec_b32 s41, s41
	v_mov_b32_e32 v4, 0x7f800001
	s_xor_b32 exec_lo, exec_lo, s41
	s_cbranch_execnz .LBB6_2377
.LBB6_590:                              ;   in Loop: Header=BB6_130 Depth=2
	s_or_b32 exec_lo, exec_lo, s41
	s_and_saveexec_b32 s41, s13
	s_cbranch_execz .LBB6_592
.LBB6_591:                              ;   in Loop: Header=BB6_130 Depth=2
	v_and_b32_e32 v4, 7, v10
	v_bfe_u32 v7, v10, 3, 4
	v_lshlrev_b32_e32 v8, 24, v10
	v_ffbh_u32_e32 v5, v4
	v_cmp_eq_u32_e32 vcc_lo, 0, v7
	v_min_u32_e32 v5, 32, v5
	v_subrev_nc_u32_e32 v6, 28, v5
	v_sub_nc_u32_e32 v5, 29, v5
	v_lshlrev_b32_e32 v6, v6, v10
	v_cndmask_b32_e32 v5, v7, v5, vcc_lo
	v_and_b32_e32 v6, 7, v6
	v_lshl_add_u32 v5, v5, 23, 0x3b800000
	v_cndmask_b32_e32 v4, v4, v6, vcc_lo
	v_and_b32_e32 v6, 0x80000000, v8
	v_lshlrev_b32_e32 v4, 20, v4
	v_or3_b32 v4, v6, v5, v4
.LBB6_592:                              ;   in Loop: Header=BB6_130 Depth=2
	s_or_b32 exec_lo, exec_lo, s41
	v_mul_f32_e32 v4, s40, v4
	v_mov_b32_e32 v120, 0x80
	s_mov_b32 s41, exec_lo
	v_and_b32_e32 v5, 0x7f800000, v4
	v_cmpx_ne_u32_e32 0x7f800000, v5
	s_cbranch_execz .LBB6_600
; %bb.593:                              ;   in Loop: Header=BB6_130 Depth=2
	v_mov_b32_e32 v120, 0
	s_mov_b32 s42, exec_lo
	v_cmpx_ne_u32_e32 0, v4
	s_cbranch_execz .LBB6_599
; %bb.594:                              ;   in Loop: Header=BB6_130 Depth=2
	v_bfe_u32 v5, v4, 23, 8
	v_and_b32_e32 v6, 0x7fffff, v4
	v_sub_nc_u32_e32 v7, 0x78, v5
	v_cmp_gt_u32_e32 vcc_lo, 0x79, v5
	v_or_b32_e32 v8, 0x800000, v6
	v_cndmask_b32_e32 v7, 0, v7, vcc_lo
	v_cmp_eq_u32_e32 vcc_lo, 0, v5
	v_add_nc_u32_e32 v5, 0xffffff89, v5
	v_cndmask_b32_e64 v7, v7, 0x77, vcc_lo
	v_cndmask_b32_e32 v6, v8, v6, vcc_lo
	v_cndmask_b32_e64 v5, v5, 0xffffff8a, vcc_lo
	v_lshl_add_u32 v8, 0x100000, v7, -1
	v_lshrrev_b32_e32 v9, v7, v6
	v_lshlrev_b32_e64 v17, v7, 0x80000
	v_add_nc_u32_e32 v7, v7, v5
	v_and_b32_e32 v6, v8, v6
	v_bfe_u32 v16, v9, 20, 1
	v_cmp_eq_u32_e64 s13, v6, v17
	v_add_nc_u32_e32 v8, -1, v16
	v_cndmask_b32_e64 v6, 0, v8, s13
	v_lshrrev_b32_e32 v8, 23, v9
	s_mov_b32 s13, exec_lo
	v_add_nc_u32_e32 v6, v6, v9
	v_xor_b32_e32 v8, 1, v8
	v_and_b32_e32 v5, 0xfffff, v6
	v_add_nc_u32_e32 v6, v5, v9
                                        ; implicit-def: $vgpr5
	v_cmpx_ne_u32_e64 v7, v8
	s_xor_b32 s13, exec_lo, s13
; %bb.595:                              ;   in Loop: Header=BB6_130 Depth=2
	v_cmp_lt_u32_e32 vcc_lo, 0xffffff, v6
	v_sub_nc_u32_e32 v5, v7, v8
	v_cndmask_b32_e64 v7, 0, 1, vcc_lo
	v_add_co_ci_u32_e64 v5, null, 0, v5, vcc_lo
	v_lshrrev_b32_e32 v6, v7, v6
; %bb.596:                              ;   in Loop: Header=BB6_130 Depth=2
	s_andn2_saveexec_b32 s13, s13
; %bb.597:                              ;   in Loop: Header=BB6_130 Depth=2
	v_bfe_u32 v5, v6, 23, 1
; %bb.598:                              ;   in Loop: Header=BB6_130 Depth=2
	s_or_b32 exec_lo, exec_lo, s13
	v_lshrrev_b32_e32 v6, 20, v6
	v_min_i32_e32 v7, 15, v5
	v_cmp_gt_i32_e32 vcc_lo, 16, v5
	v_and_b32_sdwa v4, v4, v114 dst_sel:DWORD dst_unused:UNUSED_PAD src0_sel:BYTE_3 src1_sel:DWORD
	v_lshlrev_b32_e32 v7, 3, v7
	v_cndmask_b32_e32 v6, 7, v6, vcc_lo
	v_and_b32_e32 v7, 0xf8, v7
	v_and_b32_e32 v8, 7, v6
	v_or_b32_e32 v5, v5, v6
	v_or3_b32 v4, v7, v4, v8
	v_cmp_ne_u32_e32 vcc_lo, 0, v5
	v_cndmask_b32_e32 v120, 0, v4, vcc_lo
.LBB6_599:                              ;   in Loop: Header=BB6_130 Depth=2
	s_or_b32 exec_lo, exec_lo, s42
.LBB6_600:                              ;   in Loop: Header=BB6_130 Depth=2
	s_or_b32 exec_lo, exec_lo, s41
	v_cmp_gt_i16_sdwa s41, v10, v113 src0_sel:BYTE_1 src1_sel:DWORD
	s_mov_b32 s13, 0
	s_and_saveexec_b32 s42, s41
	s_xor_b32 s41, exec_lo, s42
	s_cbranch_execz .LBB6_2378
; %bb.601:                              ;   in Loop: Header=BB6_130 Depth=2
	v_cmp_eq_u16_sdwa s43, v10, v114 src0_sel:BYTE_1 src1_sel:DWORD
	s_mov_b32 s13, -1
	s_and_saveexec_b32 s42, s43
; %bb.602:                              ;   in Loop: Header=BB6_130 Depth=2
	s_xor_b32 s13, exec_lo, -1
; %bb.603:                              ;   in Loop: Header=BB6_130 Depth=2
	s_or_b32 exec_lo, exec_lo, s42
	s_and_b32 s13, s13, exec_lo
	s_or_saveexec_b32 s41, s41
	v_mov_b32_e32 v4, 0x7f800001
	s_xor_b32 exec_lo, exec_lo, s41
	s_cbranch_execnz .LBB6_2379
.LBB6_604:                              ;   in Loop: Header=BB6_130 Depth=2
	s_or_b32 exec_lo, exec_lo, s41
	s_and_saveexec_b32 s41, s13
	s_cbranch_execz .LBB6_606
.LBB6_605:                              ;   in Loop: Header=BB6_130 Depth=2
	v_and_b32_sdwa v4, v115, v10 dst_sel:DWORD dst_unused:UNUSED_PAD src0_sel:DWORD src1_sel:BYTE_1
	v_and_b32_e32 v5, 7, v4
	v_bfe_u32 v8, v4, 3, 4
	v_ffbh_u32_e32 v6, v5
	v_cmp_eq_u32_e32 vcc_lo, 0, v8
	v_min_u32_e32 v6, 32, v6
	v_subrev_nc_u32_e32 v7, 28, v6
	v_sub_nc_u32_e32 v6, 29, v6
	v_lshlrev_b32_e32 v4, v7, v4
	v_lshlrev_b32_sdwa v7, v116, v10 dst_sel:DWORD dst_unused:UNUSED_PAD src0_sel:DWORD src1_sel:BYTE_1
	v_cndmask_b32_e32 v6, v8, v6, vcc_lo
	v_and_b32_e32 v4, 7, v4
	v_lshl_add_u32 v6, v6, 23, 0x3b800000
	v_cndmask_b32_e32 v4, v5, v4, vcc_lo
	v_and_b32_e32 v5, 0x80000000, v7
	v_lshlrev_b32_e32 v4, 20, v4
	v_or3_b32 v4, v5, v6, v4
.LBB6_606:                              ;   in Loop: Header=BB6_130 Depth=2
	s_or_b32 exec_lo, exec_lo, s41
	v_mul_f32_e32 v4, s40, v4
	v_mov_b32_e32 v122, 0x8000
	s_mov_b32 s41, exec_lo
	v_and_b32_e32 v5, 0x7f800000, v4
	v_cmpx_ne_u32_e32 0x7f800000, v5
	s_cbranch_execz .LBB6_614
; %bb.607:                              ;   in Loop: Header=BB6_130 Depth=2
	v_mov_b32_e32 v122, 0
	s_mov_b32 s42, exec_lo
	v_cmpx_ne_u32_e32 0, v4
	s_cbranch_execz .LBB6_613
; %bb.608:                              ;   in Loop: Header=BB6_130 Depth=2
	v_bfe_u32 v5, v4, 23, 8
	v_and_b32_e32 v6, 0x7fffff, v4
	v_sub_nc_u32_e32 v7, 0x78, v5
	v_cmp_gt_u32_e32 vcc_lo, 0x79, v5
	v_or_b32_e32 v8, 0x800000, v6
	v_cndmask_b32_e32 v7, 0, v7, vcc_lo
	v_cmp_eq_u32_e32 vcc_lo, 0, v5
	v_add_nc_u32_e32 v5, 0xffffff89, v5
	v_cndmask_b32_e64 v7, v7, 0x77, vcc_lo
	v_cndmask_b32_e32 v6, v8, v6, vcc_lo
	v_cndmask_b32_e64 v5, v5, 0xffffff8a, vcc_lo
	v_lshl_add_u32 v8, 0x100000, v7, -1
	v_lshrrev_b32_e32 v9, v7, v6
	v_lshlrev_b32_e64 v17, v7, 0x80000
	v_add_nc_u32_e32 v7, v7, v5
	v_and_b32_e32 v6, v8, v6
	v_bfe_u32 v16, v9, 20, 1
	v_cmp_eq_u32_e64 s13, v6, v17
	v_add_nc_u32_e32 v8, -1, v16
	v_cndmask_b32_e64 v6, 0, v8, s13
	v_lshrrev_b32_e32 v8, 23, v9
	s_mov_b32 s13, exec_lo
	v_add_nc_u32_e32 v6, v6, v9
	v_xor_b32_e32 v8, 1, v8
	v_and_b32_e32 v5, 0xfffff, v6
	v_add_nc_u32_e32 v6, v5, v9
                                        ; implicit-def: $vgpr5
	v_cmpx_ne_u32_e64 v7, v8
	s_xor_b32 s13, exec_lo, s13
; %bb.609:                              ;   in Loop: Header=BB6_130 Depth=2
	v_cmp_lt_u32_e32 vcc_lo, 0xffffff, v6
	v_sub_nc_u32_e32 v5, v7, v8
	v_cndmask_b32_e64 v7, 0, 1, vcc_lo
	v_add_co_ci_u32_e64 v5, null, 0, v5, vcc_lo
	v_lshrrev_b32_e32 v6, v7, v6
; %bb.610:                              ;   in Loop: Header=BB6_130 Depth=2
	s_andn2_saveexec_b32 s13, s13
; %bb.611:                              ;   in Loop: Header=BB6_130 Depth=2
	v_bfe_u32 v5, v6, 23, 1
; %bb.612:                              ;   in Loop: Header=BB6_130 Depth=2
	s_or_b32 exec_lo, exec_lo, s13
	v_lshrrev_b32_e32 v6, 20, v6
	v_min_i32_e32 v7, 15, v5
	v_cmp_gt_i32_e32 vcc_lo, 16, v5
	v_and_b32_sdwa v4, v4, v114 dst_sel:DWORD dst_unused:UNUSED_PAD src0_sel:BYTE_3 src1_sel:DWORD
	v_lshlrev_b32_e32 v7, 3, v7
	v_cndmask_b32_e32 v6, 7, v6, vcc_lo
	v_and_b32_e32 v7, 0xf8, v7
	v_and_b32_e32 v8, 7, v6
	v_or_b32_e32 v5, v5, v6
	v_or3_b32 v4, v4, v7, v8
	v_cmp_ne_u32_e32 vcc_lo, 0, v5
	v_lshlrev_b32_e32 v4, 8, v4
	v_cndmask_b32_e32 v122, 0, v4, vcc_lo
.LBB6_613:                              ;   in Loop: Header=BB6_130 Depth=2
	s_or_b32 exec_lo, exec_lo, s42
.LBB6_614:                              ;   in Loop: Header=BB6_130 Depth=2
	s_or_b32 exec_lo, exec_lo, s41
	v_and_b32_sdwa v5, v10, v117 dst_sel:DWORD dst_unused:UNUSED_PAD src0_sel:WORD_1 src1_sel:DWORD
	s_mov_b32 s13, 0
	s_mov_b32 s41, exec_lo
	v_cmpx_lt_i16_e32 0x7f, v5
	s_xor_b32 s41, exec_lo, s41
	s_cbranch_execz .LBB6_2380
; %bb.615:                              ;   in Loop: Header=BB6_130 Depth=2
	s_mov_b32 s13, -1
	s_mov_b32 s42, exec_lo
	v_cmpx_eq_u16_e32 0x80, v5
; %bb.616:                              ;   in Loop: Header=BB6_130 Depth=2
	s_xor_b32 s13, exec_lo, -1
; %bb.617:                              ;   in Loop: Header=BB6_130 Depth=2
	s_or_b32 exec_lo, exec_lo, s42
	s_and_b32 s13, s13, exec_lo
                                        ; implicit-def: $vgpr5
	s_or_saveexec_b32 s41, s41
	v_mov_b32_e32 v4, 0x7f800001
	s_xor_b32 exec_lo, exec_lo, s41
	s_cbranch_execnz .LBB6_2381
.LBB6_618:                              ;   in Loop: Header=BB6_130 Depth=2
	s_or_b32 exec_lo, exec_lo, s41
	s_and_saveexec_b32 s41, s13
	s_cbranch_execz .LBB6_620
.LBB6_619:                              ;   in Loop: Header=BB6_130 Depth=2
	v_bfe_u32 v4, v10, 16, 3
	v_bfe_u32 v7, v10, 19, 4
	v_lshlrev_b32_e32 v8, 8, v10
	v_ffbh_u32_e32 v5, v4
	v_cmp_eq_u32_e32 vcc_lo, 0, v7
	v_min_u32_e32 v5, 32, v5
	v_subrev_nc_u32_e32 v6, 28, v5
	v_sub_nc_u32_e32 v5, 29, v5
	v_lshlrev_b32_sdwa v6, v6, v10 dst_sel:DWORD dst_unused:UNUSED_PAD src0_sel:DWORD src1_sel:WORD_1
	v_cndmask_b32_e32 v5, v7, v5, vcc_lo
	v_and_b32_e32 v6, 7, v6
	v_lshl_add_u32 v5, v5, 23, 0x3b800000
	v_cndmask_b32_e32 v4, v4, v6, vcc_lo
	v_and_b32_e32 v6, 0x80000000, v8
	v_lshlrev_b32_e32 v4, 20, v4
	v_or3_b32 v4, v6, v5, v4
.LBB6_620:                              ;   in Loop: Header=BB6_130 Depth=2
	s_or_b32 exec_lo, exec_lo, s41
	v_mul_f32_e32 v4, s40, v4
	v_mov_b32_e32 v109, 0x80
	s_mov_b32 s41, exec_lo
	v_and_b32_e32 v5, 0x7f800000, v4
	v_cmpx_ne_u32_e32 0x7f800000, v5
	s_cbranch_execz .LBB6_628
; %bb.621:                              ;   in Loop: Header=BB6_130 Depth=2
	v_mov_b32_e32 v109, 0
	s_mov_b32 s42, exec_lo
	v_cmpx_ne_u32_e32 0, v4
	s_cbranch_execz .LBB6_627
; %bb.622:                              ;   in Loop: Header=BB6_130 Depth=2
	v_bfe_u32 v5, v4, 23, 8
	v_and_b32_e32 v6, 0x7fffff, v4
	v_sub_nc_u32_e32 v7, 0x78, v5
	v_cmp_gt_u32_e32 vcc_lo, 0x79, v5
	v_or_b32_e32 v8, 0x800000, v6
	v_cndmask_b32_e32 v7, 0, v7, vcc_lo
	v_cmp_eq_u32_e32 vcc_lo, 0, v5
	v_add_nc_u32_e32 v5, 0xffffff89, v5
	v_cndmask_b32_e64 v7, v7, 0x77, vcc_lo
	v_cndmask_b32_e32 v6, v8, v6, vcc_lo
	v_cndmask_b32_e64 v5, v5, 0xffffff8a, vcc_lo
	v_lshl_add_u32 v8, 0x100000, v7, -1
	v_lshrrev_b32_e32 v9, v7, v6
	v_lshlrev_b32_e64 v17, v7, 0x80000
	v_add_nc_u32_e32 v7, v7, v5
	v_and_b32_e32 v6, v8, v6
	v_bfe_u32 v16, v9, 20, 1
	v_cmp_eq_u32_e64 s13, v6, v17
	v_add_nc_u32_e32 v8, -1, v16
	v_cndmask_b32_e64 v6, 0, v8, s13
	v_lshrrev_b32_e32 v8, 23, v9
	s_mov_b32 s13, exec_lo
	v_add_nc_u32_e32 v6, v6, v9
	v_xor_b32_e32 v8, 1, v8
	v_and_b32_e32 v5, 0xfffff, v6
	v_add_nc_u32_e32 v6, v5, v9
                                        ; implicit-def: $vgpr5
	v_cmpx_ne_u32_e64 v7, v8
	s_xor_b32 s13, exec_lo, s13
; %bb.623:                              ;   in Loop: Header=BB6_130 Depth=2
	v_cmp_lt_u32_e32 vcc_lo, 0xffffff, v6
	v_sub_nc_u32_e32 v5, v7, v8
	v_cndmask_b32_e64 v7, 0, 1, vcc_lo
	v_add_co_ci_u32_e64 v5, null, 0, v5, vcc_lo
	v_lshrrev_b32_e32 v6, v7, v6
; %bb.624:                              ;   in Loop: Header=BB6_130 Depth=2
	s_andn2_saveexec_b32 s13, s13
; %bb.625:                              ;   in Loop: Header=BB6_130 Depth=2
	v_bfe_u32 v5, v6, 23, 1
; %bb.626:                              ;   in Loop: Header=BB6_130 Depth=2
	s_or_b32 exec_lo, exec_lo, s13
	v_lshrrev_b32_e32 v6, 20, v6
	v_min_i32_e32 v7, 15, v5
	v_cmp_gt_i32_e32 vcc_lo, 16, v5
	v_and_b32_sdwa v4, v4, v114 dst_sel:DWORD dst_unused:UNUSED_PAD src0_sel:BYTE_3 src1_sel:DWORD
	v_lshlrev_b32_e32 v7, 3, v7
	v_cndmask_b32_e32 v6, 7, v6, vcc_lo
	v_and_b32_e32 v7, 0xf8, v7
	v_and_b32_e32 v8, 7, v6
	v_or_b32_e32 v5, v5, v6
	v_or3_b32 v4, v7, v4, v8
	v_cmp_ne_u32_e32 vcc_lo, 0, v5
	v_cndmask_b32_e32 v109, 0, v4, vcc_lo
.LBB6_627:                              ;   in Loop: Header=BB6_130 Depth=2
	s_or_b32 exec_lo, exec_lo, s42
.LBB6_628:                              ;   in Loop: Header=BB6_130 Depth=2
	s_or_b32 exec_lo, exec_lo, s41
	v_cmp_gt_i16_sdwa s41, v10, v113 src0_sel:BYTE_3 src1_sel:DWORD
	s_mov_b32 s13, 0
	s_and_saveexec_b32 s42, s41
	s_xor_b32 s41, exec_lo, s42
	s_cbranch_execz .LBB6_2382
; %bb.629:                              ;   in Loop: Header=BB6_130 Depth=2
	v_cmp_eq_u16_sdwa s43, v10, v114 src0_sel:BYTE_3 src1_sel:DWORD
	s_mov_b32 s13, -1
	s_and_saveexec_b32 s42, s43
; %bb.630:                              ;   in Loop: Header=BB6_130 Depth=2
	s_xor_b32 s13, exec_lo, -1
; %bb.631:                              ;   in Loop: Header=BB6_130 Depth=2
	s_or_b32 exec_lo, exec_lo, s42
	s_and_b32 s13, s13, exec_lo
	s_or_saveexec_b32 s41, s41
	v_mov_b32_e32 v4, 0x7f800001
	s_xor_b32 exec_lo, exec_lo, s41
	s_cbranch_execnz .LBB6_2383
.LBB6_632:                              ;   in Loop: Header=BB6_130 Depth=2
	s_or_b32 exec_lo, exec_lo, s41
	s_and_saveexec_b32 s41, s13
	s_cbranch_execz .LBB6_634
.LBB6_633:                              ;   in Loop: Header=BB6_130 Depth=2
	v_bfe_u32 v4, v10, 24, 3
	v_bfe_u32 v7, v10, 27, 4
	v_ffbh_u32_e32 v5, v4
	v_cmp_eq_u32_e32 vcc_lo, 0, v7
	v_min_u32_e32 v5, 32, v5
	v_subrev_nc_u32_e32 v6, 28, v5
	v_sub_nc_u32_e32 v5, 29, v5
	v_lshlrev_b32_sdwa v6, v6, v10 dst_sel:DWORD dst_unused:UNUSED_PAD src0_sel:DWORD src1_sel:BYTE_3
	v_cndmask_b32_e32 v5, v7, v5, vcc_lo
	v_and_b32_e32 v6, 7, v6
	v_lshl_add_u32 v5, v5, 23, 0x3b800000
	v_cndmask_b32_e32 v4, v4, v6, vcc_lo
	v_and_b32_e32 v6, 0x80000000, v10
	v_lshlrev_b32_e32 v4, 20, v4
	v_or3_b32 v4, v6, v5, v4
.LBB6_634:                              ;   in Loop: Header=BB6_130 Depth=2
	s_or_b32 exec_lo, exec_lo, s41
	v_mul_f32_e32 v4, s40, v4
	v_mov_b32_e32 v111, 0x8000
	s_mov_b32 s41, exec_lo
	v_and_b32_e32 v5, 0x7f800000, v4
	v_cmpx_ne_u32_e32 0x7f800000, v5
	s_cbranch_execz .LBB6_642
; %bb.635:                              ;   in Loop: Header=BB6_130 Depth=2
	v_mov_b32_e32 v111, 0
	s_mov_b32 s42, exec_lo
	v_cmpx_ne_u32_e32 0, v4
	s_cbranch_execz .LBB6_641
; %bb.636:                              ;   in Loop: Header=BB6_130 Depth=2
	v_bfe_u32 v5, v4, 23, 8
	v_and_b32_e32 v6, 0x7fffff, v4
	v_sub_nc_u32_e32 v7, 0x78, v5
	v_cmp_gt_u32_e32 vcc_lo, 0x79, v5
	v_or_b32_e32 v8, 0x800000, v6
	v_cndmask_b32_e32 v7, 0, v7, vcc_lo
	v_cmp_eq_u32_e32 vcc_lo, 0, v5
	v_add_nc_u32_e32 v5, 0xffffff89, v5
	v_cndmask_b32_e64 v7, v7, 0x77, vcc_lo
	v_cndmask_b32_e32 v6, v8, v6, vcc_lo
	v_cndmask_b32_e64 v5, v5, 0xffffff8a, vcc_lo
	v_lshl_add_u32 v8, 0x100000, v7, -1
	v_lshrrev_b32_e32 v9, v7, v6
	v_lshlrev_b32_e64 v16, v7, 0x80000
	v_add_nc_u32_e32 v7, v7, v5
	v_and_b32_e32 v6, v8, v6
	v_bfe_u32 v10, v9, 20, 1
	v_cmp_eq_u32_e64 s13, v6, v16
	v_add_nc_u32_e32 v8, -1, v10
	v_cndmask_b32_e64 v6, 0, v8, s13
	v_lshrrev_b32_e32 v8, 23, v9
	s_mov_b32 s13, exec_lo
	v_add_nc_u32_e32 v6, v6, v9
	v_xor_b32_e32 v8, 1, v8
	v_and_b32_e32 v5, 0xfffff, v6
	v_add_nc_u32_e32 v6, v5, v9
                                        ; implicit-def: $vgpr5
	v_cmpx_ne_u32_e64 v7, v8
	s_xor_b32 s13, exec_lo, s13
; %bb.637:                              ;   in Loop: Header=BB6_130 Depth=2
	v_cmp_lt_u32_e32 vcc_lo, 0xffffff, v6
	v_sub_nc_u32_e32 v5, v7, v8
	v_cndmask_b32_e64 v7, 0, 1, vcc_lo
	v_add_co_ci_u32_e64 v5, null, 0, v5, vcc_lo
	v_lshrrev_b32_e32 v6, v7, v6
; %bb.638:                              ;   in Loop: Header=BB6_130 Depth=2
	s_andn2_saveexec_b32 s13, s13
; %bb.639:                              ;   in Loop: Header=BB6_130 Depth=2
	v_bfe_u32 v5, v6, 23, 1
; %bb.640:                              ;   in Loop: Header=BB6_130 Depth=2
	s_or_b32 exec_lo, exec_lo, s13
	v_lshrrev_b32_e32 v6, 20, v6
	v_min_i32_e32 v7, 15, v5
	v_cmp_gt_i32_e32 vcc_lo, 16, v5
	v_and_b32_sdwa v4, v4, v114 dst_sel:DWORD dst_unused:UNUSED_PAD src0_sel:BYTE_3 src1_sel:DWORD
	v_lshlrev_b32_e32 v7, 3, v7
	v_cndmask_b32_e32 v6, 7, v6, vcc_lo
	v_and_b32_e32 v7, 0xf8, v7
	v_and_b32_e32 v8, 7, v6
	v_or_b32_e32 v5, v5, v6
	v_or3_b32 v4, v4, v7, v8
	v_cmp_ne_u32_e32 vcc_lo, 0, v5
	v_lshlrev_b32_e32 v4, 8, v4
	v_cndmask_b32_e32 v111, 0, v4, vcc_lo
.LBB6_641:                              ;   in Loop: Header=BB6_130 Depth=2
	s_or_b32 exec_lo, exec_lo, s42
.LBB6_642:                              ;   in Loop: Header=BB6_130 Depth=2
	s_or_b32 exec_lo, exec_lo, s41
	v_cmp_gt_i16_sdwa s41, v11, v113 src0_sel:BYTE_0 src1_sel:DWORD
	s_mov_b32 s13, 0
	s_and_saveexec_b32 s42, s41
	s_xor_b32 s41, exec_lo, s42
	s_cbranch_execz .LBB6_2384
; %bb.643:                              ;   in Loop: Header=BB6_130 Depth=2
	v_cmp_eq_u16_sdwa s43, v11, v114 src0_sel:BYTE_0 src1_sel:DWORD
	s_mov_b32 s13, -1
	s_and_saveexec_b32 s42, s43
; %bb.644:                              ;   in Loop: Header=BB6_130 Depth=2
	s_xor_b32 s13, exec_lo, -1
; %bb.645:                              ;   in Loop: Header=BB6_130 Depth=2
	s_or_b32 exec_lo, exec_lo, s42
	s_and_b32 s13, s13, exec_lo
	s_or_saveexec_b32 s41, s41
	v_mov_b32_e32 v4, 0x7f800001
	s_xor_b32 exec_lo, exec_lo, s41
	s_cbranch_execnz .LBB6_2385
.LBB6_646:                              ;   in Loop: Header=BB6_130 Depth=2
	s_or_b32 exec_lo, exec_lo, s41
	s_and_saveexec_b32 s41, s13
	s_cbranch_execz .LBB6_648
.LBB6_647:                              ;   in Loop: Header=BB6_130 Depth=2
	v_and_b32_e32 v4, 7, v11
	v_bfe_u32 v7, v11, 3, 4
	v_lshlrev_b32_e32 v8, 24, v11
	v_ffbh_u32_e32 v5, v4
	v_cmp_eq_u32_e32 vcc_lo, 0, v7
	v_min_u32_e32 v5, 32, v5
	v_subrev_nc_u32_e32 v6, 28, v5
	v_sub_nc_u32_e32 v5, 29, v5
	v_lshlrev_b32_e32 v6, v6, v11
	v_cndmask_b32_e32 v5, v7, v5, vcc_lo
	v_and_b32_e32 v6, 7, v6
	v_lshl_add_u32 v5, v5, 23, 0x3b800000
	v_cndmask_b32_e32 v4, v4, v6, vcc_lo
	v_and_b32_e32 v6, 0x80000000, v8
	v_lshlrev_b32_e32 v4, 20, v4
	v_or3_b32 v4, v6, v5, v4
.LBB6_648:                              ;   in Loop: Header=BB6_130 Depth=2
	s_or_b32 exec_lo, exec_lo, s41
	v_mul_f32_e32 v4, s40, v4
	v_mov_b32_e32 v107, 0x80
	s_mov_b32 s41, exec_lo
	v_and_b32_e32 v5, 0x7f800000, v4
	v_cmpx_ne_u32_e32 0x7f800000, v5
	s_cbranch_execz .LBB6_656
; %bb.649:                              ;   in Loop: Header=BB6_130 Depth=2
	v_mov_b32_e32 v107, 0
	s_mov_b32 s42, exec_lo
	v_cmpx_ne_u32_e32 0, v4
	s_cbranch_execz .LBB6_655
; %bb.650:                              ;   in Loop: Header=BB6_130 Depth=2
	v_bfe_u32 v5, v4, 23, 8
	v_and_b32_e32 v6, 0x7fffff, v4
	v_sub_nc_u32_e32 v7, 0x78, v5
	v_cmp_gt_u32_e32 vcc_lo, 0x79, v5
	v_or_b32_e32 v8, 0x800000, v6
	v_cndmask_b32_e32 v7, 0, v7, vcc_lo
	v_cmp_eq_u32_e32 vcc_lo, 0, v5
	v_add_nc_u32_e32 v5, 0xffffff89, v5
	v_cndmask_b32_e64 v7, v7, 0x77, vcc_lo
	v_cndmask_b32_e32 v6, v8, v6, vcc_lo
	v_cndmask_b32_e64 v5, v5, 0xffffff8a, vcc_lo
	v_lshl_add_u32 v8, 0x100000, v7, -1
	v_lshrrev_b32_e32 v9, v7, v6
	v_lshlrev_b32_e64 v16, v7, 0x80000
	v_add_nc_u32_e32 v7, v7, v5
	v_and_b32_e32 v6, v8, v6
	v_bfe_u32 v10, v9, 20, 1
	v_cmp_eq_u32_e64 s13, v6, v16
	v_add_nc_u32_e32 v8, -1, v10
	v_cndmask_b32_e64 v6, 0, v8, s13
	v_lshrrev_b32_e32 v8, 23, v9
	s_mov_b32 s13, exec_lo
	v_add_nc_u32_e32 v6, v6, v9
	v_xor_b32_e32 v8, 1, v8
	v_and_b32_e32 v5, 0xfffff, v6
	v_add_nc_u32_e32 v6, v5, v9
                                        ; implicit-def: $vgpr5
	v_cmpx_ne_u32_e64 v7, v8
	s_xor_b32 s13, exec_lo, s13
; %bb.651:                              ;   in Loop: Header=BB6_130 Depth=2
	v_cmp_lt_u32_e32 vcc_lo, 0xffffff, v6
	v_sub_nc_u32_e32 v5, v7, v8
	v_cndmask_b32_e64 v7, 0, 1, vcc_lo
	v_add_co_ci_u32_e64 v5, null, 0, v5, vcc_lo
	v_lshrrev_b32_e32 v6, v7, v6
; %bb.652:                              ;   in Loop: Header=BB6_130 Depth=2
	s_andn2_saveexec_b32 s13, s13
; %bb.653:                              ;   in Loop: Header=BB6_130 Depth=2
	v_bfe_u32 v5, v6, 23, 1
; %bb.654:                              ;   in Loop: Header=BB6_130 Depth=2
	s_or_b32 exec_lo, exec_lo, s13
	v_lshrrev_b32_e32 v6, 20, v6
	v_min_i32_e32 v7, 15, v5
	v_cmp_gt_i32_e32 vcc_lo, 16, v5
	v_and_b32_sdwa v4, v4, v114 dst_sel:DWORD dst_unused:UNUSED_PAD src0_sel:BYTE_3 src1_sel:DWORD
	v_lshlrev_b32_e32 v7, 3, v7
	v_cndmask_b32_e32 v6, 7, v6, vcc_lo
	v_and_b32_e32 v7, 0xf8, v7
	v_and_b32_e32 v8, 7, v6
	v_or_b32_e32 v5, v5, v6
	v_or3_b32 v4, v7, v4, v8
	v_cmp_ne_u32_e32 vcc_lo, 0, v5
	v_cndmask_b32_e32 v107, 0, v4, vcc_lo
.LBB6_655:                              ;   in Loop: Header=BB6_130 Depth=2
	s_or_b32 exec_lo, exec_lo, s42
.LBB6_656:                              ;   in Loop: Header=BB6_130 Depth=2
	s_or_b32 exec_lo, exec_lo, s41
	v_cmp_gt_i16_sdwa s41, v11, v113 src0_sel:BYTE_1 src1_sel:DWORD
	s_mov_b32 s13, 0
	s_and_saveexec_b32 s42, s41
	s_xor_b32 s41, exec_lo, s42
	s_cbranch_execz .LBB6_2386
; %bb.657:                              ;   in Loop: Header=BB6_130 Depth=2
	v_cmp_eq_u16_sdwa s43, v11, v114 src0_sel:BYTE_1 src1_sel:DWORD
	s_mov_b32 s13, -1
	s_and_saveexec_b32 s42, s43
; %bb.658:                              ;   in Loop: Header=BB6_130 Depth=2
	s_xor_b32 s13, exec_lo, -1
; %bb.659:                              ;   in Loop: Header=BB6_130 Depth=2
	s_or_b32 exec_lo, exec_lo, s42
	s_and_b32 s13, s13, exec_lo
	s_or_saveexec_b32 s41, s41
	v_mov_b32_e32 v4, 0x7f800001
	s_xor_b32 exec_lo, exec_lo, s41
	s_cbranch_execnz .LBB6_2387
.LBB6_660:                              ;   in Loop: Header=BB6_130 Depth=2
	s_or_b32 exec_lo, exec_lo, s41
	s_and_saveexec_b32 s41, s13
	s_cbranch_execz .LBB6_662
.LBB6_661:                              ;   in Loop: Header=BB6_130 Depth=2
	v_and_b32_sdwa v4, v115, v11 dst_sel:DWORD dst_unused:UNUSED_PAD src0_sel:DWORD src1_sel:BYTE_1
	v_and_b32_e32 v5, 7, v4
	v_bfe_u32 v8, v4, 3, 4
	v_ffbh_u32_e32 v6, v5
	v_cmp_eq_u32_e32 vcc_lo, 0, v8
	v_min_u32_e32 v6, 32, v6
	v_subrev_nc_u32_e32 v7, 28, v6
	v_sub_nc_u32_e32 v6, 29, v6
	v_lshlrev_b32_e32 v4, v7, v4
	v_lshlrev_b32_sdwa v7, v116, v11 dst_sel:DWORD dst_unused:UNUSED_PAD src0_sel:DWORD src1_sel:BYTE_1
	v_cndmask_b32_e32 v6, v8, v6, vcc_lo
	v_and_b32_e32 v4, 7, v4
	v_lshl_add_u32 v6, v6, 23, 0x3b800000
	v_cndmask_b32_e32 v4, v5, v4, vcc_lo
	v_and_b32_e32 v5, 0x80000000, v7
	v_lshlrev_b32_e32 v4, 20, v4
	v_or3_b32 v4, v5, v6, v4
.LBB6_662:                              ;   in Loop: Header=BB6_130 Depth=2
	s_or_b32 exec_lo, exec_lo, s41
	v_mul_f32_e32 v4, s40, v4
	v_mov_b32_e32 v108, 0x8000
	s_mov_b32 s41, exec_lo
	v_and_b32_e32 v5, 0x7f800000, v4
	v_cmpx_ne_u32_e32 0x7f800000, v5
	s_cbranch_execz .LBB6_670
; %bb.663:                              ;   in Loop: Header=BB6_130 Depth=2
	v_mov_b32_e32 v108, 0
	s_mov_b32 s42, exec_lo
	v_cmpx_ne_u32_e32 0, v4
	s_cbranch_execz .LBB6_669
; %bb.664:                              ;   in Loop: Header=BB6_130 Depth=2
	v_bfe_u32 v5, v4, 23, 8
	v_and_b32_e32 v6, 0x7fffff, v4
	v_sub_nc_u32_e32 v7, 0x78, v5
	v_cmp_gt_u32_e32 vcc_lo, 0x79, v5
	v_or_b32_e32 v8, 0x800000, v6
	v_cndmask_b32_e32 v7, 0, v7, vcc_lo
	v_cmp_eq_u32_e32 vcc_lo, 0, v5
	v_add_nc_u32_e32 v5, 0xffffff89, v5
	v_cndmask_b32_e64 v7, v7, 0x77, vcc_lo
	v_cndmask_b32_e32 v6, v8, v6, vcc_lo
	v_cndmask_b32_e64 v5, v5, 0xffffff8a, vcc_lo
	v_lshl_add_u32 v8, 0x100000, v7, -1
	v_lshrrev_b32_e32 v9, v7, v6
	v_lshlrev_b32_e64 v16, v7, 0x80000
	v_add_nc_u32_e32 v7, v7, v5
	v_and_b32_e32 v6, v8, v6
	v_bfe_u32 v10, v9, 20, 1
	v_cmp_eq_u32_e64 s13, v6, v16
	v_add_nc_u32_e32 v8, -1, v10
	v_cndmask_b32_e64 v6, 0, v8, s13
	v_lshrrev_b32_e32 v8, 23, v9
	s_mov_b32 s13, exec_lo
	v_add_nc_u32_e32 v6, v6, v9
	v_xor_b32_e32 v8, 1, v8
	v_and_b32_e32 v5, 0xfffff, v6
	v_add_nc_u32_e32 v6, v5, v9
                                        ; implicit-def: $vgpr5
	v_cmpx_ne_u32_e64 v7, v8
	s_xor_b32 s13, exec_lo, s13
; %bb.665:                              ;   in Loop: Header=BB6_130 Depth=2
	v_cmp_lt_u32_e32 vcc_lo, 0xffffff, v6
	v_sub_nc_u32_e32 v5, v7, v8
	v_cndmask_b32_e64 v7, 0, 1, vcc_lo
	v_add_co_ci_u32_e64 v5, null, 0, v5, vcc_lo
	v_lshrrev_b32_e32 v6, v7, v6
; %bb.666:                              ;   in Loop: Header=BB6_130 Depth=2
	s_andn2_saveexec_b32 s13, s13
; %bb.667:                              ;   in Loop: Header=BB6_130 Depth=2
	v_bfe_u32 v5, v6, 23, 1
; %bb.668:                              ;   in Loop: Header=BB6_130 Depth=2
	s_or_b32 exec_lo, exec_lo, s13
	v_lshrrev_b32_e32 v6, 20, v6
	v_min_i32_e32 v7, 15, v5
	v_cmp_gt_i32_e32 vcc_lo, 16, v5
	v_and_b32_sdwa v4, v4, v114 dst_sel:DWORD dst_unused:UNUSED_PAD src0_sel:BYTE_3 src1_sel:DWORD
	v_lshlrev_b32_e32 v7, 3, v7
	v_cndmask_b32_e32 v6, 7, v6, vcc_lo
	v_and_b32_e32 v7, 0xf8, v7
	v_and_b32_e32 v8, 7, v6
	v_or_b32_e32 v5, v5, v6
	v_or3_b32 v4, v4, v7, v8
	v_cmp_ne_u32_e32 vcc_lo, 0, v5
	v_lshlrev_b32_e32 v4, 8, v4
	v_cndmask_b32_e32 v108, 0, v4, vcc_lo
.LBB6_669:                              ;   in Loop: Header=BB6_130 Depth=2
	s_or_b32 exec_lo, exec_lo, s42
.LBB6_670:                              ;   in Loop: Header=BB6_130 Depth=2
	s_or_b32 exec_lo, exec_lo, s41
	v_and_b32_sdwa v5, v11, v117 dst_sel:DWORD dst_unused:UNUSED_PAD src0_sel:WORD_1 src1_sel:DWORD
	s_mov_b32 s13, 0
	s_mov_b32 s41, exec_lo
	v_cmpx_lt_i16_e32 0x7f, v5
	s_xor_b32 s41, exec_lo, s41
	s_cbranch_execz .LBB6_2388
; %bb.671:                              ;   in Loop: Header=BB6_130 Depth=2
	s_mov_b32 s13, -1
	s_mov_b32 s42, exec_lo
	v_cmpx_eq_u16_e32 0x80, v5
; %bb.672:                              ;   in Loop: Header=BB6_130 Depth=2
	s_xor_b32 s13, exec_lo, -1
; %bb.673:                              ;   in Loop: Header=BB6_130 Depth=2
	s_or_b32 exec_lo, exec_lo, s42
	s_and_b32 s13, s13, exec_lo
                                        ; implicit-def: $vgpr5
	s_or_saveexec_b32 s41, s41
	v_mov_b32_e32 v4, 0x7f800001
	s_xor_b32 exec_lo, exec_lo, s41
	s_cbranch_execnz .LBB6_2389
.LBB6_674:                              ;   in Loop: Header=BB6_130 Depth=2
	s_or_b32 exec_lo, exec_lo, s41
	s_and_saveexec_b32 s41, s13
	s_cbranch_execz .LBB6_676
.LBB6_675:                              ;   in Loop: Header=BB6_130 Depth=2
	v_bfe_u32 v4, v11, 16, 3
	v_bfe_u32 v7, v11, 19, 4
	v_lshlrev_b32_e32 v8, 8, v11
	v_ffbh_u32_e32 v5, v4
	v_cmp_eq_u32_e32 vcc_lo, 0, v7
	v_min_u32_e32 v5, 32, v5
	v_subrev_nc_u32_e32 v6, 28, v5
	v_sub_nc_u32_e32 v5, 29, v5
	v_lshlrev_b32_sdwa v6, v6, v11 dst_sel:DWORD dst_unused:UNUSED_PAD src0_sel:DWORD src1_sel:WORD_1
	v_cndmask_b32_e32 v5, v7, v5, vcc_lo
	v_and_b32_e32 v6, 7, v6
	v_lshl_add_u32 v5, v5, 23, 0x3b800000
	v_cndmask_b32_e32 v4, v4, v6, vcc_lo
	v_and_b32_e32 v6, 0x80000000, v8
	v_lshlrev_b32_e32 v4, 20, v4
	v_or3_b32 v4, v6, v5, v4
.LBB6_676:                              ;   in Loop: Header=BB6_130 Depth=2
	s_or_b32 exec_lo, exec_lo, s41
	v_mul_f32_e32 v4, s40, v4
	v_mov_b32_e32 v104, 0x80
	s_mov_b32 s41, exec_lo
	v_and_b32_e32 v5, 0x7f800000, v4
	v_cmpx_ne_u32_e32 0x7f800000, v5
	s_cbranch_execz .LBB6_684
; %bb.677:                              ;   in Loop: Header=BB6_130 Depth=2
	v_mov_b32_e32 v104, 0
	s_mov_b32 s42, exec_lo
	v_cmpx_ne_u32_e32 0, v4
	s_cbranch_execz .LBB6_683
; %bb.678:                              ;   in Loop: Header=BB6_130 Depth=2
	v_bfe_u32 v5, v4, 23, 8
	v_and_b32_e32 v6, 0x7fffff, v4
	v_sub_nc_u32_e32 v7, 0x78, v5
	v_cmp_gt_u32_e32 vcc_lo, 0x79, v5
	v_or_b32_e32 v8, 0x800000, v6
	v_cndmask_b32_e32 v7, 0, v7, vcc_lo
	v_cmp_eq_u32_e32 vcc_lo, 0, v5
	v_add_nc_u32_e32 v5, 0xffffff89, v5
	v_cndmask_b32_e64 v7, v7, 0x77, vcc_lo
	v_cndmask_b32_e32 v6, v8, v6, vcc_lo
	v_cndmask_b32_e64 v5, v5, 0xffffff8a, vcc_lo
	v_lshl_add_u32 v8, 0x100000, v7, -1
	v_lshrrev_b32_e32 v9, v7, v6
	v_lshlrev_b32_e64 v16, v7, 0x80000
	v_add_nc_u32_e32 v7, v7, v5
	v_and_b32_e32 v6, v8, v6
	v_bfe_u32 v10, v9, 20, 1
	v_cmp_eq_u32_e64 s13, v6, v16
	v_add_nc_u32_e32 v8, -1, v10
	v_cndmask_b32_e64 v6, 0, v8, s13
	v_lshrrev_b32_e32 v8, 23, v9
	s_mov_b32 s13, exec_lo
	v_add_nc_u32_e32 v6, v6, v9
	v_xor_b32_e32 v8, 1, v8
	v_and_b32_e32 v5, 0xfffff, v6
	v_add_nc_u32_e32 v6, v5, v9
                                        ; implicit-def: $vgpr5
	v_cmpx_ne_u32_e64 v7, v8
	s_xor_b32 s13, exec_lo, s13
; %bb.679:                              ;   in Loop: Header=BB6_130 Depth=2
	v_cmp_lt_u32_e32 vcc_lo, 0xffffff, v6
	v_sub_nc_u32_e32 v5, v7, v8
	v_cndmask_b32_e64 v7, 0, 1, vcc_lo
	v_add_co_ci_u32_e64 v5, null, 0, v5, vcc_lo
	v_lshrrev_b32_e32 v6, v7, v6
; %bb.680:                              ;   in Loop: Header=BB6_130 Depth=2
	s_andn2_saveexec_b32 s13, s13
; %bb.681:                              ;   in Loop: Header=BB6_130 Depth=2
	v_bfe_u32 v5, v6, 23, 1
; %bb.682:                              ;   in Loop: Header=BB6_130 Depth=2
	s_or_b32 exec_lo, exec_lo, s13
	v_lshrrev_b32_e32 v6, 20, v6
	v_min_i32_e32 v7, 15, v5
	v_cmp_gt_i32_e32 vcc_lo, 16, v5
	v_and_b32_sdwa v4, v4, v114 dst_sel:DWORD dst_unused:UNUSED_PAD src0_sel:BYTE_3 src1_sel:DWORD
	v_lshlrev_b32_e32 v7, 3, v7
	v_cndmask_b32_e32 v6, 7, v6, vcc_lo
	v_and_b32_e32 v7, 0xf8, v7
	v_and_b32_e32 v8, 7, v6
	v_or_b32_e32 v5, v5, v6
	v_or3_b32 v4, v7, v4, v8
	v_cmp_ne_u32_e32 vcc_lo, 0, v5
	v_cndmask_b32_e32 v104, 0, v4, vcc_lo
.LBB6_683:                              ;   in Loop: Header=BB6_130 Depth=2
	s_or_b32 exec_lo, exec_lo, s42
.LBB6_684:                              ;   in Loop: Header=BB6_130 Depth=2
	s_or_b32 exec_lo, exec_lo, s41
	v_cmp_gt_i16_sdwa s41, v11, v113 src0_sel:BYTE_3 src1_sel:DWORD
	s_mov_b32 s13, 0
	s_and_saveexec_b32 s42, s41
	s_xor_b32 s41, exec_lo, s42
	s_cbranch_execz .LBB6_2390
; %bb.685:                              ;   in Loop: Header=BB6_130 Depth=2
	v_cmp_eq_u16_sdwa s43, v11, v114 src0_sel:BYTE_3 src1_sel:DWORD
	s_mov_b32 s13, -1
	s_and_saveexec_b32 s42, s43
; %bb.686:                              ;   in Loop: Header=BB6_130 Depth=2
	s_xor_b32 s13, exec_lo, -1
; %bb.687:                              ;   in Loop: Header=BB6_130 Depth=2
	s_or_b32 exec_lo, exec_lo, s42
	s_and_b32 s13, s13, exec_lo
	s_or_saveexec_b32 s41, s41
	v_mov_b32_e32 v4, 0x7f800001
	s_xor_b32 exec_lo, exec_lo, s41
	s_cbranch_execnz .LBB6_2391
.LBB6_688:                              ;   in Loop: Header=BB6_130 Depth=2
	s_or_b32 exec_lo, exec_lo, s41
	s_and_saveexec_b32 s41, s13
	s_cbranch_execz .LBB6_690
.LBB6_689:                              ;   in Loop: Header=BB6_130 Depth=2
	v_bfe_u32 v4, v11, 24, 3
	v_bfe_u32 v7, v11, 27, 4
	v_ffbh_u32_e32 v5, v4
	v_cmp_eq_u32_e32 vcc_lo, 0, v7
	v_min_u32_e32 v5, 32, v5
	v_subrev_nc_u32_e32 v6, 28, v5
	v_sub_nc_u32_e32 v5, 29, v5
	v_lshlrev_b32_sdwa v6, v6, v11 dst_sel:DWORD dst_unused:UNUSED_PAD src0_sel:DWORD src1_sel:BYTE_3
	v_cndmask_b32_e32 v5, v7, v5, vcc_lo
	v_and_b32_e32 v6, 7, v6
	v_lshl_add_u32 v5, v5, 23, 0x3b800000
	v_cndmask_b32_e32 v4, v4, v6, vcc_lo
	v_and_b32_e32 v6, 0x80000000, v11
	v_lshlrev_b32_e32 v4, 20, v4
	v_or3_b32 v4, v6, v5, v4
.LBB6_690:                              ;   in Loop: Header=BB6_130 Depth=2
	s_or_b32 exec_lo, exec_lo, s41
	v_mul_f32_e32 v4, s40, v4
	v_mov_b32_e32 v106, 0x8000
	s_mov_b32 s41, exec_lo
	v_and_b32_e32 v5, 0x7f800000, v4
	v_cmpx_ne_u32_e32 0x7f800000, v5
	s_cbranch_execz .LBB6_698
; %bb.691:                              ;   in Loop: Header=BB6_130 Depth=2
	v_mov_b32_e32 v106, 0
	s_mov_b32 s42, exec_lo
	v_cmpx_ne_u32_e32 0, v4
	s_cbranch_execz .LBB6_697
; %bb.692:                              ;   in Loop: Header=BB6_130 Depth=2
	v_bfe_u32 v5, v4, 23, 8
	v_and_b32_e32 v6, 0x7fffff, v4
	v_sub_nc_u32_e32 v7, 0x78, v5
	v_cmp_gt_u32_e32 vcc_lo, 0x79, v5
	v_or_b32_e32 v8, 0x800000, v6
	v_cndmask_b32_e32 v7, 0, v7, vcc_lo
	v_cmp_eq_u32_e32 vcc_lo, 0, v5
	v_add_nc_u32_e32 v5, 0xffffff89, v5
	v_cndmask_b32_e64 v7, v7, 0x77, vcc_lo
	v_cndmask_b32_e32 v6, v8, v6, vcc_lo
	v_cndmask_b32_e64 v5, v5, 0xffffff8a, vcc_lo
	v_lshl_add_u32 v8, 0x100000, v7, -1
	v_lshrrev_b32_e32 v9, v7, v6
	v_lshlrev_b32_e64 v11, v7, 0x80000
	v_add_nc_u32_e32 v7, v7, v5
	v_and_b32_e32 v6, v8, v6
	v_bfe_u32 v10, v9, 20, 1
	v_cmp_eq_u32_e64 s13, v6, v11
	v_add_nc_u32_e32 v8, -1, v10
	v_cndmask_b32_e64 v6, 0, v8, s13
	v_lshrrev_b32_e32 v8, 23, v9
	s_mov_b32 s13, exec_lo
	v_add_nc_u32_e32 v6, v6, v9
	v_xor_b32_e32 v8, 1, v8
	v_and_b32_e32 v5, 0xfffff, v6
	v_add_nc_u32_e32 v6, v5, v9
                                        ; implicit-def: $vgpr5
	v_cmpx_ne_u32_e64 v7, v8
	s_xor_b32 s13, exec_lo, s13
; %bb.693:                              ;   in Loop: Header=BB6_130 Depth=2
	v_cmp_lt_u32_e32 vcc_lo, 0xffffff, v6
	v_sub_nc_u32_e32 v5, v7, v8
	v_cndmask_b32_e64 v7, 0, 1, vcc_lo
	v_add_co_ci_u32_e64 v5, null, 0, v5, vcc_lo
	v_lshrrev_b32_e32 v6, v7, v6
; %bb.694:                              ;   in Loop: Header=BB6_130 Depth=2
	s_andn2_saveexec_b32 s13, s13
; %bb.695:                              ;   in Loop: Header=BB6_130 Depth=2
	v_bfe_u32 v5, v6, 23, 1
; %bb.696:                              ;   in Loop: Header=BB6_130 Depth=2
	s_or_b32 exec_lo, exec_lo, s13
	v_lshrrev_b32_e32 v6, 20, v6
	v_min_i32_e32 v7, 15, v5
	v_cmp_gt_i32_e32 vcc_lo, 16, v5
	v_and_b32_sdwa v4, v4, v114 dst_sel:DWORD dst_unused:UNUSED_PAD src0_sel:BYTE_3 src1_sel:DWORD
	v_lshlrev_b32_e32 v7, 3, v7
	v_cndmask_b32_e32 v6, 7, v6, vcc_lo
	v_and_b32_e32 v7, 0xf8, v7
	v_and_b32_e32 v8, 7, v6
	v_or_b32_e32 v5, v5, v6
	v_or3_b32 v4, v4, v7, v8
	v_cmp_ne_u32_e32 vcc_lo, 0, v5
	v_lshlrev_b32_e32 v4, 8, v4
	v_cndmask_b32_e32 v106, 0, v4, vcc_lo
.LBB6_697:                              ;   in Loop: Header=BB6_130 Depth=2
	s_or_b32 exec_lo, exec_lo, s42
.LBB6_698:                              ;   in Loop: Header=BB6_130 Depth=2
	s_or_b32 exec_lo, exec_lo, s41
	v_cmp_gt_i16_sdwa s41, v12, v113 src0_sel:BYTE_0 src1_sel:DWORD
	s_mov_b32 s13, 0
	s_and_saveexec_b32 s42, s41
	s_xor_b32 s41, exec_lo, s42
	s_cbranch_execz .LBB6_2392
; %bb.699:                              ;   in Loop: Header=BB6_130 Depth=2
	v_cmp_eq_u16_sdwa s43, v12, v114 src0_sel:BYTE_0 src1_sel:DWORD
	s_mov_b32 s13, -1
	s_and_saveexec_b32 s42, s43
; %bb.700:                              ;   in Loop: Header=BB6_130 Depth=2
	s_xor_b32 s13, exec_lo, -1
; %bb.701:                              ;   in Loop: Header=BB6_130 Depth=2
	s_or_b32 exec_lo, exec_lo, s42
	s_and_b32 s13, s13, exec_lo
	s_or_saveexec_b32 s41, s41
	v_mov_b32_e32 v4, 0x7f800001
	s_xor_b32 exec_lo, exec_lo, s41
	s_cbranch_execnz .LBB6_2393
.LBB6_702:                              ;   in Loop: Header=BB6_130 Depth=2
	s_or_b32 exec_lo, exec_lo, s41
	s_and_saveexec_b32 s41, s13
	s_cbranch_execz .LBB6_704
.LBB6_703:                              ;   in Loop: Header=BB6_130 Depth=2
	v_and_b32_e32 v4, 7, v12
	v_bfe_u32 v7, v12, 3, 4
	v_lshlrev_b32_e32 v8, 24, v12
	v_ffbh_u32_e32 v5, v4
	v_cmp_eq_u32_e32 vcc_lo, 0, v7
	v_min_u32_e32 v5, 32, v5
	v_subrev_nc_u32_e32 v6, 28, v5
	v_sub_nc_u32_e32 v5, 29, v5
	v_lshlrev_b32_e32 v6, v6, v12
	v_cndmask_b32_e32 v5, v7, v5, vcc_lo
	v_and_b32_e32 v6, 7, v6
	v_lshl_add_u32 v5, v5, 23, 0x3b800000
	v_cndmask_b32_e32 v4, v4, v6, vcc_lo
	v_and_b32_e32 v6, 0x80000000, v8
	v_lshlrev_b32_e32 v4, 20, v4
	v_or3_b32 v4, v6, v5, v4
.LBB6_704:                              ;   in Loop: Header=BB6_130 Depth=2
	s_or_b32 exec_lo, exec_lo, s41
	v_mul_f32_e32 v4, s40, v4
	v_mov_b32_e32 v94, 0x80
	s_mov_b32 s41, exec_lo
	v_and_b32_e32 v5, 0x7f800000, v4
	v_cmpx_ne_u32_e32 0x7f800000, v5
	s_cbranch_execz .LBB6_712
; %bb.705:                              ;   in Loop: Header=BB6_130 Depth=2
	v_mov_b32_e32 v94, 0
	s_mov_b32 s42, exec_lo
	v_cmpx_ne_u32_e32 0, v4
	s_cbranch_execz .LBB6_711
; %bb.706:                              ;   in Loop: Header=BB6_130 Depth=2
	v_bfe_u32 v5, v4, 23, 8
	v_and_b32_e32 v6, 0x7fffff, v4
	v_sub_nc_u32_e32 v7, 0x78, v5
	v_cmp_gt_u32_e32 vcc_lo, 0x79, v5
	v_or_b32_e32 v8, 0x800000, v6
	v_cndmask_b32_e32 v7, 0, v7, vcc_lo
	v_cmp_eq_u32_e32 vcc_lo, 0, v5
	v_add_nc_u32_e32 v5, 0xffffff89, v5
	v_cndmask_b32_e64 v7, v7, 0x77, vcc_lo
	v_cndmask_b32_e32 v6, v8, v6, vcc_lo
	v_cndmask_b32_e64 v5, v5, 0xffffff8a, vcc_lo
	v_lshl_add_u32 v8, 0x100000, v7, -1
	v_lshrrev_b32_e32 v9, v7, v6
	v_lshlrev_b32_e64 v11, v7, 0x80000
	v_add_nc_u32_e32 v7, v7, v5
	v_and_b32_e32 v6, v8, v6
	v_bfe_u32 v10, v9, 20, 1
	v_cmp_eq_u32_e64 s13, v6, v11
	v_add_nc_u32_e32 v8, -1, v10
	v_cndmask_b32_e64 v6, 0, v8, s13
	v_lshrrev_b32_e32 v8, 23, v9
	s_mov_b32 s13, exec_lo
	v_add_nc_u32_e32 v6, v6, v9
	v_xor_b32_e32 v8, 1, v8
	v_and_b32_e32 v5, 0xfffff, v6
	v_add_nc_u32_e32 v6, v5, v9
                                        ; implicit-def: $vgpr5
	v_cmpx_ne_u32_e64 v7, v8
	s_xor_b32 s13, exec_lo, s13
; %bb.707:                              ;   in Loop: Header=BB6_130 Depth=2
	v_cmp_lt_u32_e32 vcc_lo, 0xffffff, v6
	v_sub_nc_u32_e32 v5, v7, v8
	v_cndmask_b32_e64 v7, 0, 1, vcc_lo
	v_add_co_ci_u32_e64 v5, null, 0, v5, vcc_lo
	v_lshrrev_b32_e32 v6, v7, v6
; %bb.708:                              ;   in Loop: Header=BB6_130 Depth=2
	s_andn2_saveexec_b32 s13, s13
; %bb.709:                              ;   in Loop: Header=BB6_130 Depth=2
	v_bfe_u32 v5, v6, 23, 1
; %bb.710:                              ;   in Loop: Header=BB6_130 Depth=2
	s_or_b32 exec_lo, exec_lo, s13
	v_lshrrev_b32_e32 v6, 20, v6
	v_min_i32_e32 v7, 15, v5
	v_cmp_gt_i32_e32 vcc_lo, 16, v5
	v_and_b32_sdwa v4, v4, v114 dst_sel:DWORD dst_unused:UNUSED_PAD src0_sel:BYTE_3 src1_sel:DWORD
	v_lshlrev_b32_e32 v7, 3, v7
	v_cndmask_b32_e32 v6, 7, v6, vcc_lo
	v_and_b32_e32 v7, 0xf8, v7
	v_and_b32_e32 v8, 7, v6
	v_or_b32_e32 v5, v5, v6
	v_or3_b32 v4, v7, v4, v8
	v_cmp_ne_u32_e32 vcc_lo, 0, v5
	v_cndmask_b32_e32 v94, 0, v4, vcc_lo
.LBB6_711:                              ;   in Loop: Header=BB6_130 Depth=2
	s_or_b32 exec_lo, exec_lo, s42
.LBB6_712:                              ;   in Loop: Header=BB6_130 Depth=2
	s_or_b32 exec_lo, exec_lo, s41
	v_cmp_gt_i16_sdwa s41, v12, v113 src0_sel:BYTE_1 src1_sel:DWORD
	s_mov_b32 s13, 0
	s_and_saveexec_b32 s42, s41
	s_xor_b32 s41, exec_lo, s42
	s_cbranch_execz .LBB6_2394
; %bb.713:                              ;   in Loop: Header=BB6_130 Depth=2
	v_cmp_eq_u16_sdwa s43, v12, v114 src0_sel:BYTE_1 src1_sel:DWORD
	s_mov_b32 s13, -1
	s_and_saveexec_b32 s42, s43
; %bb.714:                              ;   in Loop: Header=BB6_130 Depth=2
	s_xor_b32 s13, exec_lo, -1
; %bb.715:                              ;   in Loop: Header=BB6_130 Depth=2
	s_or_b32 exec_lo, exec_lo, s42
	s_and_b32 s13, s13, exec_lo
	s_or_saveexec_b32 s41, s41
	v_mov_b32_e32 v4, 0x7f800001
	s_xor_b32 exec_lo, exec_lo, s41
	s_cbranch_execnz .LBB6_2395
.LBB6_716:                              ;   in Loop: Header=BB6_130 Depth=2
	s_or_b32 exec_lo, exec_lo, s41
	s_and_saveexec_b32 s41, s13
	s_cbranch_execz .LBB6_718
.LBB6_717:                              ;   in Loop: Header=BB6_130 Depth=2
	v_and_b32_sdwa v4, v115, v12 dst_sel:DWORD dst_unused:UNUSED_PAD src0_sel:DWORD src1_sel:BYTE_1
	v_and_b32_e32 v5, 7, v4
	v_bfe_u32 v8, v4, 3, 4
	v_ffbh_u32_e32 v6, v5
	v_cmp_eq_u32_e32 vcc_lo, 0, v8
	v_min_u32_e32 v6, 32, v6
	v_subrev_nc_u32_e32 v7, 28, v6
	v_sub_nc_u32_e32 v6, 29, v6
	v_lshlrev_b32_e32 v4, v7, v4
	v_lshlrev_b32_sdwa v7, v116, v12 dst_sel:DWORD dst_unused:UNUSED_PAD src0_sel:DWORD src1_sel:BYTE_1
	v_cndmask_b32_e32 v6, v8, v6, vcc_lo
	v_and_b32_e32 v4, 7, v4
	v_lshl_add_u32 v6, v6, 23, 0x3b800000
	v_cndmask_b32_e32 v4, v5, v4, vcc_lo
	v_and_b32_e32 v5, 0x80000000, v7
	v_lshlrev_b32_e32 v4, 20, v4
	v_or3_b32 v4, v5, v6, v4
.LBB6_718:                              ;   in Loop: Header=BB6_130 Depth=2
	s_or_b32 exec_lo, exec_lo, s41
	v_mul_f32_e32 v4, s40, v4
	v_mov_b32_e32 v95, 0x8000
	s_mov_b32 s41, exec_lo
	v_and_b32_e32 v5, 0x7f800000, v4
	v_cmpx_ne_u32_e32 0x7f800000, v5
	s_cbranch_execz .LBB6_726
; %bb.719:                              ;   in Loop: Header=BB6_130 Depth=2
	v_mov_b32_e32 v95, 0
	s_mov_b32 s42, exec_lo
	v_cmpx_ne_u32_e32 0, v4
	s_cbranch_execz .LBB6_725
; %bb.720:                              ;   in Loop: Header=BB6_130 Depth=2
	v_bfe_u32 v5, v4, 23, 8
	v_and_b32_e32 v6, 0x7fffff, v4
	v_sub_nc_u32_e32 v7, 0x78, v5
	v_cmp_gt_u32_e32 vcc_lo, 0x79, v5
	v_or_b32_e32 v8, 0x800000, v6
	v_cndmask_b32_e32 v7, 0, v7, vcc_lo
	v_cmp_eq_u32_e32 vcc_lo, 0, v5
	v_add_nc_u32_e32 v5, 0xffffff89, v5
	v_cndmask_b32_e64 v7, v7, 0x77, vcc_lo
	v_cndmask_b32_e32 v6, v8, v6, vcc_lo
	v_cndmask_b32_e64 v5, v5, 0xffffff8a, vcc_lo
	v_lshl_add_u32 v8, 0x100000, v7, -1
	v_lshrrev_b32_e32 v9, v7, v6
	v_lshlrev_b32_e64 v11, v7, 0x80000
	v_add_nc_u32_e32 v7, v7, v5
	v_and_b32_e32 v6, v8, v6
	v_bfe_u32 v10, v9, 20, 1
	v_cmp_eq_u32_e64 s13, v6, v11
	v_add_nc_u32_e32 v8, -1, v10
	v_cndmask_b32_e64 v6, 0, v8, s13
	v_lshrrev_b32_e32 v8, 23, v9
	s_mov_b32 s13, exec_lo
	v_add_nc_u32_e32 v6, v6, v9
	v_xor_b32_e32 v8, 1, v8
	v_and_b32_e32 v5, 0xfffff, v6
	v_add_nc_u32_e32 v6, v5, v9
                                        ; implicit-def: $vgpr5
	v_cmpx_ne_u32_e64 v7, v8
	s_xor_b32 s13, exec_lo, s13
; %bb.721:                              ;   in Loop: Header=BB6_130 Depth=2
	v_cmp_lt_u32_e32 vcc_lo, 0xffffff, v6
	v_sub_nc_u32_e32 v5, v7, v8
	v_cndmask_b32_e64 v7, 0, 1, vcc_lo
	v_add_co_ci_u32_e64 v5, null, 0, v5, vcc_lo
	v_lshrrev_b32_e32 v6, v7, v6
; %bb.722:                              ;   in Loop: Header=BB6_130 Depth=2
	s_andn2_saveexec_b32 s13, s13
; %bb.723:                              ;   in Loop: Header=BB6_130 Depth=2
	v_bfe_u32 v5, v6, 23, 1
; %bb.724:                              ;   in Loop: Header=BB6_130 Depth=2
	s_or_b32 exec_lo, exec_lo, s13
	v_lshrrev_b32_e32 v6, 20, v6
	v_min_i32_e32 v7, 15, v5
	v_cmp_gt_i32_e32 vcc_lo, 16, v5
	v_and_b32_sdwa v4, v4, v114 dst_sel:DWORD dst_unused:UNUSED_PAD src0_sel:BYTE_3 src1_sel:DWORD
	v_lshlrev_b32_e32 v7, 3, v7
	v_cndmask_b32_e32 v6, 7, v6, vcc_lo
	v_and_b32_e32 v7, 0xf8, v7
	v_and_b32_e32 v8, 7, v6
	v_or_b32_e32 v5, v5, v6
	v_or3_b32 v4, v4, v7, v8
	v_cmp_ne_u32_e32 vcc_lo, 0, v5
	v_lshlrev_b32_e32 v4, 8, v4
	v_cndmask_b32_e32 v95, 0, v4, vcc_lo
.LBB6_725:                              ;   in Loop: Header=BB6_130 Depth=2
	s_or_b32 exec_lo, exec_lo, s42
.LBB6_726:                              ;   in Loop: Header=BB6_130 Depth=2
	s_or_b32 exec_lo, exec_lo, s41
	v_and_b32_sdwa v5, v12, v117 dst_sel:DWORD dst_unused:UNUSED_PAD src0_sel:WORD_1 src1_sel:DWORD
	s_mov_b32 s13, 0
	s_mov_b32 s41, exec_lo
	v_cmpx_lt_i16_e32 0x7f, v5
	s_xor_b32 s41, exec_lo, s41
	s_cbranch_execz .LBB6_2396
; %bb.727:                              ;   in Loop: Header=BB6_130 Depth=2
	s_mov_b32 s13, -1
	s_mov_b32 s42, exec_lo
	v_cmpx_eq_u16_e32 0x80, v5
; %bb.728:                              ;   in Loop: Header=BB6_130 Depth=2
	s_xor_b32 s13, exec_lo, -1
; %bb.729:                              ;   in Loop: Header=BB6_130 Depth=2
	s_or_b32 exec_lo, exec_lo, s42
	s_and_b32 s13, s13, exec_lo
                                        ; implicit-def: $vgpr5
	s_or_saveexec_b32 s41, s41
	v_mov_b32_e32 v4, 0x7f800001
	s_xor_b32 exec_lo, exec_lo, s41
	s_cbranch_execnz .LBB6_2397
.LBB6_730:                              ;   in Loop: Header=BB6_130 Depth=2
	s_or_b32 exec_lo, exec_lo, s41
	s_and_saveexec_b32 s41, s13
	s_cbranch_execz .LBB6_732
.LBB6_731:                              ;   in Loop: Header=BB6_130 Depth=2
	v_bfe_u32 v4, v12, 16, 3
	v_bfe_u32 v7, v12, 19, 4
	v_lshlrev_b32_e32 v8, 8, v12
	v_ffbh_u32_e32 v5, v4
	v_cmp_eq_u32_e32 vcc_lo, 0, v7
	v_min_u32_e32 v5, 32, v5
	v_subrev_nc_u32_e32 v6, 28, v5
	v_sub_nc_u32_e32 v5, 29, v5
	v_lshlrev_b32_sdwa v6, v6, v12 dst_sel:DWORD dst_unused:UNUSED_PAD src0_sel:DWORD src1_sel:WORD_1
	v_cndmask_b32_e32 v5, v7, v5, vcc_lo
	v_and_b32_e32 v6, 7, v6
	v_lshl_add_u32 v5, v5, 23, 0x3b800000
	v_cndmask_b32_e32 v4, v4, v6, vcc_lo
	v_and_b32_e32 v6, 0x80000000, v8
	v_lshlrev_b32_e32 v4, 20, v4
	v_or3_b32 v4, v6, v5, v4
.LBB6_732:                              ;   in Loop: Header=BB6_130 Depth=2
	s_or_b32 exec_lo, exec_lo, s41
	v_mul_f32_e32 v4, s40, v4
	v_mov_b32_e32 v91, 0x80
	s_mov_b32 s41, exec_lo
	v_and_b32_e32 v5, 0x7f800000, v4
	v_cmpx_ne_u32_e32 0x7f800000, v5
	s_cbranch_execz .LBB6_740
; %bb.733:                              ;   in Loop: Header=BB6_130 Depth=2
	v_mov_b32_e32 v91, 0
	s_mov_b32 s42, exec_lo
	v_cmpx_ne_u32_e32 0, v4
	s_cbranch_execz .LBB6_739
; %bb.734:                              ;   in Loop: Header=BB6_130 Depth=2
	v_bfe_u32 v5, v4, 23, 8
	v_and_b32_e32 v6, 0x7fffff, v4
	v_sub_nc_u32_e32 v7, 0x78, v5
	v_cmp_gt_u32_e32 vcc_lo, 0x79, v5
	v_or_b32_e32 v8, 0x800000, v6
	v_cndmask_b32_e32 v7, 0, v7, vcc_lo
	v_cmp_eq_u32_e32 vcc_lo, 0, v5
	v_add_nc_u32_e32 v5, 0xffffff89, v5
	v_cndmask_b32_e64 v7, v7, 0x77, vcc_lo
	v_cndmask_b32_e32 v6, v8, v6, vcc_lo
	v_cndmask_b32_e64 v5, v5, 0xffffff8a, vcc_lo
	v_lshl_add_u32 v8, 0x100000, v7, -1
	v_lshrrev_b32_e32 v9, v7, v6
	v_lshlrev_b32_e64 v11, v7, 0x80000
	v_add_nc_u32_e32 v7, v7, v5
	v_and_b32_e32 v6, v8, v6
	v_bfe_u32 v10, v9, 20, 1
	v_cmp_eq_u32_e64 s13, v6, v11
	v_add_nc_u32_e32 v8, -1, v10
	v_cndmask_b32_e64 v6, 0, v8, s13
	v_lshrrev_b32_e32 v8, 23, v9
	s_mov_b32 s13, exec_lo
	v_add_nc_u32_e32 v6, v6, v9
	v_xor_b32_e32 v8, 1, v8
	v_and_b32_e32 v5, 0xfffff, v6
	v_add_nc_u32_e32 v6, v5, v9
                                        ; implicit-def: $vgpr5
	v_cmpx_ne_u32_e64 v7, v8
	s_xor_b32 s13, exec_lo, s13
; %bb.735:                              ;   in Loop: Header=BB6_130 Depth=2
	v_cmp_lt_u32_e32 vcc_lo, 0xffffff, v6
	v_sub_nc_u32_e32 v5, v7, v8
	v_cndmask_b32_e64 v7, 0, 1, vcc_lo
	v_add_co_ci_u32_e64 v5, null, 0, v5, vcc_lo
	v_lshrrev_b32_e32 v6, v7, v6
; %bb.736:                              ;   in Loop: Header=BB6_130 Depth=2
	s_andn2_saveexec_b32 s13, s13
; %bb.737:                              ;   in Loop: Header=BB6_130 Depth=2
	v_bfe_u32 v5, v6, 23, 1
; %bb.738:                              ;   in Loop: Header=BB6_130 Depth=2
	s_or_b32 exec_lo, exec_lo, s13
	v_lshrrev_b32_e32 v6, 20, v6
	v_min_i32_e32 v7, 15, v5
	v_cmp_gt_i32_e32 vcc_lo, 16, v5
	v_and_b32_sdwa v4, v4, v114 dst_sel:DWORD dst_unused:UNUSED_PAD src0_sel:BYTE_3 src1_sel:DWORD
	v_lshlrev_b32_e32 v7, 3, v7
	v_cndmask_b32_e32 v6, 7, v6, vcc_lo
	v_and_b32_e32 v7, 0xf8, v7
	v_and_b32_e32 v8, 7, v6
	v_or_b32_e32 v5, v5, v6
	v_or3_b32 v4, v7, v4, v8
	v_cmp_ne_u32_e32 vcc_lo, 0, v5
	v_cndmask_b32_e32 v91, 0, v4, vcc_lo
.LBB6_739:                              ;   in Loop: Header=BB6_130 Depth=2
	s_or_b32 exec_lo, exec_lo, s42
.LBB6_740:                              ;   in Loop: Header=BB6_130 Depth=2
	s_or_b32 exec_lo, exec_lo, s41
	v_cmp_gt_i16_sdwa s41, v12, v113 src0_sel:BYTE_3 src1_sel:DWORD
	s_mov_b32 s13, 0
	s_and_saveexec_b32 s42, s41
	s_xor_b32 s41, exec_lo, s42
	s_cbranch_execz .LBB6_2398
; %bb.741:                              ;   in Loop: Header=BB6_130 Depth=2
	v_cmp_eq_u16_sdwa s43, v12, v114 src0_sel:BYTE_3 src1_sel:DWORD
	s_mov_b32 s13, -1
	s_and_saveexec_b32 s42, s43
; %bb.742:                              ;   in Loop: Header=BB6_130 Depth=2
	s_xor_b32 s13, exec_lo, -1
; %bb.743:                              ;   in Loop: Header=BB6_130 Depth=2
	s_or_b32 exec_lo, exec_lo, s42
	s_and_b32 s13, s13, exec_lo
	s_or_saveexec_b32 s41, s41
	v_mov_b32_e32 v4, 0x7f800001
	s_xor_b32 exec_lo, exec_lo, s41
	s_cbranch_execnz .LBB6_2399
.LBB6_744:                              ;   in Loop: Header=BB6_130 Depth=2
	s_or_b32 exec_lo, exec_lo, s41
	s_and_saveexec_b32 s41, s13
	s_cbranch_execz .LBB6_746
.LBB6_745:                              ;   in Loop: Header=BB6_130 Depth=2
	v_bfe_u32 v4, v12, 24, 3
	v_bfe_u32 v7, v12, 27, 4
	v_ffbh_u32_e32 v5, v4
	v_cmp_eq_u32_e32 vcc_lo, 0, v7
	v_min_u32_e32 v5, 32, v5
	v_subrev_nc_u32_e32 v6, 28, v5
	v_sub_nc_u32_e32 v5, 29, v5
	v_lshlrev_b32_sdwa v6, v6, v12 dst_sel:DWORD dst_unused:UNUSED_PAD src0_sel:DWORD src1_sel:BYTE_3
	v_cndmask_b32_e32 v5, v7, v5, vcc_lo
	v_and_b32_e32 v6, 7, v6
	v_lshl_add_u32 v5, v5, 23, 0x3b800000
	v_cndmask_b32_e32 v4, v4, v6, vcc_lo
	v_and_b32_e32 v6, 0x80000000, v12
	v_lshlrev_b32_e32 v4, 20, v4
	v_or3_b32 v4, v6, v5, v4
.LBB6_746:                              ;   in Loop: Header=BB6_130 Depth=2
	s_or_b32 exec_lo, exec_lo, s41
	v_mul_f32_e32 v4, s40, v4
	v_mov_b32_e32 v92, 0x8000
	s_mov_b32 s41, exec_lo
	v_and_b32_e32 v5, 0x7f800000, v4
	v_cmpx_ne_u32_e32 0x7f800000, v5
	s_cbranch_execz .LBB6_754
; %bb.747:                              ;   in Loop: Header=BB6_130 Depth=2
	v_mov_b32_e32 v92, 0
	s_mov_b32 s42, exec_lo
	v_cmpx_ne_u32_e32 0, v4
	s_cbranch_execz .LBB6_753
; %bb.748:                              ;   in Loop: Header=BB6_130 Depth=2
	v_bfe_u32 v5, v4, 23, 8
	v_and_b32_e32 v6, 0x7fffff, v4
	v_sub_nc_u32_e32 v7, 0x78, v5
	v_cmp_gt_u32_e32 vcc_lo, 0x79, v5
	v_or_b32_e32 v8, 0x800000, v6
	v_cndmask_b32_e32 v7, 0, v7, vcc_lo
	v_cmp_eq_u32_e32 vcc_lo, 0, v5
	v_add_nc_u32_e32 v5, 0xffffff89, v5
	v_cndmask_b32_e64 v7, v7, 0x77, vcc_lo
	v_cndmask_b32_e32 v6, v8, v6, vcc_lo
	v_cndmask_b32_e64 v5, v5, 0xffffff8a, vcc_lo
	v_lshl_add_u32 v8, 0x100000, v7, -1
	v_lshrrev_b32_e32 v9, v7, v6
	v_lshlrev_b32_e64 v11, v7, 0x80000
	v_add_nc_u32_e32 v7, v7, v5
	v_and_b32_e32 v6, v8, v6
	v_bfe_u32 v10, v9, 20, 1
	v_cmp_eq_u32_e64 s13, v6, v11
	v_add_nc_u32_e32 v8, -1, v10
	v_cndmask_b32_e64 v6, 0, v8, s13
	v_lshrrev_b32_e32 v8, 23, v9
	s_mov_b32 s13, exec_lo
	v_add_nc_u32_e32 v6, v6, v9
	v_xor_b32_e32 v8, 1, v8
	v_and_b32_e32 v5, 0xfffff, v6
	v_add_nc_u32_e32 v6, v5, v9
                                        ; implicit-def: $vgpr5
	v_cmpx_ne_u32_e64 v7, v8
	s_xor_b32 s13, exec_lo, s13
; %bb.749:                              ;   in Loop: Header=BB6_130 Depth=2
	v_cmp_lt_u32_e32 vcc_lo, 0xffffff, v6
	v_sub_nc_u32_e32 v5, v7, v8
	v_cndmask_b32_e64 v7, 0, 1, vcc_lo
	v_add_co_ci_u32_e64 v5, null, 0, v5, vcc_lo
	v_lshrrev_b32_e32 v6, v7, v6
; %bb.750:                              ;   in Loop: Header=BB6_130 Depth=2
	s_andn2_saveexec_b32 s13, s13
; %bb.751:                              ;   in Loop: Header=BB6_130 Depth=2
	v_bfe_u32 v5, v6, 23, 1
; %bb.752:                              ;   in Loop: Header=BB6_130 Depth=2
	s_or_b32 exec_lo, exec_lo, s13
	v_lshrrev_b32_e32 v6, 20, v6
	v_min_i32_e32 v7, 15, v5
	v_cmp_gt_i32_e32 vcc_lo, 16, v5
	v_and_b32_sdwa v4, v4, v114 dst_sel:DWORD dst_unused:UNUSED_PAD src0_sel:BYTE_3 src1_sel:DWORD
	v_lshlrev_b32_e32 v7, 3, v7
	v_cndmask_b32_e32 v6, 7, v6, vcc_lo
	v_and_b32_e32 v7, 0xf8, v7
	v_and_b32_e32 v8, 7, v6
	v_or_b32_e32 v5, v5, v6
	v_or3_b32 v4, v4, v7, v8
	v_cmp_ne_u32_e32 vcc_lo, 0, v5
	v_lshlrev_b32_e32 v4, 8, v4
	v_cndmask_b32_e32 v92, 0, v4, vcc_lo
.LBB6_753:                              ;   in Loop: Header=BB6_130 Depth=2
	s_or_b32 exec_lo, exec_lo, s42
.LBB6_754:                              ;   in Loop: Header=BB6_130 Depth=2
	s_or_b32 exec_lo, exec_lo, s41
	v_cmp_gt_i16_sdwa s41, v13, v113 src0_sel:BYTE_0 src1_sel:DWORD
	s_mov_b32 s13, 0
	s_and_saveexec_b32 s42, s41
	s_xor_b32 s41, exec_lo, s42
	s_cbranch_execz .LBB6_2400
; %bb.755:                              ;   in Loop: Header=BB6_130 Depth=2
	v_cmp_eq_u16_sdwa s43, v13, v114 src0_sel:BYTE_0 src1_sel:DWORD
	s_mov_b32 s13, -1
	s_and_saveexec_b32 s42, s43
; %bb.756:                              ;   in Loop: Header=BB6_130 Depth=2
	s_xor_b32 s13, exec_lo, -1
; %bb.757:                              ;   in Loop: Header=BB6_130 Depth=2
	s_or_b32 exec_lo, exec_lo, s42
	s_and_b32 s13, s13, exec_lo
	s_or_saveexec_b32 s41, s41
	v_mov_b32_e32 v4, 0x7f800001
	s_xor_b32 exec_lo, exec_lo, s41
	s_cbranch_execnz .LBB6_2401
.LBB6_758:                              ;   in Loop: Header=BB6_130 Depth=2
	s_or_b32 exec_lo, exec_lo, s41
	s_and_saveexec_b32 s41, s13
	s_cbranch_execz .LBB6_760
.LBB6_759:                              ;   in Loop: Header=BB6_130 Depth=2
	v_and_b32_e32 v4, 7, v13
	v_bfe_u32 v7, v13, 3, 4
	v_lshlrev_b32_e32 v8, 24, v13
	v_ffbh_u32_e32 v5, v4
	v_cmp_eq_u32_e32 vcc_lo, 0, v7
	v_min_u32_e32 v5, 32, v5
	v_subrev_nc_u32_e32 v6, 28, v5
	v_sub_nc_u32_e32 v5, 29, v5
	v_lshlrev_b32_e32 v6, v6, v13
	v_cndmask_b32_e32 v5, v7, v5, vcc_lo
	v_and_b32_e32 v6, 7, v6
	v_lshl_add_u32 v5, v5, 23, 0x3b800000
	v_cndmask_b32_e32 v4, v4, v6, vcc_lo
	v_and_b32_e32 v6, 0x80000000, v8
	v_lshlrev_b32_e32 v4, 20, v4
	v_or3_b32 v4, v6, v5, v4
.LBB6_760:                              ;   in Loop: Header=BB6_130 Depth=2
	s_or_b32 exec_lo, exec_lo, s41
	v_mul_f32_e32 v4, s40, v4
	v_mov_b32_e32 v88, 0x80
	s_mov_b32 s41, exec_lo
	v_and_b32_e32 v5, 0x7f800000, v4
	v_cmpx_ne_u32_e32 0x7f800000, v5
	s_cbranch_execz .LBB6_768
; %bb.761:                              ;   in Loop: Header=BB6_130 Depth=2
	v_mov_b32_e32 v88, 0
	s_mov_b32 s42, exec_lo
	v_cmpx_ne_u32_e32 0, v4
	s_cbranch_execz .LBB6_767
; %bb.762:                              ;   in Loop: Header=BB6_130 Depth=2
	v_bfe_u32 v5, v4, 23, 8
	v_and_b32_e32 v6, 0x7fffff, v4
	v_sub_nc_u32_e32 v7, 0x78, v5
	v_cmp_gt_u32_e32 vcc_lo, 0x79, v5
	v_or_b32_e32 v8, 0x800000, v6
	v_cndmask_b32_e32 v7, 0, v7, vcc_lo
	v_cmp_eq_u32_e32 vcc_lo, 0, v5
	v_add_nc_u32_e32 v5, 0xffffff89, v5
	v_cndmask_b32_e64 v7, v7, 0x77, vcc_lo
	v_cndmask_b32_e32 v6, v8, v6, vcc_lo
	v_cndmask_b32_e64 v5, v5, 0xffffff8a, vcc_lo
	v_lshl_add_u32 v8, 0x100000, v7, -1
	v_lshrrev_b32_e32 v9, v7, v6
	v_lshlrev_b32_e64 v11, v7, 0x80000
	v_add_nc_u32_e32 v7, v7, v5
	v_and_b32_e32 v6, v8, v6
	v_bfe_u32 v10, v9, 20, 1
	v_cmp_eq_u32_e64 s13, v6, v11
	v_add_nc_u32_e32 v8, -1, v10
	v_cndmask_b32_e64 v6, 0, v8, s13
	v_lshrrev_b32_e32 v8, 23, v9
	s_mov_b32 s13, exec_lo
	v_add_nc_u32_e32 v6, v6, v9
	v_xor_b32_e32 v8, 1, v8
	v_and_b32_e32 v5, 0xfffff, v6
	v_add_nc_u32_e32 v6, v5, v9
                                        ; implicit-def: $vgpr5
	v_cmpx_ne_u32_e64 v7, v8
	s_xor_b32 s13, exec_lo, s13
; %bb.763:                              ;   in Loop: Header=BB6_130 Depth=2
	v_cmp_lt_u32_e32 vcc_lo, 0xffffff, v6
	v_sub_nc_u32_e32 v5, v7, v8
	v_cndmask_b32_e64 v7, 0, 1, vcc_lo
	v_add_co_ci_u32_e64 v5, null, 0, v5, vcc_lo
	v_lshrrev_b32_e32 v6, v7, v6
; %bb.764:                              ;   in Loop: Header=BB6_130 Depth=2
	s_andn2_saveexec_b32 s13, s13
; %bb.765:                              ;   in Loop: Header=BB6_130 Depth=2
	v_bfe_u32 v5, v6, 23, 1
; %bb.766:                              ;   in Loop: Header=BB6_130 Depth=2
	s_or_b32 exec_lo, exec_lo, s13
	v_lshrrev_b32_e32 v6, 20, v6
	v_min_i32_e32 v7, 15, v5
	v_cmp_gt_i32_e32 vcc_lo, 16, v5
	v_and_b32_sdwa v4, v4, v114 dst_sel:DWORD dst_unused:UNUSED_PAD src0_sel:BYTE_3 src1_sel:DWORD
	v_lshlrev_b32_e32 v7, 3, v7
	v_cndmask_b32_e32 v6, 7, v6, vcc_lo
	v_and_b32_e32 v7, 0xf8, v7
	v_and_b32_e32 v8, 7, v6
	v_or_b32_e32 v5, v5, v6
	v_or3_b32 v4, v7, v4, v8
	v_cmp_ne_u32_e32 vcc_lo, 0, v5
	v_cndmask_b32_e32 v88, 0, v4, vcc_lo
.LBB6_767:                              ;   in Loop: Header=BB6_130 Depth=2
	s_or_b32 exec_lo, exec_lo, s42
.LBB6_768:                              ;   in Loop: Header=BB6_130 Depth=2
	s_or_b32 exec_lo, exec_lo, s41
	v_cmp_gt_i16_sdwa s41, v13, v113 src0_sel:BYTE_1 src1_sel:DWORD
	s_mov_b32 s13, 0
	s_and_saveexec_b32 s42, s41
	s_xor_b32 s41, exec_lo, s42
	s_cbranch_execz .LBB6_2402
; %bb.769:                              ;   in Loop: Header=BB6_130 Depth=2
	v_cmp_eq_u16_sdwa s43, v13, v114 src0_sel:BYTE_1 src1_sel:DWORD
	s_mov_b32 s13, -1
	s_and_saveexec_b32 s42, s43
; %bb.770:                              ;   in Loop: Header=BB6_130 Depth=2
	s_xor_b32 s13, exec_lo, -1
; %bb.771:                              ;   in Loop: Header=BB6_130 Depth=2
	s_or_b32 exec_lo, exec_lo, s42
	s_and_b32 s13, s13, exec_lo
	s_or_saveexec_b32 s41, s41
	v_mov_b32_e32 v4, 0x7f800001
	s_xor_b32 exec_lo, exec_lo, s41
	s_cbranch_execnz .LBB6_2403
.LBB6_772:                              ;   in Loop: Header=BB6_130 Depth=2
	s_or_b32 exec_lo, exec_lo, s41
	s_and_saveexec_b32 s41, s13
	s_cbranch_execz .LBB6_774
.LBB6_773:                              ;   in Loop: Header=BB6_130 Depth=2
	v_and_b32_sdwa v4, v115, v13 dst_sel:DWORD dst_unused:UNUSED_PAD src0_sel:DWORD src1_sel:BYTE_1
	v_and_b32_e32 v5, 7, v4
	v_bfe_u32 v8, v4, 3, 4
	v_ffbh_u32_e32 v6, v5
	v_cmp_eq_u32_e32 vcc_lo, 0, v8
	v_min_u32_e32 v6, 32, v6
	v_subrev_nc_u32_e32 v7, 28, v6
	v_sub_nc_u32_e32 v6, 29, v6
	v_lshlrev_b32_e32 v4, v7, v4
	v_lshlrev_b32_sdwa v7, v116, v13 dst_sel:DWORD dst_unused:UNUSED_PAD src0_sel:DWORD src1_sel:BYTE_1
	v_cndmask_b32_e32 v6, v8, v6, vcc_lo
	v_and_b32_e32 v4, 7, v4
	v_lshl_add_u32 v6, v6, 23, 0x3b800000
	v_cndmask_b32_e32 v4, v5, v4, vcc_lo
	v_and_b32_e32 v5, 0x80000000, v7
	v_lshlrev_b32_e32 v4, 20, v4
	v_or3_b32 v4, v5, v6, v4
.LBB6_774:                              ;   in Loop: Header=BB6_130 Depth=2
	s_or_b32 exec_lo, exec_lo, s41
	v_mul_f32_e32 v4, s40, v4
	v_mov_b32_e32 v89, 0x8000
	s_mov_b32 s41, exec_lo
	v_and_b32_e32 v5, 0x7f800000, v4
	v_cmpx_ne_u32_e32 0x7f800000, v5
	s_cbranch_execz .LBB6_782
; %bb.775:                              ;   in Loop: Header=BB6_130 Depth=2
	v_mov_b32_e32 v89, 0
	s_mov_b32 s42, exec_lo
	v_cmpx_ne_u32_e32 0, v4
	s_cbranch_execz .LBB6_781
; %bb.776:                              ;   in Loop: Header=BB6_130 Depth=2
	v_bfe_u32 v5, v4, 23, 8
	v_and_b32_e32 v6, 0x7fffff, v4
	v_sub_nc_u32_e32 v7, 0x78, v5
	v_cmp_gt_u32_e32 vcc_lo, 0x79, v5
	v_or_b32_e32 v8, 0x800000, v6
	v_cndmask_b32_e32 v7, 0, v7, vcc_lo
	v_cmp_eq_u32_e32 vcc_lo, 0, v5
	v_add_nc_u32_e32 v5, 0xffffff89, v5
	v_cndmask_b32_e64 v7, v7, 0x77, vcc_lo
	v_cndmask_b32_e32 v6, v8, v6, vcc_lo
	v_cndmask_b32_e64 v5, v5, 0xffffff8a, vcc_lo
	v_lshl_add_u32 v8, 0x100000, v7, -1
	v_lshrrev_b32_e32 v9, v7, v6
	v_lshlrev_b32_e64 v11, v7, 0x80000
	v_add_nc_u32_e32 v7, v7, v5
	v_and_b32_e32 v6, v8, v6
	v_bfe_u32 v10, v9, 20, 1
	v_cmp_eq_u32_e64 s13, v6, v11
	v_add_nc_u32_e32 v8, -1, v10
	v_cndmask_b32_e64 v6, 0, v8, s13
	v_lshrrev_b32_e32 v8, 23, v9
	s_mov_b32 s13, exec_lo
	v_add_nc_u32_e32 v6, v6, v9
	v_xor_b32_e32 v8, 1, v8
	v_and_b32_e32 v5, 0xfffff, v6
	v_add_nc_u32_e32 v6, v5, v9
                                        ; implicit-def: $vgpr5
	v_cmpx_ne_u32_e64 v7, v8
	s_xor_b32 s13, exec_lo, s13
; %bb.777:                              ;   in Loop: Header=BB6_130 Depth=2
	v_cmp_lt_u32_e32 vcc_lo, 0xffffff, v6
	v_sub_nc_u32_e32 v5, v7, v8
	v_cndmask_b32_e64 v7, 0, 1, vcc_lo
	v_add_co_ci_u32_e64 v5, null, 0, v5, vcc_lo
	v_lshrrev_b32_e32 v6, v7, v6
; %bb.778:                              ;   in Loop: Header=BB6_130 Depth=2
	s_andn2_saveexec_b32 s13, s13
; %bb.779:                              ;   in Loop: Header=BB6_130 Depth=2
	v_bfe_u32 v5, v6, 23, 1
; %bb.780:                              ;   in Loop: Header=BB6_130 Depth=2
	s_or_b32 exec_lo, exec_lo, s13
	v_lshrrev_b32_e32 v6, 20, v6
	v_min_i32_e32 v7, 15, v5
	v_cmp_gt_i32_e32 vcc_lo, 16, v5
	v_and_b32_sdwa v4, v4, v114 dst_sel:DWORD dst_unused:UNUSED_PAD src0_sel:BYTE_3 src1_sel:DWORD
	v_lshlrev_b32_e32 v7, 3, v7
	v_cndmask_b32_e32 v6, 7, v6, vcc_lo
	v_and_b32_e32 v7, 0xf8, v7
	v_and_b32_e32 v8, 7, v6
	v_or_b32_e32 v5, v5, v6
	v_or3_b32 v4, v4, v7, v8
	v_cmp_ne_u32_e32 vcc_lo, 0, v5
	v_lshlrev_b32_e32 v4, 8, v4
	v_cndmask_b32_e32 v89, 0, v4, vcc_lo
.LBB6_781:                              ;   in Loop: Header=BB6_130 Depth=2
	s_or_b32 exec_lo, exec_lo, s42
.LBB6_782:                              ;   in Loop: Header=BB6_130 Depth=2
	s_or_b32 exec_lo, exec_lo, s41
	v_and_b32_sdwa v5, v13, v117 dst_sel:DWORD dst_unused:UNUSED_PAD src0_sel:WORD_1 src1_sel:DWORD
	s_mov_b32 s13, 0
	s_mov_b32 s41, exec_lo
	v_cmpx_lt_i16_e32 0x7f, v5
	s_xor_b32 s41, exec_lo, s41
	s_cbranch_execz .LBB6_2404
; %bb.783:                              ;   in Loop: Header=BB6_130 Depth=2
	s_mov_b32 s13, -1
	s_mov_b32 s42, exec_lo
	v_cmpx_eq_u16_e32 0x80, v5
; %bb.784:                              ;   in Loop: Header=BB6_130 Depth=2
	s_xor_b32 s13, exec_lo, -1
; %bb.785:                              ;   in Loop: Header=BB6_130 Depth=2
	s_or_b32 exec_lo, exec_lo, s42
	s_and_b32 s13, s13, exec_lo
                                        ; implicit-def: $vgpr5
	s_or_saveexec_b32 s41, s41
	v_mov_b32_e32 v4, 0x7f800001
	s_xor_b32 exec_lo, exec_lo, s41
	s_cbranch_execnz .LBB6_2405
.LBB6_786:                              ;   in Loop: Header=BB6_130 Depth=2
	s_or_b32 exec_lo, exec_lo, s41
	s_and_saveexec_b32 s41, s13
	s_cbranch_execz .LBB6_788
.LBB6_787:                              ;   in Loop: Header=BB6_130 Depth=2
	v_bfe_u32 v4, v13, 16, 3
	v_bfe_u32 v7, v13, 19, 4
	v_lshlrev_b32_e32 v8, 8, v13
	v_ffbh_u32_e32 v5, v4
	v_cmp_eq_u32_e32 vcc_lo, 0, v7
	v_min_u32_e32 v5, 32, v5
	v_subrev_nc_u32_e32 v6, 28, v5
	v_sub_nc_u32_e32 v5, 29, v5
	v_lshlrev_b32_sdwa v6, v6, v13 dst_sel:DWORD dst_unused:UNUSED_PAD src0_sel:DWORD src1_sel:WORD_1
	v_cndmask_b32_e32 v5, v7, v5, vcc_lo
	v_and_b32_e32 v6, 7, v6
	v_lshl_add_u32 v5, v5, 23, 0x3b800000
	v_cndmask_b32_e32 v4, v4, v6, vcc_lo
	v_and_b32_e32 v6, 0x80000000, v8
	v_lshlrev_b32_e32 v4, 20, v4
	v_or3_b32 v4, v6, v5, v4
.LBB6_788:                              ;   in Loop: Header=BB6_130 Depth=2
	s_or_b32 exec_lo, exec_lo, s41
	v_mul_f32_e32 v4, s40, v4
	v_mov_b32_e32 v78, 0x80
	s_mov_b32 s41, exec_lo
	v_and_b32_e32 v5, 0x7f800000, v4
	v_cmpx_ne_u32_e32 0x7f800000, v5
	s_cbranch_execz .LBB6_796
; %bb.789:                              ;   in Loop: Header=BB6_130 Depth=2
	v_mov_b32_e32 v78, 0
	s_mov_b32 s42, exec_lo
	v_cmpx_ne_u32_e32 0, v4
	s_cbranch_execz .LBB6_795
; %bb.790:                              ;   in Loop: Header=BB6_130 Depth=2
	v_bfe_u32 v5, v4, 23, 8
	v_and_b32_e32 v6, 0x7fffff, v4
	v_sub_nc_u32_e32 v7, 0x78, v5
	v_cmp_gt_u32_e32 vcc_lo, 0x79, v5
	v_or_b32_e32 v8, 0x800000, v6
	v_cndmask_b32_e32 v7, 0, v7, vcc_lo
	v_cmp_eq_u32_e32 vcc_lo, 0, v5
	v_add_nc_u32_e32 v5, 0xffffff89, v5
	v_cndmask_b32_e64 v7, v7, 0x77, vcc_lo
	v_cndmask_b32_e32 v6, v8, v6, vcc_lo
	v_cndmask_b32_e64 v5, v5, 0xffffff8a, vcc_lo
	v_lshl_add_u32 v8, 0x100000, v7, -1
	v_lshrrev_b32_e32 v9, v7, v6
	v_lshlrev_b32_e64 v11, v7, 0x80000
	v_add_nc_u32_e32 v7, v7, v5
	v_and_b32_e32 v6, v8, v6
	v_bfe_u32 v10, v9, 20, 1
	v_cmp_eq_u32_e64 s13, v6, v11
	v_add_nc_u32_e32 v8, -1, v10
	v_cndmask_b32_e64 v6, 0, v8, s13
	v_lshrrev_b32_e32 v8, 23, v9
	s_mov_b32 s13, exec_lo
	v_add_nc_u32_e32 v6, v6, v9
	v_xor_b32_e32 v8, 1, v8
	v_and_b32_e32 v5, 0xfffff, v6
	v_add_nc_u32_e32 v6, v5, v9
                                        ; implicit-def: $vgpr5
	v_cmpx_ne_u32_e64 v7, v8
	s_xor_b32 s13, exec_lo, s13
; %bb.791:                              ;   in Loop: Header=BB6_130 Depth=2
	v_cmp_lt_u32_e32 vcc_lo, 0xffffff, v6
	v_sub_nc_u32_e32 v5, v7, v8
	v_cndmask_b32_e64 v7, 0, 1, vcc_lo
	v_add_co_ci_u32_e64 v5, null, 0, v5, vcc_lo
	v_lshrrev_b32_e32 v6, v7, v6
; %bb.792:                              ;   in Loop: Header=BB6_130 Depth=2
	s_andn2_saveexec_b32 s13, s13
; %bb.793:                              ;   in Loop: Header=BB6_130 Depth=2
	v_bfe_u32 v5, v6, 23, 1
; %bb.794:                              ;   in Loop: Header=BB6_130 Depth=2
	s_or_b32 exec_lo, exec_lo, s13
	v_lshrrev_b32_e32 v6, 20, v6
	v_min_i32_e32 v7, 15, v5
	v_cmp_gt_i32_e32 vcc_lo, 16, v5
	v_and_b32_sdwa v4, v4, v114 dst_sel:DWORD dst_unused:UNUSED_PAD src0_sel:BYTE_3 src1_sel:DWORD
	v_lshlrev_b32_e32 v7, 3, v7
	v_cndmask_b32_e32 v6, 7, v6, vcc_lo
	v_and_b32_e32 v7, 0xf8, v7
	v_and_b32_e32 v8, 7, v6
	v_or_b32_e32 v5, v5, v6
	v_or3_b32 v4, v7, v4, v8
	v_cmp_ne_u32_e32 vcc_lo, 0, v5
	v_cndmask_b32_e32 v78, 0, v4, vcc_lo
.LBB6_795:                              ;   in Loop: Header=BB6_130 Depth=2
	s_or_b32 exec_lo, exec_lo, s42
.LBB6_796:                              ;   in Loop: Header=BB6_130 Depth=2
	s_or_b32 exec_lo, exec_lo, s41
	v_cmp_gt_i16_sdwa s41, v13, v113 src0_sel:BYTE_3 src1_sel:DWORD
	s_mov_b32 s13, 0
	s_and_saveexec_b32 s42, s41
	s_xor_b32 s41, exec_lo, s42
	s_cbranch_execz .LBB6_2406
; %bb.797:                              ;   in Loop: Header=BB6_130 Depth=2
	v_cmp_eq_u16_sdwa s43, v13, v114 src0_sel:BYTE_3 src1_sel:DWORD
	s_mov_b32 s13, -1
	s_and_saveexec_b32 s42, s43
; %bb.798:                              ;   in Loop: Header=BB6_130 Depth=2
	s_xor_b32 s13, exec_lo, -1
; %bb.799:                              ;   in Loop: Header=BB6_130 Depth=2
	s_or_b32 exec_lo, exec_lo, s42
	s_and_b32 s13, s13, exec_lo
	s_or_saveexec_b32 s41, s41
	v_mov_b32_e32 v4, 0x7f800001
	s_xor_b32 exec_lo, exec_lo, s41
	s_cbranch_execnz .LBB6_2407
.LBB6_800:                              ;   in Loop: Header=BB6_130 Depth=2
	s_or_b32 exec_lo, exec_lo, s41
	s_and_saveexec_b32 s41, s13
	s_cbranch_execz .LBB6_802
.LBB6_801:                              ;   in Loop: Header=BB6_130 Depth=2
	v_bfe_u32 v4, v13, 24, 3
	v_bfe_u32 v7, v13, 27, 4
	v_ffbh_u32_e32 v5, v4
	v_cmp_eq_u32_e32 vcc_lo, 0, v7
	v_min_u32_e32 v5, 32, v5
	v_subrev_nc_u32_e32 v6, 28, v5
	v_sub_nc_u32_e32 v5, 29, v5
	v_lshlrev_b32_sdwa v6, v6, v13 dst_sel:DWORD dst_unused:UNUSED_PAD src0_sel:DWORD src1_sel:BYTE_3
	v_cndmask_b32_e32 v5, v7, v5, vcc_lo
	v_and_b32_e32 v6, 7, v6
	v_lshl_add_u32 v5, v5, 23, 0x3b800000
	v_cndmask_b32_e32 v4, v4, v6, vcc_lo
	v_and_b32_e32 v6, 0x80000000, v13
	v_lshlrev_b32_e32 v4, 20, v4
	v_or3_b32 v4, v6, v5, v4
.LBB6_802:                              ;   in Loop: Header=BB6_130 Depth=2
	s_or_b32 exec_lo, exec_lo, s41
	v_mul_f32_e32 v4, s40, v4
	v_mov_b32_e32 v79, 0x8000
	s_mov_b32 s41, exec_lo
	v_and_b32_e32 v5, 0x7f800000, v4
	v_cmpx_ne_u32_e32 0x7f800000, v5
	s_cbranch_execz .LBB6_810
; %bb.803:                              ;   in Loop: Header=BB6_130 Depth=2
	v_mov_b32_e32 v79, 0
	s_mov_b32 s42, exec_lo
	v_cmpx_ne_u32_e32 0, v4
	s_cbranch_execz .LBB6_809
; %bb.804:                              ;   in Loop: Header=BB6_130 Depth=2
	v_bfe_u32 v5, v4, 23, 8
	v_and_b32_e32 v6, 0x7fffff, v4
	v_sub_nc_u32_e32 v7, 0x78, v5
	v_cmp_gt_u32_e32 vcc_lo, 0x79, v5
	v_or_b32_e32 v8, 0x800000, v6
	v_cndmask_b32_e32 v7, 0, v7, vcc_lo
	v_cmp_eq_u32_e32 vcc_lo, 0, v5
	v_add_nc_u32_e32 v5, 0xffffff89, v5
	v_cndmask_b32_e64 v7, v7, 0x77, vcc_lo
	v_cndmask_b32_e32 v6, v8, v6, vcc_lo
	v_cndmask_b32_e64 v5, v5, 0xffffff8a, vcc_lo
	v_lshl_add_u32 v8, 0x100000, v7, -1
	v_lshrrev_b32_e32 v9, v7, v6
	v_lshlrev_b32_e64 v11, v7, 0x80000
	v_add_nc_u32_e32 v7, v7, v5
	v_and_b32_e32 v6, v8, v6
	v_bfe_u32 v10, v9, 20, 1
	v_cmp_eq_u32_e64 s13, v6, v11
	v_add_nc_u32_e32 v8, -1, v10
	v_cndmask_b32_e64 v6, 0, v8, s13
	v_lshrrev_b32_e32 v8, 23, v9
	s_mov_b32 s13, exec_lo
	v_add_nc_u32_e32 v6, v6, v9
	v_xor_b32_e32 v8, 1, v8
	v_and_b32_e32 v5, 0xfffff, v6
	v_add_nc_u32_e32 v6, v5, v9
                                        ; implicit-def: $vgpr5
	v_cmpx_ne_u32_e64 v7, v8
	s_xor_b32 s13, exec_lo, s13
; %bb.805:                              ;   in Loop: Header=BB6_130 Depth=2
	v_cmp_lt_u32_e32 vcc_lo, 0xffffff, v6
	v_sub_nc_u32_e32 v5, v7, v8
	v_cndmask_b32_e64 v7, 0, 1, vcc_lo
	v_add_co_ci_u32_e64 v5, null, 0, v5, vcc_lo
	v_lshrrev_b32_e32 v6, v7, v6
; %bb.806:                              ;   in Loop: Header=BB6_130 Depth=2
	s_andn2_saveexec_b32 s13, s13
; %bb.807:                              ;   in Loop: Header=BB6_130 Depth=2
	v_bfe_u32 v5, v6, 23, 1
; %bb.808:                              ;   in Loop: Header=BB6_130 Depth=2
	s_or_b32 exec_lo, exec_lo, s13
	v_lshrrev_b32_e32 v6, 20, v6
	v_min_i32_e32 v7, 15, v5
	v_cmp_gt_i32_e32 vcc_lo, 16, v5
	v_and_b32_sdwa v4, v4, v114 dst_sel:DWORD dst_unused:UNUSED_PAD src0_sel:BYTE_3 src1_sel:DWORD
	v_lshlrev_b32_e32 v7, 3, v7
	v_cndmask_b32_e32 v6, 7, v6, vcc_lo
	v_and_b32_e32 v7, 0xf8, v7
	v_and_b32_e32 v8, 7, v6
	v_or_b32_e32 v5, v5, v6
	v_or3_b32 v4, v4, v7, v8
	v_cmp_ne_u32_e32 vcc_lo, 0, v5
	v_lshlrev_b32_e32 v4, 8, v4
	v_cndmask_b32_e32 v79, 0, v4, vcc_lo
.LBB6_809:                              ;   in Loop: Header=BB6_130 Depth=2
	s_or_b32 exec_lo, exec_lo, s42
.LBB6_810:                              ;   in Loop: Header=BB6_130 Depth=2
	s_or_b32 exec_lo, exec_lo, s41
	global_load_dwordx4 v[10:13], v[70:71], off offset:1536 slc
	s_mov_b32 s13, 0
	s_waitcnt vmcnt(0)
	v_cmp_gt_i16_sdwa s41, v10, v113 src0_sel:BYTE_0 src1_sel:DWORD
	s_and_saveexec_b32 s42, s41
	s_xor_b32 s41, exec_lo, s42
	s_cbranch_execz .LBB6_2408
; %bb.811:                              ;   in Loop: Header=BB6_130 Depth=2
	v_cmp_eq_u16_sdwa s43, v10, v114 src0_sel:BYTE_0 src1_sel:DWORD
	s_mov_b32 s13, -1
	s_and_saveexec_b32 s42, s43
; %bb.812:                              ;   in Loop: Header=BB6_130 Depth=2
	s_xor_b32 s13, exec_lo, -1
; %bb.813:                              ;   in Loop: Header=BB6_130 Depth=2
	s_or_b32 exec_lo, exec_lo, s42
	s_and_b32 s13, s13, exec_lo
	s_or_saveexec_b32 s41, s41
	v_mov_b32_e32 v4, 0x7f800001
	s_xor_b32 exec_lo, exec_lo, s41
	s_cbranch_execnz .LBB6_2409
.LBB6_814:                              ;   in Loop: Header=BB6_130 Depth=2
	s_or_b32 exec_lo, exec_lo, s41
	s_and_saveexec_b32 s41, s13
	s_cbranch_execz .LBB6_816
.LBB6_815:                              ;   in Loop: Header=BB6_130 Depth=2
	v_and_b32_e32 v4, 7, v10
	v_bfe_u32 v7, v10, 3, 4
	v_lshlrev_b32_e32 v8, 24, v10
	v_ffbh_u32_e32 v5, v4
	v_cmp_eq_u32_e32 vcc_lo, 0, v7
	v_min_u32_e32 v5, 32, v5
	v_subrev_nc_u32_e32 v6, 28, v5
	v_sub_nc_u32_e32 v5, 29, v5
	v_lshlrev_b32_e32 v6, v6, v10
	v_cndmask_b32_e32 v5, v7, v5, vcc_lo
	v_and_b32_e32 v6, 7, v6
	v_lshl_add_u32 v5, v5, 23, 0x3b800000
	v_cndmask_b32_e32 v4, v4, v6, vcc_lo
	v_and_b32_e32 v6, 0x80000000, v8
	v_lshlrev_b32_e32 v4, 20, v4
	v_or3_b32 v4, v6, v5, v4
.LBB6_816:                              ;   in Loop: Header=BB6_130 Depth=2
	s_or_b32 exec_lo, exec_lo, s41
	v_mul_f32_e32 v4, s40, v4
	v_mov_b32_e32 v75, 0x80
	s_mov_b32 s41, exec_lo
	v_and_b32_e32 v5, 0x7f800000, v4
	v_cmpx_ne_u32_e32 0x7f800000, v5
	s_cbranch_execz .LBB6_824
; %bb.817:                              ;   in Loop: Header=BB6_130 Depth=2
	v_mov_b32_e32 v75, 0
	s_mov_b32 s42, exec_lo
	v_cmpx_ne_u32_e32 0, v4
	s_cbranch_execz .LBB6_823
; %bb.818:                              ;   in Loop: Header=BB6_130 Depth=2
	v_bfe_u32 v5, v4, 23, 8
	v_and_b32_e32 v6, 0x7fffff, v4
	v_sub_nc_u32_e32 v7, 0x78, v5
	v_cmp_gt_u32_e32 vcc_lo, 0x79, v5
	v_or_b32_e32 v8, 0x800000, v6
	v_cndmask_b32_e32 v7, 0, v7, vcc_lo
	v_cmp_eq_u32_e32 vcc_lo, 0, v5
	v_add_nc_u32_e32 v5, 0xffffff89, v5
	v_cndmask_b32_e64 v7, v7, 0x77, vcc_lo
	v_cndmask_b32_e32 v6, v8, v6, vcc_lo
	v_cndmask_b32_e64 v5, v5, 0xffffff8a, vcc_lo
	v_lshl_add_u32 v8, 0x100000, v7, -1
	v_lshrrev_b32_e32 v9, v7, v6
	v_lshlrev_b32_e64 v17, v7, 0x80000
	v_add_nc_u32_e32 v7, v7, v5
	v_and_b32_e32 v6, v8, v6
	v_bfe_u32 v16, v9, 20, 1
	v_cmp_eq_u32_e64 s13, v6, v17
	v_add_nc_u32_e32 v8, -1, v16
	v_cndmask_b32_e64 v6, 0, v8, s13
	v_lshrrev_b32_e32 v8, 23, v9
	s_mov_b32 s13, exec_lo
	v_add_nc_u32_e32 v6, v6, v9
	v_xor_b32_e32 v8, 1, v8
	v_and_b32_e32 v5, 0xfffff, v6
	v_add_nc_u32_e32 v6, v5, v9
                                        ; implicit-def: $vgpr5
	v_cmpx_ne_u32_e64 v7, v8
	s_xor_b32 s13, exec_lo, s13
; %bb.819:                              ;   in Loop: Header=BB6_130 Depth=2
	v_cmp_lt_u32_e32 vcc_lo, 0xffffff, v6
	v_sub_nc_u32_e32 v5, v7, v8
	v_cndmask_b32_e64 v7, 0, 1, vcc_lo
	v_add_co_ci_u32_e64 v5, null, 0, v5, vcc_lo
	v_lshrrev_b32_e32 v6, v7, v6
; %bb.820:                              ;   in Loop: Header=BB6_130 Depth=2
	s_andn2_saveexec_b32 s13, s13
; %bb.821:                              ;   in Loop: Header=BB6_130 Depth=2
	v_bfe_u32 v5, v6, 23, 1
; %bb.822:                              ;   in Loop: Header=BB6_130 Depth=2
	s_or_b32 exec_lo, exec_lo, s13
	v_lshrrev_b32_e32 v6, 20, v6
	v_min_i32_e32 v7, 15, v5
	v_cmp_gt_i32_e32 vcc_lo, 16, v5
	v_and_b32_sdwa v4, v4, v114 dst_sel:DWORD dst_unused:UNUSED_PAD src0_sel:BYTE_3 src1_sel:DWORD
	v_lshlrev_b32_e32 v7, 3, v7
	v_cndmask_b32_e32 v6, 7, v6, vcc_lo
	v_and_b32_e32 v7, 0xf8, v7
	v_and_b32_e32 v8, 7, v6
	v_or_b32_e32 v5, v5, v6
	v_or3_b32 v4, v7, v4, v8
	v_cmp_ne_u32_e32 vcc_lo, 0, v5
	v_cndmask_b32_e32 v75, 0, v4, vcc_lo
.LBB6_823:                              ;   in Loop: Header=BB6_130 Depth=2
	s_or_b32 exec_lo, exec_lo, s42
.LBB6_824:                              ;   in Loop: Header=BB6_130 Depth=2
	s_or_b32 exec_lo, exec_lo, s41
	v_cmp_gt_i16_sdwa s41, v10, v113 src0_sel:BYTE_1 src1_sel:DWORD
	s_mov_b32 s13, 0
	s_and_saveexec_b32 s42, s41
	s_xor_b32 s41, exec_lo, s42
	s_cbranch_execz .LBB6_2410
; %bb.825:                              ;   in Loop: Header=BB6_130 Depth=2
	v_cmp_eq_u16_sdwa s43, v10, v114 src0_sel:BYTE_1 src1_sel:DWORD
	s_mov_b32 s13, -1
	s_and_saveexec_b32 s42, s43
; %bb.826:                              ;   in Loop: Header=BB6_130 Depth=2
	s_xor_b32 s13, exec_lo, -1
; %bb.827:                              ;   in Loop: Header=BB6_130 Depth=2
	s_or_b32 exec_lo, exec_lo, s42
	s_and_b32 s13, s13, exec_lo
	s_or_saveexec_b32 s41, s41
	v_mov_b32_e32 v4, 0x7f800001
	s_xor_b32 exec_lo, exec_lo, s41
	s_cbranch_execnz .LBB6_2411
.LBB6_828:                              ;   in Loop: Header=BB6_130 Depth=2
	s_or_b32 exec_lo, exec_lo, s41
	s_and_saveexec_b32 s41, s13
	s_cbranch_execz .LBB6_830
.LBB6_829:                              ;   in Loop: Header=BB6_130 Depth=2
	v_and_b32_sdwa v4, v115, v10 dst_sel:DWORD dst_unused:UNUSED_PAD src0_sel:DWORD src1_sel:BYTE_1
	v_and_b32_e32 v5, 7, v4
	v_bfe_u32 v8, v4, 3, 4
	v_ffbh_u32_e32 v6, v5
	v_cmp_eq_u32_e32 vcc_lo, 0, v8
	v_min_u32_e32 v6, 32, v6
	v_subrev_nc_u32_e32 v7, 28, v6
	v_sub_nc_u32_e32 v6, 29, v6
	v_lshlrev_b32_e32 v4, v7, v4
	v_lshlrev_b32_sdwa v7, v116, v10 dst_sel:DWORD dst_unused:UNUSED_PAD src0_sel:DWORD src1_sel:BYTE_1
	v_cndmask_b32_e32 v6, v8, v6, vcc_lo
	v_and_b32_e32 v4, 7, v4
	v_lshl_add_u32 v6, v6, 23, 0x3b800000
	v_cndmask_b32_e32 v4, v5, v4, vcc_lo
	v_and_b32_e32 v5, 0x80000000, v7
	v_lshlrev_b32_e32 v4, 20, v4
	v_or3_b32 v4, v5, v6, v4
.LBB6_830:                              ;   in Loop: Header=BB6_130 Depth=2
	s_or_b32 exec_lo, exec_lo, s41
	v_mul_f32_e32 v4, s40, v4
	v_mov_b32_e32 v76, 0x8000
	s_mov_b32 s41, exec_lo
	v_and_b32_e32 v5, 0x7f800000, v4
	v_cmpx_ne_u32_e32 0x7f800000, v5
	s_cbranch_execz .LBB6_838
; %bb.831:                              ;   in Loop: Header=BB6_130 Depth=2
	v_mov_b32_e32 v76, 0
	s_mov_b32 s42, exec_lo
	v_cmpx_ne_u32_e32 0, v4
	s_cbranch_execz .LBB6_837
; %bb.832:                              ;   in Loop: Header=BB6_130 Depth=2
	v_bfe_u32 v5, v4, 23, 8
	v_and_b32_e32 v6, 0x7fffff, v4
	v_sub_nc_u32_e32 v7, 0x78, v5
	v_cmp_gt_u32_e32 vcc_lo, 0x79, v5
	v_or_b32_e32 v8, 0x800000, v6
	v_cndmask_b32_e32 v7, 0, v7, vcc_lo
	v_cmp_eq_u32_e32 vcc_lo, 0, v5
	v_add_nc_u32_e32 v5, 0xffffff89, v5
	v_cndmask_b32_e64 v7, v7, 0x77, vcc_lo
	v_cndmask_b32_e32 v6, v8, v6, vcc_lo
	v_cndmask_b32_e64 v5, v5, 0xffffff8a, vcc_lo
	v_lshl_add_u32 v8, 0x100000, v7, -1
	v_lshrrev_b32_e32 v9, v7, v6
	v_lshlrev_b32_e64 v17, v7, 0x80000
	v_add_nc_u32_e32 v7, v7, v5
	v_and_b32_e32 v6, v8, v6
	v_bfe_u32 v16, v9, 20, 1
	v_cmp_eq_u32_e64 s13, v6, v17
	v_add_nc_u32_e32 v8, -1, v16
	v_cndmask_b32_e64 v6, 0, v8, s13
	v_lshrrev_b32_e32 v8, 23, v9
	s_mov_b32 s13, exec_lo
	v_add_nc_u32_e32 v6, v6, v9
	v_xor_b32_e32 v8, 1, v8
	v_and_b32_e32 v5, 0xfffff, v6
	v_add_nc_u32_e32 v6, v5, v9
                                        ; implicit-def: $vgpr5
	v_cmpx_ne_u32_e64 v7, v8
	s_xor_b32 s13, exec_lo, s13
; %bb.833:                              ;   in Loop: Header=BB6_130 Depth=2
	v_cmp_lt_u32_e32 vcc_lo, 0xffffff, v6
	v_sub_nc_u32_e32 v5, v7, v8
	v_cndmask_b32_e64 v7, 0, 1, vcc_lo
	v_add_co_ci_u32_e64 v5, null, 0, v5, vcc_lo
	v_lshrrev_b32_e32 v6, v7, v6
; %bb.834:                              ;   in Loop: Header=BB6_130 Depth=2
	s_andn2_saveexec_b32 s13, s13
; %bb.835:                              ;   in Loop: Header=BB6_130 Depth=2
	v_bfe_u32 v5, v6, 23, 1
; %bb.836:                              ;   in Loop: Header=BB6_130 Depth=2
	s_or_b32 exec_lo, exec_lo, s13
	v_lshrrev_b32_e32 v6, 20, v6
	v_min_i32_e32 v7, 15, v5
	v_cmp_gt_i32_e32 vcc_lo, 16, v5
	v_and_b32_sdwa v4, v4, v114 dst_sel:DWORD dst_unused:UNUSED_PAD src0_sel:BYTE_3 src1_sel:DWORD
	v_lshlrev_b32_e32 v7, 3, v7
	v_cndmask_b32_e32 v6, 7, v6, vcc_lo
	v_and_b32_e32 v7, 0xf8, v7
	v_and_b32_e32 v8, 7, v6
	v_or_b32_e32 v5, v5, v6
	v_or3_b32 v4, v4, v7, v8
	v_cmp_ne_u32_e32 vcc_lo, 0, v5
	v_lshlrev_b32_e32 v4, 8, v4
	v_cndmask_b32_e32 v76, 0, v4, vcc_lo
.LBB6_837:                              ;   in Loop: Header=BB6_130 Depth=2
	s_or_b32 exec_lo, exec_lo, s42
.LBB6_838:                              ;   in Loop: Header=BB6_130 Depth=2
	s_or_b32 exec_lo, exec_lo, s41
	v_and_b32_sdwa v5, v10, v117 dst_sel:DWORD dst_unused:UNUSED_PAD src0_sel:WORD_1 src1_sel:DWORD
	s_mov_b32 s13, 0
	s_mov_b32 s41, exec_lo
	v_cmpx_lt_i16_e32 0x7f, v5
	s_xor_b32 s41, exec_lo, s41
	s_cbranch_execz .LBB6_2412
; %bb.839:                              ;   in Loop: Header=BB6_130 Depth=2
	s_mov_b32 s13, -1
	s_mov_b32 s42, exec_lo
	v_cmpx_eq_u16_e32 0x80, v5
; %bb.840:                              ;   in Loop: Header=BB6_130 Depth=2
	s_xor_b32 s13, exec_lo, -1
; %bb.841:                              ;   in Loop: Header=BB6_130 Depth=2
	s_or_b32 exec_lo, exec_lo, s42
	s_and_b32 s13, s13, exec_lo
                                        ; implicit-def: $vgpr5
	s_or_saveexec_b32 s41, s41
	v_mov_b32_e32 v4, 0x7f800001
	s_xor_b32 exec_lo, exec_lo, s41
	s_cbranch_execnz .LBB6_2413
.LBB6_842:                              ;   in Loop: Header=BB6_130 Depth=2
	s_or_b32 exec_lo, exec_lo, s41
	s_and_saveexec_b32 s41, s13
	s_cbranch_execz .LBB6_844
.LBB6_843:                              ;   in Loop: Header=BB6_130 Depth=2
	v_bfe_u32 v4, v10, 16, 3
	v_bfe_u32 v7, v10, 19, 4
	v_lshlrev_b32_e32 v8, 8, v10
	v_ffbh_u32_e32 v5, v4
	v_cmp_eq_u32_e32 vcc_lo, 0, v7
	v_min_u32_e32 v5, 32, v5
	v_subrev_nc_u32_e32 v6, 28, v5
	v_sub_nc_u32_e32 v5, 29, v5
	v_lshlrev_b32_sdwa v6, v6, v10 dst_sel:DWORD dst_unused:UNUSED_PAD src0_sel:DWORD src1_sel:WORD_1
	v_cndmask_b32_e32 v5, v7, v5, vcc_lo
	v_and_b32_e32 v6, 7, v6
	v_lshl_add_u32 v5, v5, 23, 0x3b800000
	v_cndmask_b32_e32 v4, v4, v6, vcc_lo
	v_and_b32_e32 v6, 0x80000000, v8
	v_lshlrev_b32_e32 v4, 20, v4
	v_or3_b32 v4, v6, v5, v4
.LBB6_844:                              ;   in Loop: Header=BB6_130 Depth=2
	s_or_b32 exec_lo, exec_lo, s41
	v_mul_f32_e32 v4, s40, v4
	v_mov_b32_e32 v72, 0x80
	s_mov_b32 s41, exec_lo
	v_and_b32_e32 v5, 0x7f800000, v4
	v_cmpx_ne_u32_e32 0x7f800000, v5
	s_cbranch_execz .LBB6_852
; %bb.845:                              ;   in Loop: Header=BB6_130 Depth=2
	v_mov_b32_e32 v72, 0
	s_mov_b32 s42, exec_lo
	v_cmpx_ne_u32_e32 0, v4
	s_cbranch_execz .LBB6_851
; %bb.846:                              ;   in Loop: Header=BB6_130 Depth=2
	v_bfe_u32 v5, v4, 23, 8
	v_and_b32_e32 v6, 0x7fffff, v4
	v_sub_nc_u32_e32 v7, 0x78, v5
	v_cmp_gt_u32_e32 vcc_lo, 0x79, v5
	v_or_b32_e32 v8, 0x800000, v6
	v_cndmask_b32_e32 v7, 0, v7, vcc_lo
	v_cmp_eq_u32_e32 vcc_lo, 0, v5
	v_add_nc_u32_e32 v5, 0xffffff89, v5
	v_cndmask_b32_e64 v7, v7, 0x77, vcc_lo
	v_cndmask_b32_e32 v6, v8, v6, vcc_lo
	v_cndmask_b32_e64 v5, v5, 0xffffff8a, vcc_lo
	v_lshl_add_u32 v8, 0x100000, v7, -1
	v_lshrrev_b32_e32 v9, v7, v6
	v_lshlrev_b32_e64 v17, v7, 0x80000
	v_add_nc_u32_e32 v7, v7, v5
	v_and_b32_e32 v6, v8, v6
	v_bfe_u32 v16, v9, 20, 1
	v_cmp_eq_u32_e64 s13, v6, v17
	v_add_nc_u32_e32 v8, -1, v16
	v_cndmask_b32_e64 v6, 0, v8, s13
	v_lshrrev_b32_e32 v8, 23, v9
	s_mov_b32 s13, exec_lo
	v_add_nc_u32_e32 v6, v6, v9
	v_xor_b32_e32 v8, 1, v8
	v_and_b32_e32 v5, 0xfffff, v6
	v_add_nc_u32_e32 v6, v5, v9
                                        ; implicit-def: $vgpr5
	v_cmpx_ne_u32_e64 v7, v8
	s_xor_b32 s13, exec_lo, s13
; %bb.847:                              ;   in Loop: Header=BB6_130 Depth=2
	v_cmp_lt_u32_e32 vcc_lo, 0xffffff, v6
	v_sub_nc_u32_e32 v5, v7, v8
	v_cndmask_b32_e64 v7, 0, 1, vcc_lo
	v_add_co_ci_u32_e64 v5, null, 0, v5, vcc_lo
	v_lshrrev_b32_e32 v6, v7, v6
; %bb.848:                              ;   in Loop: Header=BB6_130 Depth=2
	s_andn2_saveexec_b32 s13, s13
; %bb.849:                              ;   in Loop: Header=BB6_130 Depth=2
	v_bfe_u32 v5, v6, 23, 1
; %bb.850:                              ;   in Loop: Header=BB6_130 Depth=2
	s_or_b32 exec_lo, exec_lo, s13
	v_lshrrev_b32_e32 v6, 20, v6
	v_min_i32_e32 v7, 15, v5
	v_cmp_gt_i32_e32 vcc_lo, 16, v5
	v_and_b32_sdwa v4, v4, v114 dst_sel:DWORD dst_unused:UNUSED_PAD src0_sel:BYTE_3 src1_sel:DWORD
	v_lshlrev_b32_e32 v7, 3, v7
	v_cndmask_b32_e32 v6, 7, v6, vcc_lo
	v_and_b32_e32 v7, 0xf8, v7
	v_and_b32_e32 v8, 7, v6
	v_or_b32_e32 v5, v5, v6
	v_or3_b32 v4, v7, v4, v8
	v_cmp_ne_u32_e32 vcc_lo, 0, v5
	v_cndmask_b32_e32 v72, 0, v4, vcc_lo
.LBB6_851:                              ;   in Loop: Header=BB6_130 Depth=2
	s_or_b32 exec_lo, exec_lo, s42
.LBB6_852:                              ;   in Loop: Header=BB6_130 Depth=2
	s_or_b32 exec_lo, exec_lo, s41
	v_cmp_gt_i16_sdwa s41, v10, v113 src0_sel:BYTE_3 src1_sel:DWORD
	s_mov_b32 s13, 0
	s_and_saveexec_b32 s42, s41
	s_xor_b32 s41, exec_lo, s42
	s_cbranch_execz .LBB6_2414
; %bb.853:                              ;   in Loop: Header=BB6_130 Depth=2
	v_cmp_eq_u16_sdwa s43, v10, v114 src0_sel:BYTE_3 src1_sel:DWORD
	s_mov_b32 s13, -1
	s_and_saveexec_b32 s42, s43
; %bb.854:                              ;   in Loop: Header=BB6_130 Depth=2
	s_xor_b32 s13, exec_lo, -1
; %bb.855:                              ;   in Loop: Header=BB6_130 Depth=2
	s_or_b32 exec_lo, exec_lo, s42
	s_and_b32 s13, s13, exec_lo
	s_or_saveexec_b32 s41, s41
	v_mov_b32_e32 v4, 0x7f800001
	s_xor_b32 exec_lo, exec_lo, s41
	s_cbranch_execnz .LBB6_2415
.LBB6_856:                              ;   in Loop: Header=BB6_130 Depth=2
	s_or_b32 exec_lo, exec_lo, s41
	s_and_saveexec_b32 s41, s13
	s_cbranch_execz .LBB6_858
.LBB6_857:                              ;   in Loop: Header=BB6_130 Depth=2
	v_bfe_u32 v4, v10, 24, 3
	v_bfe_u32 v7, v10, 27, 4
	v_ffbh_u32_e32 v5, v4
	v_cmp_eq_u32_e32 vcc_lo, 0, v7
	v_min_u32_e32 v5, 32, v5
	v_subrev_nc_u32_e32 v6, 28, v5
	v_sub_nc_u32_e32 v5, 29, v5
	v_lshlrev_b32_sdwa v6, v6, v10 dst_sel:DWORD dst_unused:UNUSED_PAD src0_sel:DWORD src1_sel:BYTE_3
	v_cndmask_b32_e32 v5, v7, v5, vcc_lo
	v_and_b32_e32 v6, 7, v6
	v_lshl_add_u32 v5, v5, 23, 0x3b800000
	v_cndmask_b32_e32 v4, v4, v6, vcc_lo
	v_and_b32_e32 v6, 0x80000000, v10
	v_lshlrev_b32_e32 v4, 20, v4
	v_or3_b32 v4, v6, v5, v4
.LBB6_858:                              ;   in Loop: Header=BB6_130 Depth=2
	s_or_b32 exec_lo, exec_lo, s41
	v_mul_f32_e32 v4, s40, v4
	v_mov_b32_e32 v73, 0x8000
	s_mov_b32 s41, exec_lo
	v_and_b32_e32 v5, 0x7f800000, v4
	v_cmpx_ne_u32_e32 0x7f800000, v5
	s_cbranch_execz .LBB6_866
; %bb.859:                              ;   in Loop: Header=BB6_130 Depth=2
	v_mov_b32_e32 v73, 0
	s_mov_b32 s42, exec_lo
	v_cmpx_ne_u32_e32 0, v4
	s_cbranch_execz .LBB6_865
; %bb.860:                              ;   in Loop: Header=BB6_130 Depth=2
	v_bfe_u32 v5, v4, 23, 8
	v_and_b32_e32 v6, 0x7fffff, v4
	v_sub_nc_u32_e32 v7, 0x78, v5
	v_cmp_gt_u32_e32 vcc_lo, 0x79, v5
	v_or_b32_e32 v8, 0x800000, v6
	v_cndmask_b32_e32 v7, 0, v7, vcc_lo
	v_cmp_eq_u32_e32 vcc_lo, 0, v5
	v_add_nc_u32_e32 v5, 0xffffff89, v5
	v_cndmask_b32_e64 v7, v7, 0x77, vcc_lo
	v_cndmask_b32_e32 v6, v8, v6, vcc_lo
	v_cndmask_b32_e64 v5, v5, 0xffffff8a, vcc_lo
	v_lshl_add_u32 v8, 0x100000, v7, -1
	v_lshrrev_b32_e32 v9, v7, v6
	v_lshlrev_b32_e64 v16, v7, 0x80000
	v_add_nc_u32_e32 v7, v7, v5
	v_and_b32_e32 v6, v8, v6
	v_bfe_u32 v10, v9, 20, 1
	v_cmp_eq_u32_e64 s13, v6, v16
	v_add_nc_u32_e32 v8, -1, v10
	v_cndmask_b32_e64 v6, 0, v8, s13
	v_lshrrev_b32_e32 v8, 23, v9
	s_mov_b32 s13, exec_lo
	v_add_nc_u32_e32 v6, v6, v9
	v_xor_b32_e32 v8, 1, v8
	v_and_b32_e32 v5, 0xfffff, v6
	v_add_nc_u32_e32 v6, v5, v9
                                        ; implicit-def: $vgpr5
	v_cmpx_ne_u32_e64 v7, v8
	s_xor_b32 s13, exec_lo, s13
; %bb.861:                              ;   in Loop: Header=BB6_130 Depth=2
	v_cmp_lt_u32_e32 vcc_lo, 0xffffff, v6
	v_sub_nc_u32_e32 v5, v7, v8
	v_cndmask_b32_e64 v7, 0, 1, vcc_lo
	v_add_co_ci_u32_e64 v5, null, 0, v5, vcc_lo
	v_lshrrev_b32_e32 v6, v7, v6
; %bb.862:                              ;   in Loop: Header=BB6_130 Depth=2
	s_andn2_saveexec_b32 s13, s13
; %bb.863:                              ;   in Loop: Header=BB6_130 Depth=2
	v_bfe_u32 v5, v6, 23, 1
; %bb.864:                              ;   in Loop: Header=BB6_130 Depth=2
	s_or_b32 exec_lo, exec_lo, s13
	v_lshrrev_b32_e32 v6, 20, v6
	v_min_i32_e32 v7, 15, v5
	v_cmp_gt_i32_e32 vcc_lo, 16, v5
	v_and_b32_sdwa v4, v4, v114 dst_sel:DWORD dst_unused:UNUSED_PAD src0_sel:BYTE_3 src1_sel:DWORD
	v_lshlrev_b32_e32 v7, 3, v7
	v_cndmask_b32_e32 v6, 7, v6, vcc_lo
	v_and_b32_e32 v7, 0xf8, v7
	v_and_b32_e32 v8, 7, v6
	v_or_b32_e32 v5, v5, v6
	v_or3_b32 v4, v4, v7, v8
	v_cmp_ne_u32_e32 vcc_lo, 0, v5
	v_lshlrev_b32_e32 v4, 8, v4
	v_cndmask_b32_e32 v73, 0, v4, vcc_lo
.LBB6_865:                              ;   in Loop: Header=BB6_130 Depth=2
	s_or_b32 exec_lo, exec_lo, s42
.LBB6_866:                              ;   in Loop: Header=BB6_130 Depth=2
	s_or_b32 exec_lo, exec_lo, s41
	v_cmp_gt_i16_sdwa s41, v11, v113 src0_sel:BYTE_0 src1_sel:DWORD
	s_mov_b32 s13, 0
	s_and_saveexec_b32 s42, s41
	s_xor_b32 s41, exec_lo, s42
	s_cbranch_execz .LBB6_2416
; %bb.867:                              ;   in Loop: Header=BB6_130 Depth=2
	v_cmp_eq_u16_sdwa s43, v11, v114 src0_sel:BYTE_0 src1_sel:DWORD
	s_mov_b32 s13, -1
	s_and_saveexec_b32 s42, s43
; %bb.868:                              ;   in Loop: Header=BB6_130 Depth=2
	s_xor_b32 s13, exec_lo, -1
; %bb.869:                              ;   in Loop: Header=BB6_130 Depth=2
	s_or_b32 exec_lo, exec_lo, s42
	s_and_b32 s13, s13, exec_lo
	s_or_saveexec_b32 s41, s41
	v_mov_b32_e32 v4, 0x7f800001
	s_xor_b32 exec_lo, exec_lo, s41
	s_cbranch_execnz .LBB6_2417
.LBB6_870:                              ;   in Loop: Header=BB6_130 Depth=2
	s_or_b32 exec_lo, exec_lo, s41
	s_and_saveexec_b32 s41, s13
	s_cbranch_execz .LBB6_872
.LBB6_871:                              ;   in Loop: Header=BB6_130 Depth=2
	v_and_b32_e32 v4, 7, v11
	v_bfe_u32 v7, v11, 3, 4
	v_lshlrev_b32_e32 v8, 24, v11
	v_ffbh_u32_e32 v5, v4
	v_cmp_eq_u32_e32 vcc_lo, 0, v7
	v_min_u32_e32 v5, 32, v5
	v_subrev_nc_u32_e32 v6, 28, v5
	v_sub_nc_u32_e32 v5, 29, v5
	v_lshlrev_b32_e32 v6, v6, v11
	v_cndmask_b32_e32 v5, v7, v5, vcc_lo
	v_and_b32_e32 v6, 7, v6
	v_lshl_add_u32 v5, v5, 23, 0x3b800000
	v_cndmask_b32_e32 v4, v4, v6, vcc_lo
	v_and_b32_e32 v6, 0x80000000, v8
	v_lshlrev_b32_e32 v4, 20, v4
	v_or3_b32 v4, v6, v5, v4
.LBB6_872:                              ;   in Loop: Header=BB6_130 Depth=2
	s_or_b32 exec_lo, exec_lo, s41
	v_mul_f32_e32 v4, s40, v4
	v_mov_b32_e32 v61, 0x80
	s_mov_b32 s41, exec_lo
	v_and_b32_e32 v5, 0x7f800000, v4
	v_cmpx_ne_u32_e32 0x7f800000, v5
	s_cbranch_execz .LBB6_880
; %bb.873:                              ;   in Loop: Header=BB6_130 Depth=2
	v_mov_b32_e32 v61, 0
	s_mov_b32 s42, exec_lo
	v_cmpx_ne_u32_e32 0, v4
	s_cbranch_execz .LBB6_879
; %bb.874:                              ;   in Loop: Header=BB6_130 Depth=2
	v_bfe_u32 v5, v4, 23, 8
	v_and_b32_e32 v6, 0x7fffff, v4
	v_sub_nc_u32_e32 v7, 0x78, v5
	v_cmp_gt_u32_e32 vcc_lo, 0x79, v5
	v_or_b32_e32 v8, 0x800000, v6
	v_cndmask_b32_e32 v7, 0, v7, vcc_lo
	v_cmp_eq_u32_e32 vcc_lo, 0, v5
	v_add_nc_u32_e32 v5, 0xffffff89, v5
	v_cndmask_b32_e64 v7, v7, 0x77, vcc_lo
	v_cndmask_b32_e32 v6, v8, v6, vcc_lo
	v_cndmask_b32_e64 v5, v5, 0xffffff8a, vcc_lo
	v_lshl_add_u32 v8, 0x100000, v7, -1
	v_lshrrev_b32_e32 v9, v7, v6
	v_lshlrev_b32_e64 v16, v7, 0x80000
	v_add_nc_u32_e32 v7, v7, v5
	v_and_b32_e32 v6, v8, v6
	v_bfe_u32 v10, v9, 20, 1
	v_cmp_eq_u32_e64 s13, v6, v16
	v_add_nc_u32_e32 v8, -1, v10
	v_cndmask_b32_e64 v6, 0, v8, s13
	v_lshrrev_b32_e32 v8, 23, v9
	s_mov_b32 s13, exec_lo
	v_add_nc_u32_e32 v6, v6, v9
	v_xor_b32_e32 v8, 1, v8
	v_and_b32_e32 v5, 0xfffff, v6
	v_add_nc_u32_e32 v6, v5, v9
                                        ; implicit-def: $vgpr5
	v_cmpx_ne_u32_e64 v7, v8
	s_xor_b32 s13, exec_lo, s13
; %bb.875:                              ;   in Loop: Header=BB6_130 Depth=2
	v_cmp_lt_u32_e32 vcc_lo, 0xffffff, v6
	v_sub_nc_u32_e32 v5, v7, v8
	v_cndmask_b32_e64 v7, 0, 1, vcc_lo
	v_add_co_ci_u32_e64 v5, null, 0, v5, vcc_lo
	v_lshrrev_b32_e32 v6, v7, v6
; %bb.876:                              ;   in Loop: Header=BB6_130 Depth=2
	s_andn2_saveexec_b32 s13, s13
; %bb.877:                              ;   in Loop: Header=BB6_130 Depth=2
	v_bfe_u32 v5, v6, 23, 1
; %bb.878:                              ;   in Loop: Header=BB6_130 Depth=2
	s_or_b32 exec_lo, exec_lo, s13
	v_lshrrev_b32_e32 v6, 20, v6
	v_min_i32_e32 v7, 15, v5
	v_cmp_gt_i32_e32 vcc_lo, 16, v5
	v_and_b32_sdwa v4, v4, v114 dst_sel:DWORD dst_unused:UNUSED_PAD src0_sel:BYTE_3 src1_sel:DWORD
	v_lshlrev_b32_e32 v7, 3, v7
	v_cndmask_b32_e32 v6, 7, v6, vcc_lo
	v_and_b32_e32 v7, 0xf8, v7
	v_and_b32_e32 v8, 7, v6
	v_or_b32_e32 v5, v5, v6
	v_or3_b32 v4, v7, v4, v8
	v_cmp_ne_u32_e32 vcc_lo, 0, v5
	v_cndmask_b32_e32 v61, 0, v4, vcc_lo
.LBB6_879:                              ;   in Loop: Header=BB6_130 Depth=2
	s_or_b32 exec_lo, exec_lo, s42
.LBB6_880:                              ;   in Loop: Header=BB6_130 Depth=2
	s_or_b32 exec_lo, exec_lo, s41
	v_cmp_gt_i16_sdwa s41, v11, v113 src0_sel:BYTE_1 src1_sel:DWORD
	s_mov_b32 s13, 0
	s_and_saveexec_b32 s42, s41
	s_xor_b32 s41, exec_lo, s42
	s_cbranch_execz .LBB6_2418
; %bb.881:                              ;   in Loop: Header=BB6_130 Depth=2
	v_cmp_eq_u16_sdwa s43, v11, v114 src0_sel:BYTE_1 src1_sel:DWORD
	s_mov_b32 s13, -1
	s_and_saveexec_b32 s42, s43
; %bb.882:                              ;   in Loop: Header=BB6_130 Depth=2
	s_xor_b32 s13, exec_lo, -1
; %bb.883:                              ;   in Loop: Header=BB6_130 Depth=2
	s_or_b32 exec_lo, exec_lo, s42
	s_and_b32 s13, s13, exec_lo
	s_or_saveexec_b32 s41, s41
	v_mov_b32_e32 v4, 0x7f800001
	s_xor_b32 exec_lo, exec_lo, s41
	s_cbranch_execnz .LBB6_2419
.LBB6_884:                              ;   in Loop: Header=BB6_130 Depth=2
	s_or_b32 exec_lo, exec_lo, s41
	s_and_saveexec_b32 s41, s13
	s_cbranch_execz .LBB6_886
.LBB6_885:                              ;   in Loop: Header=BB6_130 Depth=2
	v_and_b32_sdwa v4, v115, v11 dst_sel:DWORD dst_unused:UNUSED_PAD src0_sel:DWORD src1_sel:BYTE_1
	v_and_b32_e32 v5, 7, v4
	v_bfe_u32 v8, v4, 3, 4
	v_ffbh_u32_e32 v6, v5
	v_cmp_eq_u32_e32 vcc_lo, 0, v8
	v_min_u32_e32 v6, 32, v6
	v_subrev_nc_u32_e32 v7, 28, v6
	v_sub_nc_u32_e32 v6, 29, v6
	v_lshlrev_b32_e32 v4, v7, v4
	v_lshlrev_b32_sdwa v7, v116, v11 dst_sel:DWORD dst_unused:UNUSED_PAD src0_sel:DWORD src1_sel:BYTE_1
	v_cndmask_b32_e32 v6, v8, v6, vcc_lo
	v_and_b32_e32 v4, 7, v4
	v_lshl_add_u32 v6, v6, 23, 0x3b800000
	v_cndmask_b32_e32 v4, v5, v4, vcc_lo
	v_and_b32_e32 v5, 0x80000000, v7
	v_lshlrev_b32_e32 v4, 20, v4
	v_or3_b32 v4, v5, v6, v4
.LBB6_886:                              ;   in Loop: Header=BB6_130 Depth=2
	s_or_b32 exec_lo, exec_lo, s41
	v_mul_f32_e32 v4, s40, v4
	v_mov_b32_e32 v62, 0x8000
	s_mov_b32 s41, exec_lo
	v_and_b32_e32 v5, 0x7f800000, v4
	v_cmpx_ne_u32_e32 0x7f800000, v5
	s_cbranch_execz .LBB6_894
; %bb.887:                              ;   in Loop: Header=BB6_130 Depth=2
	v_mov_b32_e32 v62, 0
	s_mov_b32 s42, exec_lo
	v_cmpx_ne_u32_e32 0, v4
	s_cbranch_execz .LBB6_893
; %bb.888:                              ;   in Loop: Header=BB6_130 Depth=2
	v_bfe_u32 v6, v4, 23, 8
	v_and_b32_e32 v5, 0x7fffff, v4
	v_cmp_gt_u32_e64 s13, 0x79, v6
	v_sub_nc_u32_e32 v7, 0x78, v6
	v_cmp_eq_u32_e32 vcc_lo, 0, v6
	v_or_b32_e32 v8, 0x800000, v5
	v_cndmask_b32_e64 v7, 0, v7, s13
	v_cndmask_b32_e32 v5, v8, v5, vcc_lo
	v_cndmask_b32_e64 v7, v7, 0x77, vcc_lo
	v_lshl_add_u32 v8, 0x100000, v7, -1
	v_lshlrev_b32_e64 v9, v7, 0x80000
	v_and_b32_e32 v8, v8, v5
	v_cmp_eq_u32_e64 s13, v8, v9
	v_lshrrev_b32_e32 v8, v7, v5
	v_add_nc_u32_e32 v5, 0xffffff89, v6
	v_lshrrev_b32_e32 v6, 23, v8
	v_cndmask_b32_e64 v5, v5, 0xffffff8a, vcc_lo
	v_xor_b32_e32 v6, 1, v6
	v_add_nc_u32_e32 v5, v7, v5
	v_bfe_u32 v7, v8, 20, 1
	v_add_nc_u32_e32 v7, -1, v7
	v_cndmask_b32_e64 v7, 0, v7, s13
	s_mov_b32 s13, exec_lo
	v_add_nc_u32_e32 v7, v7, v8
	v_and_b32_e32 v7, 0xfffff, v7
	v_add_nc_u32_e32 v8, v7, v8
                                        ; implicit-def: $vgpr7
	v_cmpx_ne_u32_e64 v5, v6
	s_xor_b32 s13, exec_lo, s13
; %bb.889:                              ;   in Loop: Header=BB6_130 Depth=2
	v_cmp_lt_u32_e32 vcc_lo, 0xffffff, v8
	v_sub_nc_u32_e32 v5, v5, v6
	v_cndmask_b32_e64 v6, 0, 1, vcc_lo
	v_add_co_ci_u32_e64 v7, null, 0, v5, vcc_lo
	v_lshrrev_b32_e32 v8, v6, v8
; %bb.890:                              ;   in Loop: Header=BB6_130 Depth=2
	s_andn2_saveexec_b32 s13, s13
; %bb.891:                              ;   in Loop: Header=BB6_130 Depth=2
	v_bfe_u32 v7, v8, 23, 1
; %bb.892:                              ;   in Loop: Header=BB6_130 Depth=2
	s_or_b32 exec_lo, exec_lo, s13
	v_lshrrev_b32_e32 v5, 20, v8
	v_min_i32_e32 v6, 15, v7
	v_cmp_gt_i32_e32 vcc_lo, 16, v7
	v_and_b32_sdwa v4, v4, v114 dst_sel:DWORD dst_unused:UNUSED_PAD src0_sel:BYTE_3 src1_sel:DWORD
	v_lshlrev_b32_e32 v6, 3, v6
	v_cndmask_b32_e32 v5, 7, v5, vcc_lo
	v_and_b32_e32 v6, 0xf8, v6
	v_and_b32_e32 v8, 7, v5
	v_or_b32_e32 v5, v7, v5
	v_or3_b32 v4, v4, v6, v8
	v_cmp_ne_u32_e32 vcc_lo, 0, v5
	v_lshlrev_b32_e32 v4, 8, v4
	v_cndmask_b32_e32 v62, 0, v4, vcc_lo
.LBB6_893:                              ;   in Loop: Header=BB6_130 Depth=2
	s_or_b32 exec_lo, exec_lo, s42
.LBB6_894:                              ;   in Loop: Header=BB6_130 Depth=2
	s_or_b32 exec_lo, exec_lo, s41
	v_and_b32_sdwa v5, v11, v117 dst_sel:DWORD dst_unused:UNUSED_PAD src0_sel:WORD_1 src1_sel:DWORD
	s_mov_b32 s13, 0
	s_mov_b32 s41, exec_lo
	v_cmpx_lt_i16_e32 0x7f, v5
	s_xor_b32 s41, exec_lo, s41
	s_cbranch_execz .LBB6_2420
; %bb.895:                              ;   in Loop: Header=BB6_130 Depth=2
	s_mov_b32 s13, -1
	s_mov_b32 s42, exec_lo
	v_cmpx_eq_u16_e32 0x80, v5
; %bb.896:                              ;   in Loop: Header=BB6_130 Depth=2
	s_xor_b32 s13, exec_lo, -1
; %bb.897:                              ;   in Loop: Header=BB6_130 Depth=2
	s_or_b32 exec_lo, exec_lo, s42
	s_and_b32 s13, s13, exec_lo
                                        ; implicit-def: $vgpr5
	s_or_saveexec_b32 s41, s41
	v_mov_b32_e32 v4, 0x7f800001
	s_xor_b32 exec_lo, exec_lo, s41
	s_cbranch_execnz .LBB6_2421
.LBB6_898:                              ;   in Loop: Header=BB6_130 Depth=2
	s_or_b32 exec_lo, exec_lo, s41
	s_and_saveexec_b32 s41, s13
	s_cbranch_execz .LBB6_900
.LBB6_899:                              ;   in Loop: Header=BB6_130 Depth=2
	v_bfe_u32 v4, v11, 16, 3
	v_bfe_u32 v7, v11, 19, 4
	v_lshlrev_b32_e32 v8, 8, v11
	v_ffbh_u32_e32 v5, v4
	v_cmp_eq_u32_e32 vcc_lo, 0, v7
	v_min_u32_e32 v5, 32, v5
	v_subrev_nc_u32_e32 v6, 28, v5
	v_sub_nc_u32_e32 v5, 29, v5
	v_lshlrev_b32_sdwa v6, v6, v11 dst_sel:DWORD dst_unused:UNUSED_PAD src0_sel:DWORD src1_sel:WORD_1
	v_cndmask_b32_e32 v5, v7, v5, vcc_lo
	v_and_b32_e32 v6, 7, v6
	v_lshl_add_u32 v5, v5, 23, 0x3b800000
	v_cndmask_b32_e32 v4, v4, v6, vcc_lo
	v_and_b32_e32 v6, 0x80000000, v8
	v_lshlrev_b32_e32 v4, 20, v4
	v_or3_b32 v4, v6, v5, v4
.LBB6_900:                              ;   in Loop: Header=BB6_130 Depth=2
	s_or_b32 exec_lo, exec_lo, s41
	v_mul_f32_e32 v4, s40, v4
	v_mov_b32_e32 v58, 0x80
	s_mov_b32 s41, exec_lo
	v_and_b32_e32 v5, 0x7f800000, v4
	v_cmpx_ne_u32_e32 0x7f800000, v5
	s_cbranch_execz .LBB6_908
; %bb.901:                              ;   in Loop: Header=BB6_130 Depth=2
	v_mov_b32_e32 v58, 0
	s_mov_b32 s42, exec_lo
	v_cmpx_ne_u32_e32 0, v4
	s_cbranch_execz .LBB6_907
; %bb.902:                              ;   in Loop: Header=BB6_130 Depth=2
	v_bfe_u32 v6, v4, 23, 8
	v_and_b32_e32 v5, 0x7fffff, v4
	v_cmp_gt_u32_e64 s13, 0x79, v6
	v_sub_nc_u32_e32 v7, 0x78, v6
	v_cmp_eq_u32_e32 vcc_lo, 0, v6
	v_or_b32_e32 v8, 0x800000, v5
	v_cndmask_b32_e64 v7, 0, v7, s13
	v_cndmask_b32_e32 v5, v8, v5, vcc_lo
	v_cndmask_b32_e64 v7, v7, 0x77, vcc_lo
	v_lshl_add_u32 v8, 0x100000, v7, -1
	v_lshlrev_b32_e64 v9, v7, 0x80000
	v_and_b32_e32 v8, v8, v5
	v_cmp_eq_u32_e64 s13, v8, v9
	v_lshrrev_b32_e32 v8, v7, v5
	v_add_nc_u32_e32 v5, 0xffffff89, v6
	v_lshrrev_b32_e32 v6, 23, v8
	v_cndmask_b32_e64 v5, v5, 0xffffff8a, vcc_lo
	v_xor_b32_e32 v6, 1, v6
	v_add_nc_u32_e32 v5, v7, v5
	v_bfe_u32 v7, v8, 20, 1
	v_add_nc_u32_e32 v7, -1, v7
	v_cndmask_b32_e64 v7, 0, v7, s13
	s_mov_b32 s13, exec_lo
	v_add_nc_u32_e32 v7, v7, v8
	v_and_b32_e32 v7, 0xfffff, v7
	v_add_nc_u32_e32 v8, v7, v8
                                        ; implicit-def: $vgpr7
	v_cmpx_ne_u32_e64 v5, v6
	s_xor_b32 s13, exec_lo, s13
; %bb.903:                              ;   in Loop: Header=BB6_130 Depth=2
	v_cmp_lt_u32_e32 vcc_lo, 0xffffff, v8
	v_sub_nc_u32_e32 v5, v5, v6
	v_cndmask_b32_e64 v6, 0, 1, vcc_lo
	v_add_co_ci_u32_e64 v7, null, 0, v5, vcc_lo
	v_lshrrev_b32_e32 v8, v6, v8
; %bb.904:                              ;   in Loop: Header=BB6_130 Depth=2
	s_andn2_saveexec_b32 s13, s13
; %bb.905:                              ;   in Loop: Header=BB6_130 Depth=2
	v_bfe_u32 v7, v8, 23, 1
; %bb.906:                              ;   in Loop: Header=BB6_130 Depth=2
	s_or_b32 exec_lo, exec_lo, s13
	v_lshrrev_b32_e32 v5, 20, v8
	v_min_i32_e32 v6, 15, v7
	v_cmp_gt_i32_e32 vcc_lo, 16, v7
	v_and_b32_sdwa v4, v4, v114 dst_sel:DWORD dst_unused:UNUSED_PAD src0_sel:BYTE_3 src1_sel:DWORD
	v_lshlrev_b32_e32 v6, 3, v6
	v_cndmask_b32_e32 v5, 7, v5, vcc_lo
	v_and_b32_e32 v6, 0xf8, v6
	v_and_b32_e32 v8, 7, v5
	v_or_b32_e32 v5, v7, v5
	v_or3_b32 v4, v6, v4, v8
	v_cmp_ne_u32_e32 vcc_lo, 0, v5
	v_cndmask_b32_e32 v58, 0, v4, vcc_lo
.LBB6_907:                              ;   in Loop: Header=BB6_130 Depth=2
	s_or_b32 exec_lo, exec_lo, s42
.LBB6_908:                              ;   in Loop: Header=BB6_130 Depth=2
	s_or_b32 exec_lo, exec_lo, s41
	v_cmp_gt_i16_sdwa s41, v11, v113 src0_sel:BYTE_3 src1_sel:DWORD
	s_mov_b32 s13, 0
	s_and_saveexec_b32 s42, s41
	s_xor_b32 s41, exec_lo, s42
	s_cbranch_execz .LBB6_2422
; %bb.909:                              ;   in Loop: Header=BB6_130 Depth=2
	v_cmp_eq_u16_sdwa s43, v11, v114 src0_sel:BYTE_3 src1_sel:DWORD
	s_mov_b32 s13, -1
	s_and_saveexec_b32 s42, s43
; %bb.910:                              ;   in Loop: Header=BB6_130 Depth=2
	s_xor_b32 s13, exec_lo, -1
; %bb.911:                              ;   in Loop: Header=BB6_130 Depth=2
	s_or_b32 exec_lo, exec_lo, s42
	s_and_b32 s13, s13, exec_lo
	s_or_saveexec_b32 s41, s41
	v_mov_b32_e32 v4, 0x7f800001
	s_xor_b32 exec_lo, exec_lo, s41
	s_cbranch_execnz .LBB6_2423
.LBB6_912:                              ;   in Loop: Header=BB6_130 Depth=2
	s_or_b32 exec_lo, exec_lo, s41
	s_and_saveexec_b32 s41, s13
	s_cbranch_execz .LBB6_914
.LBB6_913:                              ;   in Loop: Header=BB6_130 Depth=2
	v_bfe_u32 v4, v11, 24, 3
	v_bfe_u32 v7, v11, 27, 4
	v_ffbh_u32_e32 v5, v4
	v_cmp_eq_u32_e32 vcc_lo, 0, v7
	v_min_u32_e32 v5, 32, v5
	v_subrev_nc_u32_e32 v6, 28, v5
	v_sub_nc_u32_e32 v5, 29, v5
	v_lshlrev_b32_sdwa v6, v6, v11 dst_sel:DWORD dst_unused:UNUSED_PAD src0_sel:DWORD src1_sel:BYTE_3
	v_cndmask_b32_e32 v5, v7, v5, vcc_lo
	v_and_b32_e32 v6, 7, v6
	v_lshl_add_u32 v5, v5, 23, 0x3b800000
	v_cndmask_b32_e32 v4, v4, v6, vcc_lo
	v_and_b32_e32 v6, 0x80000000, v11
	v_lshlrev_b32_e32 v4, 20, v4
	v_or3_b32 v4, v6, v5, v4
.LBB6_914:                              ;   in Loop: Header=BB6_130 Depth=2
	s_or_b32 exec_lo, exec_lo, s41
	v_mul_f32_e32 v4, s40, v4
	v_mov_b32_e32 v60, 0x8000
	s_mov_b32 s41, exec_lo
	v_and_b32_e32 v5, 0x7f800000, v4
	v_cmpx_ne_u32_e32 0x7f800000, v5
	s_cbranch_execz .LBB6_922
; %bb.915:                              ;   in Loop: Header=BB6_130 Depth=2
	v_mov_b32_e32 v60, 0
	s_mov_b32 s42, exec_lo
	v_cmpx_ne_u32_e32 0, v4
	s_cbranch_execz .LBB6_921
; %bb.916:                              ;   in Loop: Header=BB6_130 Depth=2
	v_bfe_u32 v6, v4, 23, 8
	v_and_b32_e32 v5, 0x7fffff, v4
	v_cmp_gt_u32_e64 s13, 0x79, v6
	v_sub_nc_u32_e32 v7, 0x78, v6
	v_cmp_eq_u32_e32 vcc_lo, 0, v6
	v_or_b32_e32 v8, 0x800000, v5
	v_cndmask_b32_e64 v7, 0, v7, s13
	v_cndmask_b32_e32 v5, v8, v5, vcc_lo
	v_cndmask_b32_e64 v7, v7, 0x77, vcc_lo
	v_lshl_add_u32 v8, 0x100000, v7, -1
	v_lshlrev_b32_e64 v9, v7, 0x80000
	v_and_b32_e32 v8, v8, v5
	v_cmp_eq_u32_e64 s13, v8, v9
	v_lshrrev_b32_e32 v8, v7, v5
	v_add_nc_u32_e32 v5, 0xffffff89, v6
	v_lshrrev_b32_e32 v6, 23, v8
	v_cndmask_b32_e64 v5, v5, 0xffffff8a, vcc_lo
	v_xor_b32_e32 v6, 1, v6
	v_add_nc_u32_e32 v5, v7, v5
	v_bfe_u32 v7, v8, 20, 1
	v_add_nc_u32_e32 v7, -1, v7
	v_cndmask_b32_e64 v7, 0, v7, s13
	s_mov_b32 s13, exec_lo
	v_add_nc_u32_e32 v7, v7, v8
	v_and_b32_e32 v7, 0xfffff, v7
	v_add_nc_u32_e32 v8, v7, v8
                                        ; implicit-def: $vgpr7
	v_cmpx_ne_u32_e64 v5, v6
	s_xor_b32 s13, exec_lo, s13
; %bb.917:                              ;   in Loop: Header=BB6_130 Depth=2
	v_cmp_lt_u32_e32 vcc_lo, 0xffffff, v8
	v_sub_nc_u32_e32 v5, v5, v6
	v_cndmask_b32_e64 v6, 0, 1, vcc_lo
	v_add_co_ci_u32_e64 v7, null, 0, v5, vcc_lo
	v_lshrrev_b32_e32 v8, v6, v8
; %bb.918:                              ;   in Loop: Header=BB6_130 Depth=2
	s_andn2_saveexec_b32 s13, s13
; %bb.919:                              ;   in Loop: Header=BB6_130 Depth=2
	v_bfe_u32 v7, v8, 23, 1
; %bb.920:                              ;   in Loop: Header=BB6_130 Depth=2
	s_or_b32 exec_lo, exec_lo, s13
	v_lshrrev_b32_e32 v5, 20, v8
	v_min_i32_e32 v6, 15, v7
	v_cmp_gt_i32_e32 vcc_lo, 16, v7
	v_and_b32_sdwa v4, v4, v114 dst_sel:DWORD dst_unused:UNUSED_PAD src0_sel:BYTE_3 src1_sel:DWORD
	v_lshlrev_b32_e32 v6, 3, v6
	v_cndmask_b32_e32 v5, 7, v5, vcc_lo
	v_and_b32_e32 v6, 0xf8, v6
	v_and_b32_e32 v8, 7, v5
	v_or_b32_e32 v5, v7, v5
	v_or3_b32 v4, v4, v6, v8
	v_cmp_ne_u32_e32 vcc_lo, 0, v5
	v_lshlrev_b32_e32 v4, 8, v4
	v_cndmask_b32_e32 v60, 0, v4, vcc_lo
.LBB6_921:                              ;   in Loop: Header=BB6_130 Depth=2
	s_or_b32 exec_lo, exec_lo, s42
.LBB6_922:                              ;   in Loop: Header=BB6_130 Depth=2
	s_or_b32 exec_lo, exec_lo, s41
	v_cmp_gt_i16_sdwa s41, v12, v113 src0_sel:BYTE_0 src1_sel:DWORD
	s_mov_b32 s13, 0
	s_and_saveexec_b32 s42, s41
	s_xor_b32 s41, exec_lo, s42
	s_cbranch_execz .LBB6_2424
; %bb.923:                              ;   in Loop: Header=BB6_130 Depth=2
	v_cmp_eq_u16_sdwa s43, v12, v114 src0_sel:BYTE_0 src1_sel:DWORD
	s_mov_b32 s13, -1
	s_and_saveexec_b32 s42, s43
; %bb.924:                              ;   in Loop: Header=BB6_130 Depth=2
	s_xor_b32 s13, exec_lo, -1
; %bb.925:                              ;   in Loop: Header=BB6_130 Depth=2
	s_or_b32 exec_lo, exec_lo, s42
	s_and_b32 s13, s13, exec_lo
	s_or_saveexec_b32 s41, s41
	v_mov_b32_e32 v4, 0x7f800001
	s_xor_b32 exec_lo, exec_lo, s41
	s_cbranch_execnz .LBB6_2425
.LBB6_926:                              ;   in Loop: Header=BB6_130 Depth=2
	s_or_b32 exec_lo, exec_lo, s41
	s_and_saveexec_b32 s41, s13
	s_cbranch_execz .LBB6_928
.LBB6_927:                              ;   in Loop: Header=BB6_130 Depth=2
	v_and_b32_e32 v4, 7, v12
	v_bfe_u32 v7, v12, 3, 4
	v_lshlrev_b32_e32 v8, 24, v12
	v_ffbh_u32_e32 v5, v4
	v_cmp_eq_u32_e32 vcc_lo, 0, v7
	v_min_u32_e32 v5, 32, v5
	v_subrev_nc_u32_e32 v6, 28, v5
	v_sub_nc_u32_e32 v5, 29, v5
	v_lshlrev_b32_e32 v6, v6, v12
	v_cndmask_b32_e32 v5, v7, v5, vcc_lo
	v_and_b32_e32 v6, 7, v6
	v_lshl_add_u32 v5, v5, 23, 0x3b800000
	v_cndmask_b32_e32 v4, v4, v6, vcc_lo
	v_and_b32_e32 v6, 0x80000000, v8
	v_lshlrev_b32_e32 v4, 20, v4
	v_or3_b32 v4, v6, v5, v4
.LBB6_928:                              ;   in Loop: Header=BB6_130 Depth=2
	s_or_b32 exec_lo, exec_lo, s41
	v_mul_f32_e32 v4, s40, v4
	v_mov_b32_e32 v47, 0x80
	s_mov_b32 s41, exec_lo
	v_and_b32_e32 v5, 0x7f800000, v4
	v_cmpx_ne_u32_e32 0x7f800000, v5
	s_cbranch_execz .LBB6_936
; %bb.929:                              ;   in Loop: Header=BB6_130 Depth=2
	v_mov_b32_e32 v47, 0
	s_mov_b32 s42, exec_lo
	v_cmpx_ne_u32_e32 0, v4
	s_cbranch_execz .LBB6_935
; %bb.930:                              ;   in Loop: Header=BB6_130 Depth=2
	v_bfe_u32 v6, v4, 23, 8
	v_and_b32_e32 v5, 0x7fffff, v4
	v_cmp_gt_u32_e64 s13, 0x79, v6
	v_sub_nc_u32_e32 v7, 0x78, v6
	v_cmp_eq_u32_e32 vcc_lo, 0, v6
	v_or_b32_e32 v8, 0x800000, v5
	v_cndmask_b32_e64 v7, 0, v7, s13
	v_cndmask_b32_e32 v5, v8, v5, vcc_lo
	v_cndmask_b32_e64 v7, v7, 0x77, vcc_lo
	v_lshl_add_u32 v8, 0x100000, v7, -1
	v_lshlrev_b32_e64 v9, v7, 0x80000
	v_and_b32_e32 v8, v8, v5
	v_cmp_eq_u32_e64 s13, v8, v9
	v_lshrrev_b32_e32 v8, v7, v5
	v_add_nc_u32_e32 v5, 0xffffff89, v6
	v_lshrrev_b32_e32 v6, 23, v8
	v_cndmask_b32_e64 v5, v5, 0xffffff8a, vcc_lo
	v_xor_b32_e32 v6, 1, v6
	v_add_nc_u32_e32 v5, v7, v5
	v_bfe_u32 v7, v8, 20, 1
	v_add_nc_u32_e32 v7, -1, v7
	v_cndmask_b32_e64 v7, 0, v7, s13
	s_mov_b32 s13, exec_lo
	v_add_nc_u32_e32 v7, v7, v8
	v_and_b32_e32 v7, 0xfffff, v7
	v_add_nc_u32_e32 v8, v7, v8
                                        ; implicit-def: $vgpr7
	v_cmpx_ne_u32_e64 v5, v6
	s_xor_b32 s13, exec_lo, s13
; %bb.931:                              ;   in Loop: Header=BB6_130 Depth=2
	v_cmp_lt_u32_e32 vcc_lo, 0xffffff, v8
	v_sub_nc_u32_e32 v5, v5, v6
	v_cndmask_b32_e64 v6, 0, 1, vcc_lo
	v_add_co_ci_u32_e64 v7, null, 0, v5, vcc_lo
	v_lshrrev_b32_e32 v8, v6, v8
; %bb.932:                              ;   in Loop: Header=BB6_130 Depth=2
	s_andn2_saveexec_b32 s13, s13
; %bb.933:                              ;   in Loop: Header=BB6_130 Depth=2
	v_bfe_u32 v7, v8, 23, 1
; %bb.934:                              ;   in Loop: Header=BB6_130 Depth=2
	s_or_b32 exec_lo, exec_lo, s13
	v_lshrrev_b32_e32 v5, 20, v8
	v_min_i32_e32 v6, 15, v7
	v_cmp_gt_i32_e32 vcc_lo, 16, v7
	v_and_b32_sdwa v4, v4, v114 dst_sel:DWORD dst_unused:UNUSED_PAD src0_sel:BYTE_3 src1_sel:DWORD
	v_lshlrev_b32_e32 v6, 3, v6
	v_cndmask_b32_e32 v5, 7, v5, vcc_lo
	v_and_b32_e32 v6, 0xf8, v6
	v_and_b32_e32 v8, 7, v5
	v_or_b32_e32 v5, v7, v5
	v_or3_b32 v4, v6, v4, v8
	v_cmp_ne_u32_e32 vcc_lo, 0, v5
	v_cndmask_b32_e32 v47, 0, v4, vcc_lo
.LBB6_935:                              ;   in Loop: Header=BB6_130 Depth=2
	s_or_b32 exec_lo, exec_lo, s42
.LBB6_936:                              ;   in Loop: Header=BB6_130 Depth=2
	s_or_b32 exec_lo, exec_lo, s41
	v_cmp_gt_i16_sdwa s41, v12, v113 src0_sel:BYTE_1 src1_sel:DWORD
	s_mov_b32 s13, 0
	s_and_saveexec_b32 s42, s41
	s_xor_b32 s41, exec_lo, s42
	s_cbranch_execz .LBB6_2426
; %bb.937:                              ;   in Loop: Header=BB6_130 Depth=2
	v_cmp_eq_u16_sdwa s43, v12, v114 src0_sel:BYTE_1 src1_sel:DWORD
	s_mov_b32 s13, -1
	s_and_saveexec_b32 s42, s43
; %bb.938:                              ;   in Loop: Header=BB6_130 Depth=2
	s_xor_b32 s13, exec_lo, -1
; %bb.939:                              ;   in Loop: Header=BB6_130 Depth=2
	s_or_b32 exec_lo, exec_lo, s42
	s_and_b32 s13, s13, exec_lo
	s_or_saveexec_b32 s41, s41
	v_mov_b32_e32 v4, 0x7f800001
	s_xor_b32 exec_lo, exec_lo, s41
	s_cbranch_execnz .LBB6_2427
.LBB6_940:                              ;   in Loop: Header=BB6_130 Depth=2
	s_or_b32 exec_lo, exec_lo, s41
	s_and_saveexec_b32 s41, s13
	s_cbranch_execz .LBB6_942
.LBB6_941:                              ;   in Loop: Header=BB6_130 Depth=2
	v_and_b32_sdwa v4, v115, v12 dst_sel:DWORD dst_unused:UNUSED_PAD src0_sel:DWORD src1_sel:BYTE_1
	v_and_b32_e32 v5, 7, v4
	v_bfe_u32 v8, v4, 3, 4
	v_ffbh_u32_e32 v6, v5
	v_cmp_eq_u32_e32 vcc_lo, 0, v8
	v_min_u32_e32 v6, 32, v6
	v_subrev_nc_u32_e32 v7, 28, v6
	v_sub_nc_u32_e32 v6, 29, v6
	v_lshlrev_b32_e32 v4, v7, v4
	v_lshlrev_b32_sdwa v7, v116, v12 dst_sel:DWORD dst_unused:UNUSED_PAD src0_sel:DWORD src1_sel:BYTE_1
	v_cndmask_b32_e32 v6, v8, v6, vcc_lo
	v_and_b32_e32 v4, 7, v4
	v_lshl_add_u32 v6, v6, 23, 0x3b800000
	v_cndmask_b32_e32 v4, v5, v4, vcc_lo
	v_and_b32_e32 v5, 0x80000000, v7
	v_lshlrev_b32_e32 v4, 20, v4
	v_or3_b32 v4, v5, v6, v4
.LBB6_942:                              ;   in Loop: Header=BB6_130 Depth=2
	s_or_b32 exec_lo, exec_lo, s41
	v_mul_f32_e32 v4, s40, v4
	v_mov_b32_e32 v59, 0x8000
	s_mov_b32 s41, exec_lo
	v_and_b32_e32 v5, 0x7f800000, v4
	v_cmpx_ne_u32_e32 0x7f800000, v5
	s_cbranch_execz .LBB6_950
; %bb.943:                              ;   in Loop: Header=BB6_130 Depth=2
	v_mov_b32_e32 v59, 0
	s_mov_b32 s42, exec_lo
	v_cmpx_ne_u32_e32 0, v4
	s_cbranch_execz .LBB6_949
; %bb.944:                              ;   in Loop: Header=BB6_130 Depth=2
	v_bfe_u32 v6, v4, 23, 8
	v_and_b32_e32 v5, 0x7fffff, v4
	v_cmp_gt_u32_e64 s13, 0x79, v6
	v_sub_nc_u32_e32 v7, 0x78, v6
	v_cmp_eq_u32_e32 vcc_lo, 0, v6
	v_or_b32_e32 v8, 0x800000, v5
	v_cndmask_b32_e64 v7, 0, v7, s13
	v_cndmask_b32_e32 v5, v8, v5, vcc_lo
	v_cndmask_b32_e64 v7, v7, 0x77, vcc_lo
	v_lshl_add_u32 v8, 0x100000, v7, -1
	v_lshlrev_b32_e64 v9, v7, 0x80000
	v_and_b32_e32 v8, v8, v5
	v_cmp_eq_u32_e64 s13, v8, v9
	v_lshrrev_b32_e32 v8, v7, v5
	v_add_nc_u32_e32 v5, 0xffffff89, v6
	v_lshrrev_b32_e32 v6, 23, v8
	v_cndmask_b32_e64 v5, v5, 0xffffff8a, vcc_lo
	v_xor_b32_e32 v6, 1, v6
	v_add_nc_u32_e32 v5, v7, v5
	v_bfe_u32 v7, v8, 20, 1
	v_add_nc_u32_e32 v7, -1, v7
	v_cndmask_b32_e64 v7, 0, v7, s13
	s_mov_b32 s13, exec_lo
	v_add_nc_u32_e32 v7, v7, v8
	v_and_b32_e32 v7, 0xfffff, v7
	v_add_nc_u32_e32 v7, v7, v8
                                        ; implicit-def: $vgpr8
	v_cmpx_ne_u32_e64 v5, v6
	s_xor_b32 s13, exec_lo, s13
; %bb.945:                              ;   in Loop: Header=BB6_130 Depth=2
	v_cmp_lt_u32_e32 vcc_lo, 0xffffff, v7
	v_sub_nc_u32_e32 v5, v5, v6
	v_cndmask_b32_e64 v6, 0, 1, vcc_lo
	v_add_co_ci_u32_e64 v8, null, 0, v5, vcc_lo
	v_lshrrev_b32_e32 v7, v6, v7
; %bb.946:                              ;   in Loop: Header=BB6_130 Depth=2
	s_andn2_saveexec_b32 s13, s13
; %bb.947:                              ;   in Loop: Header=BB6_130 Depth=2
	v_bfe_u32 v8, v7, 23, 1
; %bb.948:                              ;   in Loop: Header=BB6_130 Depth=2
	s_or_b32 exec_lo, exec_lo, s13
	v_lshrrev_b32_e32 v5, 20, v7
	v_min_i32_e32 v6, 15, v8
	v_cmp_gt_i32_e32 vcc_lo, 16, v8
	v_and_b32_sdwa v4, v4, v114 dst_sel:DWORD dst_unused:UNUSED_PAD src0_sel:BYTE_3 src1_sel:DWORD
	v_lshlrev_b32_e32 v6, 3, v6
	v_cndmask_b32_e32 v5, 7, v5, vcc_lo
	v_and_b32_e32 v6, 0xf8, v6
	v_or_b32_e32 v7, v8, v5
	v_and_b32_e32 v5, 7, v5
	v_cmp_ne_u32_e32 vcc_lo, 0, v7
	v_or3_b32 v4, v4, v6, v5
	v_lshlrev_b32_e32 v4, 8, v4
	v_cndmask_b32_e32 v59, 0, v4, vcc_lo
.LBB6_949:                              ;   in Loop: Header=BB6_130 Depth=2
	s_or_b32 exec_lo, exec_lo, s42
.LBB6_950:                              ;   in Loop: Header=BB6_130 Depth=2
	s_or_b32 exec_lo, exec_lo, s41
	v_and_b32_sdwa v5, v12, v117 dst_sel:DWORD dst_unused:UNUSED_PAD src0_sel:WORD_1 src1_sel:DWORD
	s_mov_b32 s41, 0
	s_mov_b32 s13, exec_lo
	v_cmpx_lt_i16_e32 0x7f, v5
	s_xor_b32 s13, exec_lo, s13
	s_cbranch_execz .LBB6_2428
; %bb.951:                              ;   in Loop: Header=BB6_130 Depth=2
	s_mov_b32 s41, -1
	s_mov_b32 s42, exec_lo
	v_cmpx_eq_u16_e32 0x80, v5
; %bb.952:                              ;   in Loop: Header=BB6_130 Depth=2
	s_xor_b32 s41, exec_lo, -1
; %bb.953:                              ;   in Loop: Header=BB6_130 Depth=2
	s_or_b32 exec_lo, exec_lo, s42
	s_and_b32 s41, s41, exec_lo
                                        ; implicit-def: $vgpr5
	s_or_saveexec_b32 s13, s13
	v_mov_b32_e32 v4, 0x7f800001
	s_xor_b32 exec_lo, exec_lo, s13
	s_cbranch_execnz .LBB6_2429
.LBB6_954:                              ;   in Loop: Header=BB6_130 Depth=2
	s_or_b32 exec_lo, exec_lo, s13
	s_and_saveexec_b32 s13, s41
	s_cbranch_execz .LBB6_956
.LBB6_955:                              ;   in Loop: Header=BB6_130 Depth=2
	v_bfe_u32 v4, v12, 16, 3
	v_bfe_u32 v5, v12, 19, 4
	v_ffbh_u32_e32 v6, v4
	v_cmp_eq_u32_e32 vcc_lo, 0, v5
	v_min_u32_e32 v6, 32, v6
	v_subrev_nc_u32_e32 v7, 28, v6
	v_sub_nc_u32_e32 v6, 29, v6
	v_lshlrev_b32_sdwa v7, v7, v12 dst_sel:DWORD dst_unused:UNUSED_PAD src0_sel:DWORD src1_sel:WORD_1
	v_cndmask_b32_e32 v5, v5, v6, vcc_lo
	v_lshlrev_b32_e32 v6, 8, v12
	v_and_b32_e32 v7, 7, v7
	v_lshl_add_u32 v5, v5, 23, 0x3b800000
	v_and_b32_e32 v6, 0x80000000, v6
	v_cndmask_b32_e32 v4, v4, v7, vcc_lo
	v_lshlrev_b32_e32 v4, 20, v4
	v_or3_b32 v4, v6, v5, v4
.LBB6_956:                              ;   in Loop: Header=BB6_130 Depth=2
	s_or_b32 exec_lo, exec_lo, s13
	v_mul_f32_e32 v4, s40, v4
	v_mov_b32_e32 v45, 0x80
	s_mov_b32 s41, exec_lo
	v_and_b32_e32 v5, 0x7f800000, v4
	v_cmpx_ne_u32_e32 0x7f800000, v5
	s_cbranch_execz .LBB6_964
; %bb.957:                              ;   in Loop: Header=BB6_130 Depth=2
	v_mov_b32_e32 v45, 0
	s_mov_b32 s42, exec_lo
	v_cmpx_ne_u32_e32 0, v4
	s_cbranch_execz .LBB6_963
; %bb.958:                              ;   in Loop: Header=BB6_130 Depth=2
	v_bfe_u32 v6, v4, 23, 8
	v_and_b32_e32 v5, 0x7fffff, v4
	v_cmp_gt_u32_e64 s13, 0x79, v6
	v_sub_nc_u32_e32 v7, 0x78, v6
	v_cmp_eq_u32_e32 vcc_lo, 0, v6
	v_or_b32_e32 v8, 0x800000, v5
	v_cndmask_b32_e64 v7, 0, v7, s13
	v_cndmask_b32_e32 v5, v8, v5, vcc_lo
	v_cndmask_b32_e64 v7, v7, 0x77, vcc_lo
	v_lshl_add_u32 v8, 0x100000, v7, -1
	v_lshlrev_b32_e64 v9, v7, 0x80000
	v_and_b32_e32 v8, v8, v5
	v_cmp_eq_u32_e64 s13, v8, v9
	v_lshrrev_b32_e32 v8, v7, v5
	v_add_nc_u32_e32 v5, 0xffffff89, v6
	v_lshrrev_b32_e32 v6, 23, v8
	v_cndmask_b32_e64 v5, v5, 0xffffff8a, vcc_lo
	v_xor_b32_e32 v6, 1, v6
	v_add_nc_u32_e32 v5, v7, v5
	v_bfe_u32 v7, v8, 20, 1
	v_add_nc_u32_e32 v7, -1, v7
	v_cndmask_b32_e64 v7, 0, v7, s13
	s_mov_b32 s13, exec_lo
	v_add_nc_u32_e32 v7, v7, v8
	v_and_b32_e32 v7, 0xfffff, v7
	v_add_nc_u32_e32 v7, v7, v8
                                        ; implicit-def: $vgpr8
	v_cmpx_ne_u32_e64 v5, v6
	s_xor_b32 s13, exec_lo, s13
; %bb.959:                              ;   in Loop: Header=BB6_130 Depth=2
	v_cmp_lt_u32_e32 vcc_lo, 0xffffff, v7
	v_sub_nc_u32_e32 v5, v5, v6
	v_cndmask_b32_e64 v6, 0, 1, vcc_lo
	v_add_co_ci_u32_e64 v8, null, 0, v5, vcc_lo
	v_lshrrev_b32_e32 v7, v6, v7
; %bb.960:                              ;   in Loop: Header=BB6_130 Depth=2
	s_andn2_saveexec_b32 s13, s13
; %bb.961:                              ;   in Loop: Header=BB6_130 Depth=2
	v_bfe_u32 v8, v7, 23, 1
; %bb.962:                              ;   in Loop: Header=BB6_130 Depth=2
	s_or_b32 exec_lo, exec_lo, s13
	v_lshrrev_b32_e32 v5, 20, v7
	v_min_i32_e32 v6, 15, v8
	v_cmp_gt_i32_e32 vcc_lo, 16, v8
	v_and_b32_sdwa v4, v4, v114 dst_sel:DWORD dst_unused:UNUSED_PAD src0_sel:BYTE_3 src1_sel:DWORD
	v_lshlrev_b32_e32 v6, 3, v6
	v_cndmask_b32_e32 v5, 7, v5, vcc_lo
	v_and_b32_e32 v6, 0xf8, v6
	v_or_b32_e32 v7, v8, v5
	v_and_b32_e32 v5, 7, v5
	v_cmp_ne_u32_e32 vcc_lo, 0, v7
	v_or3_b32 v4, v6, v4, v5
	v_cndmask_b32_e32 v45, 0, v4, vcc_lo
.LBB6_963:                              ;   in Loop: Header=BB6_130 Depth=2
	s_or_b32 exec_lo, exec_lo, s42
.LBB6_964:                              ;   in Loop: Header=BB6_130 Depth=2
	s_or_b32 exec_lo, exec_lo, s41
	v_cmp_gt_i16_sdwa s41, v12, v113 src0_sel:BYTE_3 src1_sel:DWORD
	s_mov_b32 s13, 0
	s_and_saveexec_b32 s42, s41
	s_xor_b32 s41, exec_lo, s42
	s_cbranch_execz .LBB6_2430
; %bb.965:                              ;   in Loop: Header=BB6_130 Depth=2
	v_cmp_eq_u16_sdwa s43, v12, v114 src0_sel:BYTE_3 src1_sel:DWORD
	s_mov_b32 s13, -1
	s_and_saveexec_b32 s42, s43
; %bb.966:                              ;   in Loop: Header=BB6_130 Depth=2
	s_xor_b32 s13, exec_lo, -1
; %bb.967:                              ;   in Loop: Header=BB6_130 Depth=2
	s_or_b32 exec_lo, exec_lo, s42
	s_and_b32 s13, s13, exec_lo
	s_or_saveexec_b32 s41, s41
	v_mov_b32_e32 v4, 0x7f800001
	s_xor_b32 exec_lo, exec_lo, s41
	s_cbranch_execnz .LBB6_2431
.LBB6_968:                              ;   in Loop: Header=BB6_130 Depth=2
	s_or_b32 exec_lo, exec_lo, s41
	s_and_saveexec_b32 s41, s13
	s_cbranch_execz .LBB6_970
.LBB6_969:                              ;   in Loop: Header=BB6_130 Depth=2
	v_bfe_u32 v4, v12, 24, 3
	v_bfe_u32 v7, v12, 27, 4
	v_ffbh_u32_e32 v5, v4
	v_cmp_eq_u32_e32 vcc_lo, 0, v7
	v_min_u32_e32 v5, 32, v5
	v_subrev_nc_u32_e32 v6, 28, v5
	v_sub_nc_u32_e32 v5, 29, v5
	v_lshlrev_b32_sdwa v6, v6, v12 dst_sel:DWORD dst_unused:UNUSED_PAD src0_sel:DWORD src1_sel:BYTE_3
	v_cndmask_b32_e32 v5, v7, v5, vcc_lo
	v_and_b32_e32 v6, 7, v6
	v_lshl_add_u32 v5, v5, 23, 0x3b800000
	v_cndmask_b32_e32 v4, v4, v6, vcc_lo
	v_and_b32_e32 v6, 0x80000000, v12
	v_lshlrev_b32_e32 v4, 20, v4
	v_or3_b32 v4, v6, v5, v4
.LBB6_970:                              ;   in Loop: Header=BB6_130 Depth=2
	s_or_b32 exec_lo, exec_lo, s41
	v_mul_f32_e32 v4, s40, v4
	v_mov_b32_e32 v57, 0x8000
	s_mov_b32 s41, exec_lo
	v_and_b32_e32 v5, 0x7f800000, v4
	v_cmpx_ne_u32_e32 0x7f800000, v5
	s_cbranch_execz .LBB6_978
; %bb.971:                              ;   in Loop: Header=BB6_130 Depth=2
	v_mov_b32_e32 v57, 0
	s_mov_b32 s42, exec_lo
	v_cmpx_ne_u32_e32 0, v4
	s_cbranch_execz .LBB6_977
; %bb.972:                              ;   in Loop: Header=BB6_130 Depth=2
	v_bfe_u32 v6, v4, 23, 8
	v_and_b32_e32 v5, 0x7fffff, v4
	v_cmp_gt_u32_e64 s13, 0x79, v6
	v_sub_nc_u32_e32 v7, 0x78, v6
	v_cmp_eq_u32_e32 vcc_lo, 0, v6
	v_or_b32_e32 v8, 0x800000, v5
	v_cndmask_b32_e64 v7, 0, v7, s13
	v_cndmask_b32_e32 v5, v8, v5, vcc_lo
	v_cndmask_b32_e64 v7, v7, 0x77, vcc_lo
	v_lshl_add_u32 v8, 0x100000, v7, -1
	v_lshlrev_b32_e64 v9, v7, 0x80000
	v_and_b32_e32 v8, v8, v5
	v_cmp_eq_u32_e64 s13, v8, v9
	v_lshrrev_b32_e32 v8, v7, v5
	v_add_nc_u32_e32 v5, 0xffffff89, v6
	v_lshrrev_b32_e32 v6, 23, v8
	v_cndmask_b32_e64 v5, v5, 0xffffff8a, vcc_lo
	v_xor_b32_e32 v6, 1, v6
	v_add_nc_u32_e32 v5, v7, v5
	v_bfe_u32 v7, v8, 20, 1
	v_add_nc_u32_e32 v7, -1, v7
	v_cndmask_b32_e64 v7, 0, v7, s13
	s_mov_b32 s13, exec_lo
	v_add_nc_u32_e32 v7, v7, v8
	v_and_b32_e32 v7, 0xfffff, v7
	v_add_nc_u32_e32 v7, v7, v8
                                        ; implicit-def: $vgpr8
	v_cmpx_ne_u32_e64 v5, v6
	s_xor_b32 s13, exec_lo, s13
; %bb.973:                              ;   in Loop: Header=BB6_130 Depth=2
	v_cmp_lt_u32_e32 vcc_lo, 0xffffff, v7
	v_sub_nc_u32_e32 v5, v5, v6
	v_cndmask_b32_e64 v6, 0, 1, vcc_lo
	v_add_co_ci_u32_e64 v8, null, 0, v5, vcc_lo
	v_lshrrev_b32_e32 v7, v6, v7
; %bb.974:                              ;   in Loop: Header=BB6_130 Depth=2
	s_andn2_saveexec_b32 s13, s13
; %bb.975:                              ;   in Loop: Header=BB6_130 Depth=2
	v_bfe_u32 v8, v7, 23, 1
; %bb.976:                              ;   in Loop: Header=BB6_130 Depth=2
	s_or_b32 exec_lo, exec_lo, s13
	v_lshrrev_b32_e32 v5, 20, v7
	v_min_i32_e32 v6, 15, v8
	v_cmp_gt_i32_e32 vcc_lo, 16, v8
	v_and_b32_sdwa v4, v4, v114 dst_sel:DWORD dst_unused:UNUSED_PAD src0_sel:BYTE_3 src1_sel:DWORD
	v_lshlrev_b32_e32 v6, 3, v6
	v_cndmask_b32_e32 v5, 7, v5, vcc_lo
	v_and_b32_e32 v6, 0xf8, v6
	v_or_b32_e32 v7, v8, v5
	v_and_b32_e32 v5, 7, v5
	v_cmp_ne_u32_e32 vcc_lo, 0, v7
	v_or3_b32 v4, v4, v6, v5
	v_lshlrev_b32_e32 v4, 8, v4
	v_cndmask_b32_e32 v57, 0, v4, vcc_lo
.LBB6_977:                              ;   in Loop: Header=BB6_130 Depth=2
	s_or_b32 exec_lo, exec_lo, s42
.LBB6_978:                              ;   in Loop: Header=BB6_130 Depth=2
	s_or_b32 exec_lo, exec_lo, s41
	v_cmp_gt_i16_sdwa s13, v13, v113 src0_sel:BYTE_0 src1_sel:DWORD
	s_mov_b32 s41, 0
	s_and_saveexec_b32 s42, s13
	s_xor_b32 s13, exec_lo, s42
	s_cbranch_execz .LBB6_2432
; %bb.979:                              ;   in Loop: Header=BB6_130 Depth=2
	v_cmp_eq_u16_sdwa s43, v13, v114 src0_sel:BYTE_0 src1_sel:DWORD
	s_mov_b32 s41, -1
	s_and_saveexec_b32 s42, s43
; %bb.980:                              ;   in Loop: Header=BB6_130 Depth=2
	s_xor_b32 s41, exec_lo, -1
; %bb.981:                              ;   in Loop: Header=BB6_130 Depth=2
	s_or_b32 exec_lo, exec_lo, s42
	s_and_b32 s41, s41, exec_lo
	s_or_saveexec_b32 s13, s13
	v_mov_b32_e32 v4, 0x7f800001
	s_xor_b32 exec_lo, exec_lo, s13
	s_cbranch_execnz .LBB6_2433
.LBB6_982:                              ;   in Loop: Header=BB6_130 Depth=2
	s_or_b32 exec_lo, exec_lo, s13
	s_and_saveexec_b32 s13, s41
	s_cbranch_execz .LBB6_984
.LBB6_983:                              ;   in Loop: Header=BB6_130 Depth=2
	v_and_b32_e32 v4, 7, v13
	v_bfe_u32 v5, v13, 3, 4
	v_ffbh_u32_e32 v6, v4
	v_cmp_eq_u32_e32 vcc_lo, 0, v5
	v_min_u32_e32 v6, 32, v6
	v_subrev_nc_u32_e32 v7, 28, v6
	v_sub_nc_u32_e32 v6, 29, v6
	v_lshlrev_b32_e32 v7, v7, v13
	v_cndmask_b32_e32 v5, v5, v6, vcc_lo
	v_lshlrev_b32_e32 v6, 24, v13
	v_and_b32_e32 v7, 7, v7
	v_lshl_add_u32 v5, v5, 23, 0x3b800000
	v_and_b32_e32 v6, 0x80000000, v6
	v_cndmask_b32_e32 v4, v4, v7, vcc_lo
	v_lshlrev_b32_e32 v4, 20, v4
	v_or3_b32 v4, v6, v5, v4
.LBB6_984:                              ;   in Loop: Header=BB6_130 Depth=2
	s_or_b32 exec_lo, exec_lo, s13
	v_mul_f32_e32 v4, s40, v4
	v_mov_b32_e32 v42, 0x80
	s_mov_b32 s41, exec_lo
	v_and_b32_e32 v5, 0x7f800000, v4
	v_cmpx_ne_u32_e32 0x7f800000, v5
	s_cbranch_execz .LBB6_992
; %bb.985:                              ;   in Loop: Header=BB6_130 Depth=2
	v_mov_b32_e32 v42, 0
	s_mov_b32 s42, exec_lo
	v_cmpx_ne_u32_e32 0, v4
	s_cbranch_execz .LBB6_991
; %bb.986:                              ;   in Loop: Header=BB6_130 Depth=2
	v_bfe_u32 v6, v4, 23, 8
	v_and_b32_e32 v5, 0x7fffff, v4
	v_cmp_gt_u32_e64 s13, 0x79, v6
	v_sub_nc_u32_e32 v7, 0x78, v6
	v_cmp_eq_u32_e32 vcc_lo, 0, v6
	v_or_b32_e32 v8, 0x800000, v5
	v_cndmask_b32_e64 v7, 0, v7, s13
	v_cndmask_b32_e32 v5, v8, v5, vcc_lo
	v_cndmask_b32_e64 v7, v7, 0x77, vcc_lo
	v_lshl_add_u32 v8, 0x100000, v7, -1
	v_lshlrev_b32_e64 v9, v7, 0x80000
	v_and_b32_e32 v8, v8, v5
	v_cmp_eq_u32_e64 s13, v8, v9
	v_lshrrev_b32_e32 v8, v7, v5
	v_add_nc_u32_e32 v5, 0xffffff89, v6
	v_lshrrev_b32_e32 v6, 23, v8
	v_cndmask_b32_e64 v5, v5, 0xffffff8a, vcc_lo
	v_xor_b32_e32 v6, 1, v6
	v_add_nc_u32_e32 v5, v7, v5
	v_bfe_u32 v7, v8, 20, 1
	v_add_nc_u32_e32 v7, -1, v7
	v_cndmask_b32_e64 v7, 0, v7, s13
	s_mov_b32 s13, exec_lo
	v_add_nc_u32_e32 v7, v7, v8
	v_and_b32_e32 v7, 0xfffff, v7
	v_add_nc_u32_e32 v7, v7, v8
                                        ; implicit-def: $vgpr8
	v_cmpx_ne_u32_e64 v5, v6
	s_xor_b32 s13, exec_lo, s13
; %bb.987:                              ;   in Loop: Header=BB6_130 Depth=2
	v_cmp_lt_u32_e32 vcc_lo, 0xffffff, v7
	v_sub_nc_u32_e32 v5, v5, v6
	v_cndmask_b32_e64 v6, 0, 1, vcc_lo
	v_add_co_ci_u32_e64 v8, null, 0, v5, vcc_lo
	v_lshrrev_b32_e32 v7, v6, v7
; %bb.988:                              ;   in Loop: Header=BB6_130 Depth=2
	s_andn2_saveexec_b32 s13, s13
; %bb.989:                              ;   in Loop: Header=BB6_130 Depth=2
	v_bfe_u32 v8, v7, 23, 1
; %bb.990:                              ;   in Loop: Header=BB6_130 Depth=2
	s_or_b32 exec_lo, exec_lo, s13
	v_lshrrev_b32_e32 v5, 20, v7
	v_min_i32_e32 v6, 15, v8
	v_cmp_gt_i32_e32 vcc_lo, 16, v8
	v_and_b32_sdwa v4, v4, v114 dst_sel:DWORD dst_unused:UNUSED_PAD src0_sel:BYTE_3 src1_sel:DWORD
	v_lshlrev_b32_e32 v6, 3, v6
	v_cndmask_b32_e32 v5, 7, v5, vcc_lo
	v_and_b32_e32 v6, 0xf8, v6
	v_or_b32_e32 v7, v8, v5
	v_and_b32_e32 v5, 7, v5
	v_cmp_ne_u32_e32 vcc_lo, 0, v7
	v_or3_b32 v4, v6, v4, v5
	v_cndmask_b32_e32 v42, 0, v4, vcc_lo
.LBB6_991:                              ;   in Loop: Header=BB6_130 Depth=2
	s_or_b32 exec_lo, exec_lo, s42
.LBB6_992:                              ;   in Loop: Header=BB6_130 Depth=2
	s_or_b32 exec_lo, exec_lo, s41
	v_cmp_gt_i16_sdwa s41, v13, v113 src0_sel:BYTE_1 src1_sel:DWORD
	s_mov_b32 s13, 0
	s_and_saveexec_b32 s42, s41
	s_xor_b32 s41, exec_lo, s42
	s_cbranch_execz .LBB6_2434
; %bb.993:                              ;   in Loop: Header=BB6_130 Depth=2
	v_cmp_eq_u16_sdwa s43, v13, v114 src0_sel:BYTE_1 src1_sel:DWORD
	s_mov_b32 s13, -1
	s_and_saveexec_b32 s42, s43
; %bb.994:                              ;   in Loop: Header=BB6_130 Depth=2
	s_xor_b32 s13, exec_lo, -1
; %bb.995:                              ;   in Loop: Header=BB6_130 Depth=2
	s_or_b32 exec_lo, exec_lo, s42
	s_and_b32 s13, s13, exec_lo
	s_or_saveexec_b32 s41, s41
	v_mov_b32_e32 v4, 0x7f800001
	s_xor_b32 exec_lo, exec_lo, s41
	s_cbranch_execnz .LBB6_2435
.LBB6_996:                              ;   in Loop: Header=BB6_130 Depth=2
	s_or_b32 exec_lo, exec_lo, s41
	s_and_saveexec_b32 s41, s13
	s_cbranch_execz .LBB6_998
.LBB6_997:                              ;   in Loop: Header=BB6_130 Depth=2
	v_and_b32_sdwa v4, v115, v13 dst_sel:DWORD dst_unused:UNUSED_PAD src0_sel:DWORD src1_sel:BYTE_1
	v_and_b32_e32 v5, 7, v4
	v_bfe_u32 v8, v4, 3, 4
	v_ffbh_u32_e32 v6, v5
	v_cmp_eq_u32_e32 vcc_lo, 0, v8
	v_min_u32_e32 v6, 32, v6
	v_subrev_nc_u32_e32 v7, 28, v6
	v_sub_nc_u32_e32 v6, 29, v6
	v_lshlrev_b32_e32 v4, v7, v4
	v_lshlrev_b32_sdwa v7, v116, v13 dst_sel:DWORD dst_unused:UNUSED_PAD src0_sel:DWORD src1_sel:BYTE_1
	v_cndmask_b32_e32 v6, v8, v6, vcc_lo
	v_and_b32_e32 v4, 7, v4
	v_lshl_add_u32 v6, v6, 23, 0x3b800000
	v_cndmask_b32_e32 v4, v5, v4, vcc_lo
	v_and_b32_e32 v5, 0x80000000, v7
	v_lshlrev_b32_e32 v4, 20, v4
	v_or3_b32 v4, v5, v6, v4
.LBB6_998:                              ;   in Loop: Header=BB6_130 Depth=2
	s_or_b32 exec_lo, exec_lo, s41
	v_mul_f32_e32 v4, s40, v4
	v_mov_b32_e32 v46, 0x8000
	s_mov_b32 s41, exec_lo
	v_and_b32_e32 v5, 0x7f800000, v4
	v_cmpx_ne_u32_e32 0x7f800000, v5
	s_cbranch_execz .LBB6_1006
; %bb.999:                              ;   in Loop: Header=BB6_130 Depth=2
	v_mov_b32_e32 v46, 0
	s_mov_b32 s42, exec_lo
	v_cmpx_ne_u32_e32 0, v4
	s_cbranch_execz .LBB6_1005
; %bb.1000:                             ;   in Loop: Header=BB6_130 Depth=2
	v_bfe_u32 v6, v4, 23, 8
	v_and_b32_e32 v5, 0x7fffff, v4
	v_cmp_gt_u32_e64 s13, 0x79, v6
	v_sub_nc_u32_e32 v7, 0x78, v6
	v_cmp_eq_u32_e32 vcc_lo, 0, v6
	v_or_b32_e32 v8, 0x800000, v5
	v_cndmask_b32_e64 v7, 0, v7, s13
	v_cndmask_b32_e32 v5, v8, v5, vcc_lo
	v_cndmask_b32_e64 v7, v7, 0x77, vcc_lo
	v_lshl_add_u32 v8, 0x100000, v7, -1
	v_lshlrev_b32_e64 v9, v7, 0x80000
	v_and_b32_e32 v8, v8, v5
	v_cmp_eq_u32_e64 s13, v8, v9
	v_lshrrev_b32_e32 v8, v7, v5
	v_add_nc_u32_e32 v5, 0xffffff89, v6
	v_lshrrev_b32_e32 v6, 23, v8
	v_cndmask_b32_e64 v5, v5, 0xffffff8a, vcc_lo
	v_xor_b32_e32 v6, 1, v6
	v_add_nc_u32_e32 v5, v7, v5
	v_bfe_u32 v7, v8, 20, 1
	v_add_nc_u32_e32 v7, -1, v7
	v_cndmask_b32_e64 v7, 0, v7, s13
	s_mov_b32 s13, exec_lo
	v_add_nc_u32_e32 v7, v7, v8
	v_and_b32_e32 v7, 0xfffff, v7
	v_add_nc_u32_e32 v7, v7, v8
                                        ; implicit-def: $vgpr8
	v_cmpx_ne_u32_e64 v5, v6
	s_xor_b32 s13, exec_lo, s13
; %bb.1001:                             ;   in Loop: Header=BB6_130 Depth=2
	v_cmp_lt_u32_e32 vcc_lo, 0xffffff, v7
	v_sub_nc_u32_e32 v5, v5, v6
	v_cndmask_b32_e64 v6, 0, 1, vcc_lo
	v_add_co_ci_u32_e64 v8, null, 0, v5, vcc_lo
	v_lshrrev_b32_e32 v7, v6, v7
; %bb.1002:                             ;   in Loop: Header=BB6_130 Depth=2
	s_andn2_saveexec_b32 s13, s13
; %bb.1003:                             ;   in Loop: Header=BB6_130 Depth=2
	v_bfe_u32 v8, v7, 23, 1
; %bb.1004:                             ;   in Loop: Header=BB6_130 Depth=2
	s_or_b32 exec_lo, exec_lo, s13
	v_lshrrev_b32_e32 v5, 20, v7
	v_min_i32_e32 v6, 15, v8
	v_cmp_gt_i32_e32 vcc_lo, 16, v8
	v_and_b32_sdwa v4, v4, v114 dst_sel:DWORD dst_unused:UNUSED_PAD src0_sel:BYTE_3 src1_sel:DWORD
	v_lshlrev_b32_e32 v6, 3, v6
	v_cndmask_b32_e32 v5, 7, v5, vcc_lo
	v_and_b32_e32 v6, 0xf8, v6
	v_or_b32_e32 v7, v8, v5
	v_and_b32_e32 v5, 7, v5
	v_cmp_ne_u32_e32 vcc_lo, 0, v7
	v_or3_b32 v4, v4, v6, v5
	v_lshlrev_b32_e32 v4, 8, v4
	v_cndmask_b32_e32 v46, 0, v4, vcc_lo
.LBB6_1005:                             ;   in Loop: Header=BB6_130 Depth=2
	s_or_b32 exec_lo, exec_lo, s42
.LBB6_1006:                             ;   in Loop: Header=BB6_130 Depth=2
	s_or_b32 exec_lo, exec_lo, s41
	v_and_b32_sdwa v5, v13, v117 dst_sel:DWORD dst_unused:UNUSED_PAD src0_sel:WORD_1 src1_sel:DWORD
	s_mov_b32 s41, 0
	s_mov_b32 s13, exec_lo
	v_cmpx_lt_i16_e32 0x7f, v5
	s_xor_b32 s13, exec_lo, s13
	s_cbranch_execz .LBB6_2436
; %bb.1007:                             ;   in Loop: Header=BB6_130 Depth=2
	s_mov_b32 s41, -1
	s_mov_b32 s42, exec_lo
	v_cmpx_eq_u16_e32 0x80, v5
; %bb.1008:                             ;   in Loop: Header=BB6_130 Depth=2
	s_xor_b32 s41, exec_lo, -1
; %bb.1009:                             ;   in Loop: Header=BB6_130 Depth=2
	s_or_b32 exec_lo, exec_lo, s42
	s_and_b32 s41, s41, exec_lo
                                        ; implicit-def: $vgpr5
	s_or_saveexec_b32 s13, s13
	v_mov_b32_e32 v4, 0x7f800001
	s_xor_b32 exec_lo, exec_lo, s13
	s_cbranch_execnz .LBB6_2437
.LBB6_1010:                             ;   in Loop: Header=BB6_130 Depth=2
	s_or_b32 exec_lo, exec_lo, s13
	s_and_saveexec_b32 s13, s41
	s_cbranch_execz .LBB6_1012
.LBB6_1011:                             ;   in Loop: Header=BB6_130 Depth=2
	v_bfe_u32 v4, v13, 16, 3
	v_bfe_u32 v5, v13, 19, 4
	v_ffbh_u32_e32 v6, v4
	v_cmp_eq_u32_e32 vcc_lo, 0, v5
	v_min_u32_e32 v6, 32, v6
	v_subrev_nc_u32_e32 v7, 28, v6
	v_sub_nc_u32_e32 v6, 29, v6
	v_lshlrev_b32_sdwa v7, v7, v13 dst_sel:DWORD dst_unused:UNUSED_PAD src0_sel:DWORD src1_sel:WORD_1
	v_cndmask_b32_e32 v5, v5, v6, vcc_lo
	v_lshlrev_b32_e32 v6, 8, v13
	v_and_b32_e32 v7, 7, v7
	v_lshl_add_u32 v5, v5, 23, 0x3b800000
	v_and_b32_e32 v6, 0x80000000, v6
	v_cndmask_b32_e32 v4, v4, v7, vcc_lo
	v_lshlrev_b32_e32 v4, 20, v4
	v_or3_b32 v4, v6, v5, v4
.LBB6_1012:                             ;   in Loop: Header=BB6_130 Depth=2
	s_or_b32 exec_lo, exec_lo, s13
	v_mul_f32_e32 v4, s40, v4
	v_mov_b32_e32 v41, 0x80
	s_mov_b32 s41, exec_lo
	v_and_b32_e32 v5, 0x7f800000, v4
	v_cmpx_ne_u32_e32 0x7f800000, v5
	s_cbranch_execz .LBB6_1020
; %bb.1013:                             ;   in Loop: Header=BB6_130 Depth=2
	v_mov_b32_e32 v41, 0
	s_mov_b32 s42, exec_lo
	v_cmpx_ne_u32_e32 0, v4
	s_cbranch_execz .LBB6_1019
; %bb.1014:                             ;   in Loop: Header=BB6_130 Depth=2
	v_bfe_u32 v6, v4, 23, 8
	v_and_b32_e32 v5, 0x7fffff, v4
	v_cmp_gt_u32_e64 s13, 0x79, v6
	v_sub_nc_u32_e32 v7, 0x78, v6
	v_cmp_eq_u32_e32 vcc_lo, 0, v6
	v_or_b32_e32 v8, 0x800000, v5
	v_cndmask_b32_e64 v7, 0, v7, s13
	v_cndmask_b32_e32 v5, v8, v5, vcc_lo
	v_cndmask_b32_e64 v7, v7, 0x77, vcc_lo
	v_lshl_add_u32 v8, 0x100000, v7, -1
	v_lshlrev_b32_e64 v9, v7, 0x80000
	v_and_b32_e32 v8, v8, v5
	v_cmp_eq_u32_e64 s13, v8, v9
	v_lshrrev_b32_e32 v8, v7, v5
	v_add_nc_u32_e32 v5, 0xffffff89, v6
	v_lshrrev_b32_e32 v6, 23, v8
	v_cndmask_b32_e64 v5, v5, 0xffffff8a, vcc_lo
	v_xor_b32_e32 v6, 1, v6
	v_add_nc_u32_e32 v5, v7, v5
	v_bfe_u32 v7, v8, 20, 1
	v_add_nc_u32_e32 v7, -1, v7
	v_cndmask_b32_e64 v7, 0, v7, s13
	s_mov_b32 s13, exec_lo
	v_add_nc_u32_e32 v7, v7, v8
	v_and_b32_e32 v7, 0xfffff, v7
	v_add_nc_u32_e32 v7, v7, v8
                                        ; implicit-def: $vgpr8
	v_cmpx_ne_u32_e64 v5, v6
	s_xor_b32 s13, exec_lo, s13
; %bb.1015:                             ;   in Loop: Header=BB6_130 Depth=2
	v_cmp_lt_u32_e32 vcc_lo, 0xffffff, v7
	v_sub_nc_u32_e32 v5, v5, v6
	v_cndmask_b32_e64 v6, 0, 1, vcc_lo
	v_add_co_ci_u32_e64 v8, null, 0, v5, vcc_lo
	v_lshrrev_b32_e32 v7, v6, v7
; %bb.1016:                             ;   in Loop: Header=BB6_130 Depth=2
	s_andn2_saveexec_b32 s13, s13
; %bb.1017:                             ;   in Loop: Header=BB6_130 Depth=2
	v_bfe_u32 v8, v7, 23, 1
; %bb.1018:                             ;   in Loop: Header=BB6_130 Depth=2
	s_or_b32 exec_lo, exec_lo, s13
	v_lshrrev_b32_e32 v5, 20, v7
	v_min_i32_e32 v6, 15, v8
	v_cmp_gt_i32_e32 vcc_lo, 16, v8
	v_and_b32_sdwa v4, v4, v114 dst_sel:DWORD dst_unused:UNUSED_PAD src0_sel:BYTE_3 src1_sel:DWORD
	v_lshlrev_b32_e32 v6, 3, v6
	v_cndmask_b32_e32 v5, 7, v5, vcc_lo
	v_and_b32_e32 v6, 0xf8, v6
	v_or_b32_e32 v7, v8, v5
	v_and_b32_e32 v5, 7, v5
	v_cmp_ne_u32_e32 vcc_lo, 0, v7
	v_or3_b32 v4, v6, v4, v5
	v_cndmask_b32_e32 v41, 0, v4, vcc_lo
.LBB6_1019:                             ;   in Loop: Header=BB6_130 Depth=2
	s_or_b32 exec_lo, exec_lo, s42
.LBB6_1020:                             ;   in Loop: Header=BB6_130 Depth=2
	s_or_b32 exec_lo, exec_lo, s41
	v_cmp_gt_i16_sdwa s41, v13, v113 src0_sel:BYTE_3 src1_sel:DWORD
	s_mov_b32 s13, 0
	s_and_saveexec_b32 s42, s41
	s_xor_b32 s41, exec_lo, s42
	s_cbranch_execz .LBB6_2438
; %bb.1021:                             ;   in Loop: Header=BB6_130 Depth=2
	v_cmp_eq_u16_sdwa s43, v13, v114 src0_sel:BYTE_3 src1_sel:DWORD
	s_mov_b32 s13, -1
	s_and_saveexec_b32 s42, s43
; %bb.1022:                             ;   in Loop: Header=BB6_130 Depth=2
	s_xor_b32 s13, exec_lo, -1
; %bb.1023:                             ;   in Loop: Header=BB6_130 Depth=2
	s_or_b32 exec_lo, exec_lo, s42
	s_and_b32 s13, s13, exec_lo
	s_or_saveexec_b32 s41, s41
	v_mov_b32_e32 v4, 0x7f800001
	s_xor_b32 exec_lo, exec_lo, s41
	s_cbranch_execnz .LBB6_2439
.LBB6_1024:                             ;   in Loop: Header=BB6_130 Depth=2
	s_or_b32 exec_lo, exec_lo, s41
	s_and_saveexec_b32 s41, s13
	s_cbranch_execz .LBB6_1026
.LBB6_1025:                             ;   in Loop: Header=BB6_130 Depth=2
	v_bfe_u32 v4, v13, 24, 3
	v_bfe_u32 v7, v13, 27, 4
	v_ffbh_u32_e32 v5, v4
	v_cmp_eq_u32_e32 vcc_lo, 0, v7
	v_min_u32_e32 v5, 32, v5
	v_subrev_nc_u32_e32 v6, 28, v5
	v_sub_nc_u32_e32 v5, 29, v5
	v_lshlrev_b32_sdwa v6, v6, v13 dst_sel:DWORD dst_unused:UNUSED_PAD src0_sel:DWORD src1_sel:BYTE_3
	v_cndmask_b32_e32 v5, v7, v5, vcc_lo
	v_and_b32_e32 v6, 7, v6
	v_lshl_add_u32 v5, v5, 23, 0x3b800000
	v_cndmask_b32_e32 v4, v4, v6, vcc_lo
	v_and_b32_e32 v6, 0x80000000, v13
	v_lshlrev_b32_e32 v4, 20, v4
	v_or3_b32 v4, v6, v5, v4
.LBB6_1026:                             ;   in Loop: Header=BB6_130 Depth=2
	s_or_b32 exec_lo, exec_lo, s41
	v_mul_f32_e32 v4, s40, v4
	v_mov_b32_e32 v44, 0x8000
	s_mov_b32 s40, exec_lo
	v_and_b32_e32 v5, 0x7f800000, v4
	v_cmpx_ne_u32_e32 0x7f800000, v5
	s_cbranch_execz .LBB6_1034
; %bb.1027:                             ;   in Loop: Header=BB6_130 Depth=2
	v_mov_b32_e32 v44, 0
	s_mov_b32 s41, exec_lo
	v_cmpx_ne_u32_e32 0, v4
	s_cbranch_execz .LBB6_1033
; %bb.1028:                             ;   in Loop: Header=BB6_130 Depth=2
	v_bfe_u32 v6, v4, 23, 8
	v_and_b32_e32 v5, 0x7fffff, v4
	v_cmp_gt_u32_e64 s13, 0x79, v6
	v_sub_nc_u32_e32 v7, 0x78, v6
	v_cmp_eq_u32_e32 vcc_lo, 0, v6
	v_or_b32_e32 v8, 0x800000, v5
	v_cndmask_b32_e64 v7, 0, v7, s13
	v_cndmask_b32_e32 v5, v8, v5, vcc_lo
	v_cndmask_b32_e64 v7, v7, 0x77, vcc_lo
	v_lshl_add_u32 v8, 0x100000, v7, -1
	v_lshlrev_b32_e64 v9, v7, 0x80000
	v_and_b32_e32 v8, v8, v5
	v_cmp_eq_u32_e64 s13, v8, v9
	v_lshrrev_b32_e32 v8, v7, v5
	v_add_nc_u32_e32 v5, 0xffffff89, v6
	v_lshrrev_b32_e32 v6, 23, v8
	v_cndmask_b32_e64 v5, v5, 0xffffff8a, vcc_lo
	v_xor_b32_e32 v6, 1, v6
	v_add_nc_u32_e32 v5, v7, v5
	v_bfe_u32 v7, v8, 20, 1
	v_add_nc_u32_e32 v7, -1, v7
	v_cndmask_b32_e64 v7, 0, v7, s13
	s_mov_b32 s13, exec_lo
	v_add_nc_u32_e32 v7, v7, v8
	v_and_b32_e32 v7, 0xfffff, v7
	v_add_nc_u32_e32 v7, v7, v8
                                        ; implicit-def: $vgpr8
	v_cmpx_ne_u32_e64 v5, v6
	s_xor_b32 s13, exec_lo, s13
; %bb.1029:                             ;   in Loop: Header=BB6_130 Depth=2
	v_cmp_lt_u32_e32 vcc_lo, 0xffffff, v7
	v_sub_nc_u32_e32 v5, v5, v6
	v_cndmask_b32_e64 v6, 0, 1, vcc_lo
	v_add_co_ci_u32_e64 v8, null, 0, v5, vcc_lo
	v_lshrrev_b32_e32 v7, v6, v7
; %bb.1030:                             ;   in Loop: Header=BB6_130 Depth=2
	s_andn2_saveexec_b32 s13, s13
; %bb.1031:                             ;   in Loop: Header=BB6_130 Depth=2
	v_bfe_u32 v8, v7, 23, 1
; %bb.1032:                             ;   in Loop: Header=BB6_130 Depth=2
	s_or_b32 exec_lo, exec_lo, s13
	v_lshrrev_b32_e32 v5, 20, v7
	v_min_i32_e32 v6, 15, v8
	v_cmp_gt_i32_e32 vcc_lo, 16, v8
	v_and_b32_sdwa v4, v4, v114 dst_sel:DWORD dst_unused:UNUSED_PAD src0_sel:BYTE_3 src1_sel:DWORD
	v_lshlrev_b32_e32 v6, 3, v6
	v_cndmask_b32_e32 v5, 7, v5, vcc_lo
	v_and_b32_e32 v6, 0xf8, v6
	v_or_b32_e32 v7, v8, v5
	v_and_b32_e32 v5, 7, v5
	v_cmp_ne_u32_e32 vcc_lo, 0, v7
	v_or3_b32 v4, v4, v6, v5
	v_lshlrev_b32_e32 v4, 8, v4
	v_cndmask_b32_e32 v44, 0, v4, vcc_lo
.LBB6_1033:                             ;   in Loop: Header=BB6_130 Depth=2
	s_or_b32 exec_lo, exec_lo, s41
.LBB6_1034:                             ;   in Loop: Header=BB6_130 Depth=2
	s_or_b32 exec_lo, exec_lo, s40
	v_or_b32_e32 v4, v15, v14
	s_clause 0x3
	global_load_dwordx4 v[22:25], v[82:83], off slc
	global_load_dwordx4 v[18:21], v[82:83], off offset:512 slc
	global_load_dwordx4 v[14:17], v[82:83], off offset:1024 slc
	;; [unrolled: 1-line block ×3, first 2 shown]
	s_mov_b32 s40, 0
	v_cmp_gt_i16_sdwa s13, v4, v113 src0_sel:BYTE_0 src1_sel:DWORD
	s_and_saveexec_b32 s41, s13
	s_xor_b32 s13, exec_lo, s41
	s_cbranch_execz .LBB6_2440
; %bb.1035:                             ;   in Loop: Header=BB6_130 Depth=2
	v_cmp_eq_u16_sdwa s42, v4, v114 src0_sel:BYTE_0 src1_sel:DWORD
	s_mov_b32 s40, -1
	s_and_saveexec_b32 s41, s42
; %bb.1036:                             ;   in Loop: Header=BB6_130 Depth=2
	s_xor_b32 s40, exec_lo, -1
; %bb.1037:                             ;   in Loop: Header=BB6_130 Depth=2
	s_or_b32 exec_lo, exec_lo, s41
	s_and_b32 s40, s40, exec_lo
	s_or_saveexec_b32 s13, s13
	v_mov_b32_e32 v5, 0x7f800001
	s_xor_b32 exec_lo, exec_lo, s13
	s_cbranch_execnz .LBB6_2441
.LBB6_1038:                             ;   in Loop: Header=BB6_130 Depth=2
	s_or_b32 exec_lo, exec_lo, s13
	s_and_saveexec_b32 s13, s40
	s_cbranch_execz .LBB6_1040
.LBB6_1039:                             ;   in Loop: Header=BB6_130 Depth=2
	v_and_b32_e32 v5, 7, v4
	v_bfe_u32 v6, v4, 3, 4
	v_ffbh_u32_e32 v7, v5
	v_cmp_eq_u32_e32 vcc_lo, 0, v6
	v_min_u32_e32 v7, 32, v7
	v_subrev_nc_u32_e32 v8, 28, v7
	v_sub_nc_u32_e32 v7, 29, v7
	v_lshlrev_b32_e32 v8, v8, v4
	v_cndmask_b32_e32 v6, v6, v7, vcc_lo
	v_lshlrev_b32_e32 v7, 24, v4
	v_and_b32_e32 v8, 7, v8
	v_lshl_add_u32 v6, v6, 23, 0x3b800000
	v_and_b32_e32 v7, 0x80000000, v7
	v_cndmask_b32_e32 v5, v5, v8, vcc_lo
	v_lshlrev_b32_e32 v5, 20, v5
	v_or3_b32 v5, v7, v6, v5
.LBB6_1040:                             ;   in Loop: Header=BB6_130 Depth=2
	s_or_b32 exec_lo, exec_lo, s13
	s_waitcnt vmcnt(3)
	v_cmp_gt_i16_sdwa s13, v22, v113 src0_sel:BYTE_0 src1_sel:DWORD
	s_mov_b32 s40, 0
	s_and_saveexec_b32 s41, s13
	s_xor_b32 s13, exec_lo, s41
	s_cbranch_execz .LBB6_2442
; %bb.1041:                             ;   in Loop: Header=BB6_130 Depth=2
	v_cmp_eq_u16_sdwa s42, v22, v114 src0_sel:BYTE_0 src1_sel:DWORD
	s_mov_b32 s40, -1
	s_and_saveexec_b32 s41, s42
; %bb.1042:                             ;   in Loop: Header=BB6_130 Depth=2
	s_xor_b32 s40, exec_lo, -1
; %bb.1043:                             ;   in Loop: Header=BB6_130 Depth=2
	s_or_b32 exec_lo, exec_lo, s41
	s_and_b32 s40, s40, exec_lo
	s_or_saveexec_b32 s13, s13
	v_mov_b32_e32 v6, 0x7f800001
	s_xor_b32 exec_lo, exec_lo, s13
	s_cbranch_execnz .LBB6_2443
.LBB6_1044:                             ;   in Loop: Header=BB6_130 Depth=2
	s_or_b32 exec_lo, exec_lo, s13
	s_and_saveexec_b32 s13, s40
	s_cbranch_execz .LBB6_1046
.LBB6_1045:                             ;   in Loop: Header=BB6_130 Depth=2
	v_and_b32_e32 v6, 7, v22
	v_bfe_u32 v7, v22, 3, 4
	v_ffbh_u32_e32 v8, v6
	v_cmp_eq_u32_e32 vcc_lo, 0, v7
	v_min_u32_e32 v8, 32, v8
	v_subrev_nc_u32_e32 v9, 28, v8
	v_sub_nc_u32_e32 v8, 29, v8
	v_lshlrev_b32_e32 v9, v9, v22
	v_cndmask_b32_e32 v7, v7, v8, vcc_lo
	v_lshlrev_b32_e32 v8, 24, v22
	v_and_b32_e32 v9, 7, v9
	v_lshl_add_u32 v7, v7, 23, 0x3b800000
	v_and_b32_e32 v8, 0x80000000, v8
	v_cndmask_b32_e32 v6, v6, v9, vcc_lo
	v_lshlrev_b32_e32 v6, 20, v6
	v_or3_b32 v6, v8, v7, v6
.LBB6_1046:                             ;   in Loop: Header=BB6_130 Depth=2
	s_or_b32 exec_lo, exec_lo, s13
	v_add_f32_e32 v5, v5, v6
	v_mov_b32_e32 v40, 0x80
	s_mov_b32 s40, exec_lo
	v_and_b32_e32 v6, 0x7f800000, v5
	v_cmpx_ne_u32_e32 0x7f800000, v6
	s_cbranch_execz .LBB6_1054
; %bb.1047:                             ;   in Loop: Header=BB6_130 Depth=2
	v_mov_b32_e32 v40, 0
	s_mov_b32 s41, exec_lo
	v_cmpx_ne_u32_e32 0, v5
	s_cbranch_execz .LBB6_1053
; %bb.1048:                             ;   in Loop: Header=BB6_130 Depth=2
	v_bfe_u32 v7, v5, 23, 8
	v_and_b32_e32 v6, 0x7fffff, v5
	v_cmp_gt_u32_e64 s13, 0x79, v7
	v_sub_nc_u32_e32 v8, 0x78, v7
	v_cmp_eq_u32_e32 vcc_lo, 0, v7
	v_or_b32_e32 v9, 0x800000, v6
	v_cndmask_b32_e64 v8, 0, v8, s13
	v_cndmask_b32_e32 v6, v9, v6, vcc_lo
	v_cndmask_b32_e64 v8, v8, 0x77, vcc_lo
	v_lshl_add_u32 v9, 0x100000, v8, -1
	v_lshlrev_b32_e64 v32, v8, 0x80000
	v_and_b32_e32 v9, v9, v6
	v_cmp_eq_u32_e64 s13, v9, v32
	v_lshrrev_b32_e32 v9, v8, v6
	v_add_nc_u32_e32 v6, 0xffffff89, v7
	v_lshrrev_b32_e32 v7, 23, v9
	v_cndmask_b32_e64 v6, v6, 0xffffff8a, vcc_lo
	v_xor_b32_e32 v7, 1, v7
	v_add_nc_u32_e32 v6, v8, v6
	v_bfe_u32 v8, v9, 20, 1
	v_add_nc_u32_e32 v8, -1, v8
	v_cndmask_b32_e64 v8, 0, v8, s13
	s_mov_b32 s13, exec_lo
	v_add_nc_u32_e32 v8, v8, v9
	v_and_b32_e32 v8, 0xfffff, v8
	v_add_nc_u32_e32 v8, v8, v9
                                        ; implicit-def: $vgpr9
	v_cmpx_ne_u32_e64 v6, v7
	s_xor_b32 s13, exec_lo, s13
; %bb.1049:                             ;   in Loop: Header=BB6_130 Depth=2
	v_cmp_lt_u32_e32 vcc_lo, 0xffffff, v8
	v_sub_nc_u32_e32 v6, v6, v7
	v_cndmask_b32_e64 v7, 0, 1, vcc_lo
	v_add_co_ci_u32_e64 v9, null, 0, v6, vcc_lo
	v_lshrrev_b32_e32 v8, v7, v8
; %bb.1050:                             ;   in Loop: Header=BB6_130 Depth=2
	s_andn2_saveexec_b32 s13, s13
; %bb.1051:                             ;   in Loop: Header=BB6_130 Depth=2
	v_bfe_u32 v9, v8, 23, 1
; %bb.1052:                             ;   in Loop: Header=BB6_130 Depth=2
	s_or_b32 exec_lo, exec_lo, s13
	v_lshrrev_b32_e32 v6, 20, v8
	v_min_i32_e32 v7, 15, v9
	v_cmp_gt_i32_e32 vcc_lo, 16, v9
	v_and_b32_sdwa v5, v5, v114 dst_sel:DWORD dst_unused:UNUSED_PAD src0_sel:BYTE_3 src1_sel:DWORD
	v_lshlrev_b32_e32 v7, 3, v7
	v_cndmask_b32_e32 v6, 7, v6, vcc_lo
	v_and_b32_e32 v7, 0xf8, v7
	v_or_b32_e32 v8, v9, v6
	v_and_b32_e32 v6, 7, v6
	v_cmp_ne_u32_e32 vcc_lo, 0, v8
	v_or3_b32 v5, v7, v5, v6
	v_cndmask_b32_e32 v40, 0, v5, vcc_lo
.LBB6_1053:                             ;   in Loop: Header=BB6_130 Depth=2
	s_or_b32 exec_lo, exec_lo, s41
.LBB6_1054:                             ;   in Loop: Header=BB6_130 Depth=2
	s_or_b32 exec_lo, exec_lo, s40
	v_cmp_gt_i16_sdwa s13, v4, v113 src0_sel:BYTE_1 src1_sel:DWORD
	s_mov_b32 s40, 0
	s_and_saveexec_b32 s41, s13
	s_xor_b32 s13, exec_lo, s41
	s_cbranch_execz .LBB6_2444
; %bb.1055:                             ;   in Loop: Header=BB6_130 Depth=2
	v_cmp_eq_u16_sdwa s42, v4, v114 src0_sel:BYTE_1 src1_sel:DWORD
	s_mov_b32 s40, -1
	s_and_saveexec_b32 s41, s42
; %bb.1056:                             ;   in Loop: Header=BB6_130 Depth=2
	s_xor_b32 s40, exec_lo, -1
; %bb.1057:                             ;   in Loop: Header=BB6_130 Depth=2
	s_or_b32 exec_lo, exec_lo, s41
	s_and_b32 s40, s40, exec_lo
	s_or_saveexec_b32 s13, s13
	v_mov_b32_e32 v5, 0x7f800001
	s_xor_b32 exec_lo, exec_lo, s13
	s_cbranch_execnz .LBB6_2445
.LBB6_1058:                             ;   in Loop: Header=BB6_130 Depth=2
	s_or_b32 exec_lo, exec_lo, s13
	s_and_saveexec_b32 s13, s40
	s_cbranch_execz .LBB6_1060
.LBB6_1059:                             ;   in Loop: Header=BB6_130 Depth=2
	v_and_b32_sdwa v5, v115, v4 dst_sel:DWORD dst_unused:UNUSED_PAD src0_sel:DWORD src1_sel:BYTE_1
	v_and_b32_e32 v6, 7, v5
	v_bfe_u32 v9, v5, 3, 4
	v_ffbh_u32_e32 v7, v6
	v_cmp_eq_u32_e32 vcc_lo, 0, v9
	v_min_u32_e32 v7, 32, v7
	v_subrev_nc_u32_e32 v8, 28, v7
	v_sub_nc_u32_e32 v7, 29, v7
	v_lshlrev_b32_e32 v5, v8, v5
	v_lshlrev_b32_sdwa v8, v116, v4 dst_sel:DWORD dst_unused:UNUSED_PAD src0_sel:DWORD src1_sel:BYTE_1
	v_cndmask_b32_e32 v7, v9, v7, vcc_lo
	v_and_b32_e32 v5, 7, v5
	v_lshl_add_u32 v7, v7, 23, 0x3b800000
	v_cndmask_b32_e32 v5, v6, v5, vcc_lo
	v_and_b32_e32 v6, 0x80000000, v8
	v_lshlrev_b32_e32 v5, 20, v5
	v_or3_b32 v5, v6, v7, v5
.LBB6_1060:                             ;   in Loop: Header=BB6_130 Depth=2
	s_or_b32 exec_lo, exec_lo, s13
	v_cmp_gt_i16_sdwa s13, v22, v113 src0_sel:BYTE_1 src1_sel:DWORD
	s_mov_b32 s40, 0
	s_and_saveexec_b32 s41, s13
	s_xor_b32 s13, exec_lo, s41
	s_cbranch_execz .LBB6_2446
; %bb.1061:                             ;   in Loop: Header=BB6_130 Depth=2
	v_cmp_eq_u16_sdwa s42, v22, v114 src0_sel:BYTE_1 src1_sel:DWORD
	s_mov_b32 s40, -1
	s_and_saveexec_b32 s41, s42
; %bb.1062:                             ;   in Loop: Header=BB6_130 Depth=2
	s_xor_b32 s40, exec_lo, -1
; %bb.1063:                             ;   in Loop: Header=BB6_130 Depth=2
	s_or_b32 exec_lo, exec_lo, s41
	s_and_b32 s40, s40, exec_lo
	s_or_saveexec_b32 s13, s13
	v_mov_b32_e32 v6, 0x7f800001
	s_xor_b32 exec_lo, exec_lo, s13
	s_cbranch_execnz .LBB6_2447
.LBB6_1064:                             ;   in Loop: Header=BB6_130 Depth=2
	s_or_b32 exec_lo, exec_lo, s13
	s_and_saveexec_b32 s13, s40
	s_cbranch_execz .LBB6_1066
.LBB6_1065:                             ;   in Loop: Header=BB6_130 Depth=2
	v_and_b32_sdwa v6, v115, v22 dst_sel:DWORD dst_unused:UNUSED_PAD src0_sel:DWORD src1_sel:BYTE_1
	v_and_b32_e32 v7, 7, v6
	v_bfe_u32 v32, v6, 3, 4
	v_ffbh_u32_e32 v8, v7
	v_cmp_eq_u32_e32 vcc_lo, 0, v32
	v_min_u32_e32 v8, 32, v8
	v_subrev_nc_u32_e32 v9, 28, v8
	v_sub_nc_u32_e32 v8, 29, v8
	v_lshlrev_b32_e32 v6, v9, v6
	v_lshlrev_b32_sdwa v9, v116, v22 dst_sel:DWORD dst_unused:UNUSED_PAD src0_sel:DWORD src1_sel:BYTE_1
	v_cndmask_b32_e32 v8, v32, v8, vcc_lo
	v_and_b32_e32 v6, 7, v6
	v_lshl_add_u32 v8, v8, 23, 0x3b800000
	v_cndmask_b32_e32 v6, v7, v6, vcc_lo
	v_and_b32_e32 v7, 0x80000000, v9
	v_lshlrev_b32_e32 v6, 20, v6
	v_or3_b32 v6, v7, v8, v6
.LBB6_1066:                             ;   in Loop: Header=BB6_130 Depth=2
	s_or_b32 exec_lo, exec_lo, s13
	v_add_f32_e32 v5, v5, v6
	v_mov_b32_e32 v43, 0x8000
	s_mov_b32 s40, exec_lo
	v_and_b32_e32 v6, 0x7f800000, v5
	v_cmpx_ne_u32_e32 0x7f800000, v6
	s_cbranch_execz .LBB6_1074
; %bb.1067:                             ;   in Loop: Header=BB6_130 Depth=2
	v_mov_b32_e32 v43, 0
	s_mov_b32 s41, exec_lo
	v_cmpx_ne_u32_e32 0, v5
	s_cbranch_execz .LBB6_1073
; %bb.1068:                             ;   in Loop: Header=BB6_130 Depth=2
	v_bfe_u32 v7, v5, 23, 8
	v_and_b32_e32 v6, 0x7fffff, v5
	v_cmp_gt_u32_e64 s13, 0x79, v7
	v_sub_nc_u32_e32 v8, 0x78, v7
	v_cmp_eq_u32_e32 vcc_lo, 0, v7
	v_or_b32_e32 v9, 0x800000, v6
	v_cndmask_b32_e64 v8, 0, v8, s13
	v_cndmask_b32_e32 v6, v9, v6, vcc_lo
	v_cndmask_b32_e64 v8, v8, 0x77, vcc_lo
	v_lshl_add_u32 v9, 0x100000, v8, -1
	v_lshlrev_b32_e64 v32, v8, 0x80000
	v_and_b32_e32 v9, v9, v6
	v_cmp_eq_u32_e64 s13, v9, v32
	v_lshrrev_b32_e32 v9, v8, v6
	v_add_nc_u32_e32 v6, 0xffffff89, v7
	v_lshrrev_b32_e32 v7, 23, v9
	v_cndmask_b32_e64 v6, v6, 0xffffff8a, vcc_lo
	v_xor_b32_e32 v7, 1, v7
	v_add_nc_u32_e32 v6, v8, v6
	v_bfe_u32 v8, v9, 20, 1
	v_add_nc_u32_e32 v8, -1, v8
	v_cndmask_b32_e64 v8, 0, v8, s13
	s_mov_b32 s13, exec_lo
	v_add_nc_u32_e32 v8, v8, v9
	v_and_b32_e32 v8, 0xfffff, v8
	v_add_nc_u32_e32 v8, v8, v9
                                        ; implicit-def: $vgpr9
	v_cmpx_ne_u32_e64 v6, v7
	s_xor_b32 s13, exec_lo, s13
; %bb.1069:                             ;   in Loop: Header=BB6_130 Depth=2
	v_cmp_lt_u32_e32 vcc_lo, 0xffffff, v8
	v_sub_nc_u32_e32 v6, v6, v7
	v_cndmask_b32_e64 v7, 0, 1, vcc_lo
	v_add_co_ci_u32_e64 v9, null, 0, v6, vcc_lo
	v_lshrrev_b32_e32 v8, v7, v8
; %bb.1070:                             ;   in Loop: Header=BB6_130 Depth=2
	s_andn2_saveexec_b32 s13, s13
; %bb.1071:                             ;   in Loop: Header=BB6_130 Depth=2
	v_bfe_u32 v9, v8, 23, 1
; %bb.1072:                             ;   in Loop: Header=BB6_130 Depth=2
	s_or_b32 exec_lo, exec_lo, s13
	v_lshrrev_b32_e32 v6, 20, v8
	v_min_i32_e32 v7, 15, v9
	v_cmp_gt_i32_e32 vcc_lo, 16, v9
	v_and_b32_sdwa v5, v5, v114 dst_sel:DWORD dst_unused:UNUSED_PAD src0_sel:BYTE_3 src1_sel:DWORD
	v_lshlrev_b32_e32 v7, 3, v7
	v_cndmask_b32_e32 v6, 7, v6, vcc_lo
	v_and_b32_e32 v7, 0xf8, v7
	v_or_b32_e32 v8, v9, v6
	v_and_b32_e32 v6, 7, v6
	v_cmp_ne_u32_e32 vcc_lo, 0, v8
	v_or3_b32 v5, v5, v7, v6
	v_lshlrev_b32_e32 v5, 8, v5
	v_cndmask_b32_e32 v43, 0, v5, vcc_lo
.LBB6_1073:                             ;   in Loop: Header=BB6_130 Depth=2
	s_or_b32 exec_lo, exec_lo, s41
.LBB6_1074:                             ;   in Loop: Header=BB6_130 Depth=2
	s_or_b32 exec_lo, exec_lo, s40
	v_or_b32_e32 v6, v63, v56
	s_mov_b32 s40, 0
	v_cmp_gt_i16_sdwa s13, v6, v113 src0_sel:BYTE_0 src1_sel:DWORD
	s_and_saveexec_b32 s41, s13
	s_xor_b32 s13, exec_lo, s41
	s_cbranch_execz .LBB6_2448
; %bb.1075:                             ;   in Loop: Header=BB6_130 Depth=2
	v_cmp_eq_u16_sdwa s42, v6, v114 src0_sel:BYTE_0 src1_sel:DWORD
	s_mov_b32 s40, -1
	s_and_saveexec_b32 s41, s42
; %bb.1076:                             ;   in Loop: Header=BB6_130 Depth=2
	s_xor_b32 s40, exec_lo, -1
; %bb.1077:                             ;   in Loop: Header=BB6_130 Depth=2
	s_or_b32 exec_lo, exec_lo, s41
	s_and_b32 s40, s40, exec_lo
	s_or_saveexec_b32 s13, s13
	v_mov_b32_e32 v5, 0x7f800001
	s_xor_b32 exec_lo, exec_lo, s13
	s_cbranch_execnz .LBB6_2449
.LBB6_1078:                             ;   in Loop: Header=BB6_130 Depth=2
	s_or_b32 exec_lo, exec_lo, s13
	v_lshl_or_b32 v4, v6, 16, v4
	s_and_saveexec_b32 s13, s40
	s_cbranch_execz .LBB6_1080
.LBB6_1079:                             ;   in Loop: Header=BB6_130 Depth=2
	v_bfe_u32 v5, v4, 16, 3
	v_bfe_u32 v6, v4, 19, 4
	v_ffbh_u32_e32 v7, v5
	v_cmp_eq_u32_e32 vcc_lo, 0, v6
	v_min_u32_e32 v7, 32, v7
	v_subrev_nc_u32_e32 v8, 28, v7
	v_sub_nc_u32_e32 v7, 29, v7
	v_lshlrev_b32_sdwa v8, v8, v4 dst_sel:DWORD dst_unused:UNUSED_PAD src0_sel:DWORD src1_sel:WORD_1
	v_cndmask_b32_e32 v6, v6, v7, vcc_lo
	v_lshlrev_b32_e32 v7, 8, v4
	v_and_b32_e32 v8, 7, v8
	v_lshl_add_u32 v6, v6, 23, 0x3b800000
	v_and_b32_e32 v7, 0x80000000, v7
	v_cndmask_b32_e32 v5, v5, v8, vcc_lo
	v_lshlrev_b32_e32 v5, 20, v5
	v_or3_b32 v5, v7, v6, v5
.LBB6_1080:                             ;   in Loop: Header=BB6_130 Depth=2
	s_or_b32 exec_lo, exec_lo, s13
	v_and_b32_sdwa v7, v22, v117 dst_sel:DWORD dst_unused:UNUSED_PAD src0_sel:WORD_1 src1_sel:DWORD
	s_mov_b32 s40, 0
	s_mov_b32 s13, exec_lo
	v_cmpx_lt_i16_e32 0x7f, v7
	s_xor_b32 s13, exec_lo, s13
	s_cbranch_execz .LBB6_2450
; %bb.1081:                             ;   in Loop: Header=BB6_130 Depth=2
	s_mov_b32 s40, -1
	s_mov_b32 s41, exec_lo
	v_cmpx_eq_u16_e32 0x80, v7
; %bb.1082:                             ;   in Loop: Header=BB6_130 Depth=2
	s_xor_b32 s40, exec_lo, -1
; %bb.1083:                             ;   in Loop: Header=BB6_130 Depth=2
	s_or_b32 exec_lo, exec_lo, s41
	s_and_b32 s40, s40, exec_lo
                                        ; implicit-def: $vgpr7
	s_or_saveexec_b32 s13, s13
	v_mov_b32_e32 v6, 0x7f800001
	s_xor_b32 exec_lo, exec_lo, s13
	s_cbranch_execnz .LBB6_2451
.LBB6_1084:                             ;   in Loop: Header=BB6_130 Depth=2
	s_or_b32 exec_lo, exec_lo, s13
	s_and_saveexec_b32 s13, s40
	s_cbranch_execz .LBB6_1086
.LBB6_1085:                             ;   in Loop: Header=BB6_130 Depth=2
	v_bfe_u32 v6, v22, 16, 3
	v_bfe_u32 v7, v22, 19, 4
	v_ffbh_u32_e32 v8, v6
	v_cmp_eq_u32_e32 vcc_lo, 0, v7
	v_min_u32_e32 v8, 32, v8
	v_subrev_nc_u32_e32 v9, 28, v8
	v_sub_nc_u32_e32 v8, 29, v8
	v_lshlrev_b32_sdwa v9, v9, v22 dst_sel:DWORD dst_unused:UNUSED_PAD src0_sel:DWORD src1_sel:WORD_1
	v_cndmask_b32_e32 v7, v7, v8, vcc_lo
	v_lshlrev_b32_e32 v8, 8, v22
	v_and_b32_e32 v9, 7, v9
	v_lshl_add_u32 v7, v7, 23, 0x3b800000
	v_and_b32_e32 v8, 0x80000000, v8
	v_cndmask_b32_e32 v6, v6, v9, vcc_lo
	v_lshlrev_b32_e32 v6, 20, v6
	v_or3_b32 v6, v8, v7, v6
.LBB6_1086:                             ;   in Loop: Header=BB6_130 Depth=2
	s_or_b32 exec_lo, exec_lo, s13
	v_add_f32_e32 v5, v5, v6
	v_mov_b32_e32 v56, 0x80
	s_mov_b32 s40, exec_lo
	v_and_b32_e32 v6, 0x7f800000, v5
	v_cmpx_ne_u32_e32 0x7f800000, v6
	s_cbranch_execz .LBB6_1094
; %bb.1087:                             ;   in Loop: Header=BB6_130 Depth=2
	v_mov_b32_e32 v56, 0
	s_mov_b32 s41, exec_lo
	v_cmpx_ne_u32_e32 0, v5
	s_cbranch_execz .LBB6_1093
; %bb.1088:                             ;   in Loop: Header=BB6_130 Depth=2
	v_bfe_u32 v7, v5, 23, 8
	v_and_b32_e32 v6, 0x7fffff, v5
	v_cmp_gt_u32_e64 s13, 0x79, v7
	v_sub_nc_u32_e32 v8, 0x78, v7
	v_cmp_eq_u32_e32 vcc_lo, 0, v7
	v_or_b32_e32 v9, 0x800000, v6
	v_cndmask_b32_e64 v8, 0, v8, s13
	v_cndmask_b32_e32 v6, v9, v6, vcc_lo
	v_cndmask_b32_e64 v8, v8, 0x77, vcc_lo
	v_lshl_add_u32 v9, 0x100000, v8, -1
	v_lshlrev_b32_e64 v32, v8, 0x80000
	v_and_b32_e32 v9, v9, v6
	v_cmp_eq_u32_e64 s13, v9, v32
	v_lshrrev_b32_e32 v9, v8, v6
	v_add_nc_u32_e32 v6, 0xffffff89, v7
	v_lshrrev_b32_e32 v7, 23, v9
	v_cndmask_b32_e64 v6, v6, 0xffffff8a, vcc_lo
	v_xor_b32_e32 v7, 1, v7
	v_add_nc_u32_e32 v6, v8, v6
	v_bfe_u32 v8, v9, 20, 1
	v_add_nc_u32_e32 v8, -1, v8
	v_cndmask_b32_e64 v8, 0, v8, s13
	s_mov_b32 s13, exec_lo
	v_add_nc_u32_e32 v8, v8, v9
	v_and_b32_e32 v8, 0xfffff, v8
	v_add_nc_u32_e32 v8, v8, v9
                                        ; implicit-def: $vgpr9
	v_cmpx_ne_u32_e64 v6, v7
	s_xor_b32 s13, exec_lo, s13
; %bb.1089:                             ;   in Loop: Header=BB6_130 Depth=2
	v_cmp_lt_u32_e32 vcc_lo, 0xffffff, v8
	v_sub_nc_u32_e32 v6, v6, v7
	v_cndmask_b32_e64 v7, 0, 1, vcc_lo
	v_add_co_ci_u32_e64 v9, null, 0, v6, vcc_lo
	v_lshrrev_b32_e32 v8, v7, v8
; %bb.1090:                             ;   in Loop: Header=BB6_130 Depth=2
	s_andn2_saveexec_b32 s13, s13
; %bb.1091:                             ;   in Loop: Header=BB6_130 Depth=2
	v_bfe_u32 v9, v8, 23, 1
; %bb.1092:                             ;   in Loop: Header=BB6_130 Depth=2
	s_or_b32 exec_lo, exec_lo, s13
	v_lshrrev_b32_e32 v6, 20, v8
	v_min_i32_e32 v7, 15, v9
	v_cmp_gt_i32_e32 vcc_lo, 16, v9
	v_and_b32_sdwa v5, v5, v114 dst_sel:DWORD dst_unused:UNUSED_PAD src0_sel:BYTE_3 src1_sel:DWORD
	v_lshlrev_b32_e32 v7, 3, v7
	v_cndmask_b32_e32 v6, 7, v6, vcc_lo
	v_and_b32_e32 v7, 0xf8, v7
	v_or_b32_e32 v8, v9, v6
	v_and_b32_e32 v6, 7, v6
	v_cmp_ne_u32_e32 vcc_lo, 0, v8
	v_or3_b32 v5, v7, v5, v6
	v_cndmask_b32_e32 v56, 0, v5, vcc_lo
.LBB6_1093:                             ;   in Loop: Header=BB6_130 Depth=2
	s_or_b32 exec_lo, exec_lo, s41
.LBB6_1094:                             ;   in Loop: Header=BB6_130 Depth=2
	s_or_b32 exec_lo, exec_lo, s40
	v_cmp_gt_i16_sdwa s13, v4, v113 src0_sel:BYTE_3 src1_sel:DWORD
	s_mov_b32 s40, 0
	s_and_saveexec_b32 s41, s13
	s_xor_b32 s13, exec_lo, s41
	s_cbranch_execz .LBB6_2452
; %bb.1095:                             ;   in Loop: Header=BB6_130 Depth=2
	v_cmp_eq_u16_sdwa s42, v4, v114 src0_sel:BYTE_3 src1_sel:DWORD
	s_mov_b32 s40, -1
	s_and_saveexec_b32 s41, s42
; %bb.1096:                             ;   in Loop: Header=BB6_130 Depth=2
	s_xor_b32 s40, exec_lo, -1
; %bb.1097:                             ;   in Loop: Header=BB6_130 Depth=2
	s_or_b32 exec_lo, exec_lo, s41
	s_and_b32 s40, s40, exec_lo
	s_or_saveexec_b32 s13, s13
	v_mov_b32_e32 v5, 0x7f800001
	s_xor_b32 exec_lo, exec_lo, s13
	s_cbranch_execnz .LBB6_2453
.LBB6_1098:                             ;   in Loop: Header=BB6_130 Depth=2
	s_or_b32 exec_lo, exec_lo, s13
	s_and_saveexec_b32 s13, s40
	s_cbranch_execz .LBB6_1100
.LBB6_1099:                             ;   in Loop: Header=BB6_130 Depth=2
	v_bfe_u32 v5, v4, 24, 3
	v_bfe_u32 v8, v4, 27, 4
	v_ffbh_u32_e32 v6, v5
	v_cmp_eq_u32_e32 vcc_lo, 0, v8
	v_min_u32_e32 v6, 32, v6
	v_subrev_nc_u32_e32 v7, 28, v6
	v_sub_nc_u32_e32 v6, 29, v6
	v_lshlrev_b32_sdwa v7, v7, v4 dst_sel:DWORD dst_unused:UNUSED_PAD src0_sel:DWORD src1_sel:BYTE_3
	v_cndmask_b32_e32 v6, v8, v6, vcc_lo
	v_and_b32_e32 v4, 0x80000000, v4
	v_and_b32_e32 v7, 7, v7
	v_lshl_add_u32 v6, v6, 23, 0x3b800000
	v_cndmask_b32_e32 v5, v5, v7, vcc_lo
	v_lshlrev_b32_e32 v5, 20, v5
	v_or3_b32 v5, v4, v6, v5
.LBB6_1100:                             ;   in Loop: Header=BB6_130 Depth=2
	s_or_b32 exec_lo, exec_lo, s13
	v_cmp_gt_i16_sdwa s13, v22, v113 src0_sel:BYTE_3 src1_sel:DWORD
	s_mov_b32 s40, 0
	s_and_saveexec_b32 s41, s13
	s_xor_b32 s13, exec_lo, s41
	s_cbranch_execz .LBB6_2454
; %bb.1101:                             ;   in Loop: Header=BB6_130 Depth=2
	v_cmp_eq_u16_sdwa s42, v22, v114 src0_sel:BYTE_3 src1_sel:DWORD
	s_mov_b32 s40, -1
	s_and_saveexec_b32 s41, s42
; %bb.1102:                             ;   in Loop: Header=BB6_130 Depth=2
	s_xor_b32 s40, exec_lo, -1
; %bb.1103:                             ;   in Loop: Header=BB6_130 Depth=2
	s_or_b32 exec_lo, exec_lo, s41
	s_and_b32 s40, s40, exec_lo
	s_or_saveexec_b32 s13, s13
	v_mov_b32_e32 v4, 0x7f800001
	s_xor_b32 exec_lo, exec_lo, s13
	s_cbranch_execnz .LBB6_2455
.LBB6_1104:                             ;   in Loop: Header=BB6_130 Depth=2
	s_or_b32 exec_lo, exec_lo, s13
	s_and_saveexec_b32 s13, s40
	s_cbranch_execz .LBB6_1106
.LBB6_1105:                             ;   in Loop: Header=BB6_130 Depth=2
	v_bfe_u32 v4, v22, 24, 3
	v_bfe_u32 v8, v22, 27, 4
	v_ffbh_u32_e32 v6, v4
	v_cmp_eq_u32_e32 vcc_lo, 0, v8
	v_min_u32_e32 v6, 32, v6
	v_subrev_nc_u32_e32 v7, 28, v6
	v_sub_nc_u32_e32 v6, 29, v6
	v_lshlrev_b32_sdwa v7, v7, v22 dst_sel:DWORD dst_unused:UNUSED_PAD src0_sel:DWORD src1_sel:BYTE_3
	v_cndmask_b32_e32 v6, v8, v6, vcc_lo
	v_and_b32_e32 v7, 7, v7
	v_lshl_add_u32 v6, v6, 23, 0x3b800000
	v_cndmask_b32_e32 v4, v4, v7, vcc_lo
	v_and_b32_e32 v7, 0x80000000, v22
	v_lshlrev_b32_e32 v4, 20, v4
	v_or3_b32 v4, v7, v6, v4
.LBB6_1106:                             ;   in Loop: Header=BB6_130 Depth=2
	s_or_b32 exec_lo, exec_lo, s13
	v_add_f32_e32 v4, v5, v4
	v_mov_b32_e32 v22, 0x8000
	s_mov_b32 s40, exec_lo
	v_and_b32_e32 v5, 0x7f800000, v4
	v_cmpx_ne_u32_e32 0x7f800000, v5
	s_cbranch_execz .LBB6_1114
; %bb.1107:                             ;   in Loop: Header=BB6_130 Depth=2
	v_mov_b32_e32 v22, 0
	s_mov_b32 s41, exec_lo
	v_cmpx_ne_u32_e32 0, v4
	s_cbranch_execz .LBB6_1113
; %bb.1108:                             ;   in Loop: Header=BB6_130 Depth=2
	v_bfe_u32 v6, v4, 23, 8
	v_and_b32_e32 v5, 0x7fffff, v4
	v_cmp_gt_u32_e64 s13, 0x79, v6
	v_sub_nc_u32_e32 v7, 0x78, v6
	v_cmp_eq_u32_e32 vcc_lo, 0, v6
	v_or_b32_e32 v8, 0x800000, v5
	v_cndmask_b32_e64 v7, 0, v7, s13
	v_cndmask_b32_e32 v5, v8, v5, vcc_lo
	v_cndmask_b32_e64 v7, v7, 0x77, vcc_lo
	v_lshl_add_u32 v8, 0x100000, v7, -1
	v_lshlrev_b32_e64 v9, v7, 0x80000
	v_and_b32_e32 v8, v8, v5
	v_cmp_eq_u32_e64 s13, v8, v9
	v_lshrrev_b32_e32 v8, v7, v5
	v_add_nc_u32_e32 v5, 0xffffff89, v6
	v_lshrrev_b32_e32 v6, 23, v8
	v_cndmask_b32_e64 v5, v5, 0xffffff8a, vcc_lo
	v_xor_b32_e32 v6, 1, v6
	v_add_nc_u32_e32 v5, v7, v5
	v_bfe_u32 v7, v8, 20, 1
	v_add_nc_u32_e32 v7, -1, v7
	v_cndmask_b32_e64 v7, 0, v7, s13
	s_mov_b32 s13, exec_lo
	v_add_nc_u32_e32 v7, v7, v8
	v_and_b32_e32 v7, 0xfffff, v7
	v_add_nc_u32_e32 v7, v7, v8
                                        ; implicit-def: $vgpr8
	v_cmpx_ne_u32_e64 v5, v6
	s_xor_b32 s13, exec_lo, s13
; %bb.1109:                             ;   in Loop: Header=BB6_130 Depth=2
	v_cmp_lt_u32_e32 vcc_lo, 0xffffff, v7
	v_sub_nc_u32_e32 v5, v5, v6
	v_cndmask_b32_e64 v6, 0, 1, vcc_lo
	v_add_co_ci_u32_e64 v8, null, 0, v5, vcc_lo
	v_lshrrev_b32_e32 v7, v6, v7
; %bb.1110:                             ;   in Loop: Header=BB6_130 Depth=2
	s_andn2_saveexec_b32 s13, s13
; %bb.1111:                             ;   in Loop: Header=BB6_130 Depth=2
	v_bfe_u32 v8, v7, 23, 1
; %bb.1112:                             ;   in Loop: Header=BB6_130 Depth=2
	s_or_b32 exec_lo, exec_lo, s13
	v_lshrrev_b32_e32 v5, 20, v7
	v_min_i32_e32 v6, 15, v8
	v_cmp_gt_i32_e32 vcc_lo, 16, v8
	v_and_b32_sdwa v4, v4, v114 dst_sel:DWORD dst_unused:UNUSED_PAD src0_sel:BYTE_3 src1_sel:DWORD
	v_lshlrev_b32_e32 v6, 3, v6
	v_cndmask_b32_e32 v5, 7, v5, vcc_lo
	v_and_b32_e32 v6, 0xf8, v6
	v_or_b32_e32 v7, v8, v5
	v_and_b32_e32 v5, 7, v5
	v_cmp_ne_u32_e32 vcc_lo, 0, v7
	v_or3_b32 v4, v4, v6, v5
	v_lshlrev_b32_e32 v4, 8, v4
	v_cndmask_b32_e32 v22, 0, v4, vcc_lo
.LBB6_1113:                             ;   in Loop: Header=BB6_130 Depth=2
	s_or_b32 exec_lo, exec_lo, s41
.LBB6_1114:                             ;   in Loop: Header=BB6_130 Depth=2
	s_or_b32 exec_lo, exec_lo, s40
	v_or_b32_e32 v4, v35, v34
	s_mov_b32 s40, 0
	v_cmp_gt_i16_sdwa s13, v4, v113 src0_sel:BYTE_0 src1_sel:DWORD
	s_and_saveexec_b32 s41, s13
	s_xor_b32 s13, exec_lo, s41
	s_cbranch_execz .LBB6_2456
; %bb.1115:                             ;   in Loop: Header=BB6_130 Depth=2
	v_cmp_eq_u16_sdwa s42, v4, v114 src0_sel:BYTE_0 src1_sel:DWORD
	s_mov_b32 s40, -1
	s_and_saveexec_b32 s41, s42
; %bb.1116:                             ;   in Loop: Header=BB6_130 Depth=2
	s_xor_b32 s40, exec_lo, -1
; %bb.1117:                             ;   in Loop: Header=BB6_130 Depth=2
	s_or_b32 exec_lo, exec_lo, s41
	s_and_b32 s40, s40, exec_lo
	s_or_saveexec_b32 s13, s13
	v_mov_b32_e32 v5, 0x7f800001
	s_xor_b32 exec_lo, exec_lo, s13
	s_cbranch_execnz .LBB6_2457
.LBB6_1118:                             ;   in Loop: Header=BB6_130 Depth=2
	s_or_b32 exec_lo, exec_lo, s13
	s_and_saveexec_b32 s13, s40
	s_cbranch_execz .LBB6_1120
.LBB6_1119:                             ;   in Loop: Header=BB6_130 Depth=2
	v_and_b32_e32 v5, 7, v4
	v_bfe_u32 v6, v4, 3, 4
	v_ffbh_u32_e32 v7, v5
	v_cmp_eq_u32_e32 vcc_lo, 0, v6
	v_min_u32_e32 v7, 32, v7
	v_subrev_nc_u32_e32 v8, 28, v7
	v_sub_nc_u32_e32 v7, 29, v7
	v_lshlrev_b32_e32 v8, v8, v4
	v_cndmask_b32_e32 v6, v6, v7, vcc_lo
	v_lshlrev_b32_e32 v7, 24, v4
	v_and_b32_e32 v8, 7, v8
	v_lshl_add_u32 v6, v6, 23, 0x3b800000
	v_and_b32_e32 v7, 0x80000000, v7
	v_cndmask_b32_e32 v5, v5, v8, vcc_lo
	v_lshlrev_b32_e32 v5, 20, v5
	v_or3_b32 v5, v7, v6, v5
.LBB6_1120:                             ;   in Loop: Header=BB6_130 Depth=2
	s_or_b32 exec_lo, exec_lo, s13
	v_cmp_gt_i16_sdwa s13, v23, v113 src0_sel:BYTE_0 src1_sel:DWORD
	s_mov_b32 s40, 0
	s_and_saveexec_b32 s41, s13
	s_xor_b32 s13, exec_lo, s41
	s_cbranch_execz .LBB6_2458
; %bb.1121:                             ;   in Loop: Header=BB6_130 Depth=2
	v_cmp_eq_u16_sdwa s42, v23, v114 src0_sel:BYTE_0 src1_sel:DWORD
	s_mov_b32 s40, -1
	s_and_saveexec_b32 s41, s42
; %bb.1122:                             ;   in Loop: Header=BB6_130 Depth=2
	s_xor_b32 s40, exec_lo, -1
; %bb.1123:                             ;   in Loop: Header=BB6_130 Depth=2
	s_or_b32 exec_lo, exec_lo, s41
	s_and_b32 s40, s40, exec_lo
	s_or_saveexec_b32 s13, s13
	v_mov_b32_e32 v6, 0x7f800001
	s_xor_b32 exec_lo, exec_lo, s13
	s_cbranch_execnz .LBB6_2459
.LBB6_1124:                             ;   in Loop: Header=BB6_130 Depth=2
	s_or_b32 exec_lo, exec_lo, s13
	s_and_saveexec_b32 s13, s40
	s_cbranch_execz .LBB6_1126
.LBB6_1125:                             ;   in Loop: Header=BB6_130 Depth=2
	v_and_b32_e32 v6, 7, v23
	v_bfe_u32 v7, v23, 3, 4
	v_ffbh_u32_e32 v8, v6
	v_cmp_eq_u32_e32 vcc_lo, 0, v7
	v_min_u32_e32 v8, 32, v8
	v_subrev_nc_u32_e32 v9, 28, v8
	v_sub_nc_u32_e32 v8, 29, v8
	v_lshlrev_b32_e32 v9, v9, v23
	v_cndmask_b32_e32 v7, v7, v8, vcc_lo
	v_lshlrev_b32_e32 v8, 24, v23
	v_and_b32_e32 v9, 7, v9
	v_lshl_add_u32 v7, v7, 23, 0x3b800000
	v_and_b32_e32 v8, 0x80000000, v8
	v_cndmask_b32_e32 v6, v6, v9, vcc_lo
	v_lshlrev_b32_e32 v6, 20, v6
	v_or3_b32 v6, v8, v7, v6
.LBB6_1126:                             ;   in Loop: Header=BB6_130 Depth=2
	s_or_b32 exec_lo, exec_lo, s13
	v_add_f32_e32 v5, v5, v6
	v_mov_b32_e32 v63, 0x80
	s_mov_b32 s40, exec_lo
	v_and_b32_e32 v6, 0x7f800000, v5
	v_cmpx_ne_u32_e32 0x7f800000, v6
	s_cbranch_execz .LBB6_1134
; %bb.1127:                             ;   in Loop: Header=BB6_130 Depth=2
	v_mov_b32_e32 v63, 0
	s_mov_b32 s41, exec_lo
	v_cmpx_ne_u32_e32 0, v5
	s_cbranch_execz .LBB6_1133
; %bb.1128:                             ;   in Loop: Header=BB6_130 Depth=2
	v_bfe_u32 v7, v5, 23, 8
	v_and_b32_e32 v6, 0x7fffff, v5
	v_cmp_gt_u32_e64 s13, 0x79, v7
	v_sub_nc_u32_e32 v8, 0x78, v7
	v_cmp_eq_u32_e32 vcc_lo, 0, v7
	v_or_b32_e32 v9, 0x800000, v6
	v_cndmask_b32_e64 v8, 0, v8, s13
	v_cndmask_b32_e32 v6, v9, v6, vcc_lo
	v_cndmask_b32_e64 v8, v8, 0x77, vcc_lo
	v_lshl_add_u32 v9, 0x100000, v8, -1
	v_lshlrev_b32_e64 v32, v8, 0x80000
	v_and_b32_e32 v9, v9, v6
	v_cmp_eq_u32_e64 s13, v9, v32
	v_lshrrev_b32_e32 v9, v8, v6
	v_add_nc_u32_e32 v6, 0xffffff89, v7
	v_lshrrev_b32_e32 v7, 23, v9
	v_cndmask_b32_e64 v6, v6, 0xffffff8a, vcc_lo
	v_xor_b32_e32 v7, 1, v7
	v_add_nc_u32_e32 v6, v8, v6
	v_bfe_u32 v8, v9, 20, 1
	v_add_nc_u32_e32 v8, -1, v8
	v_cndmask_b32_e64 v8, 0, v8, s13
	s_mov_b32 s13, exec_lo
	v_add_nc_u32_e32 v8, v8, v9
	v_and_b32_e32 v8, 0xfffff, v8
	v_add_nc_u32_e32 v8, v8, v9
                                        ; implicit-def: $vgpr9
	v_cmpx_ne_u32_e64 v6, v7
	s_xor_b32 s13, exec_lo, s13
; %bb.1129:                             ;   in Loop: Header=BB6_130 Depth=2
	v_cmp_lt_u32_e32 vcc_lo, 0xffffff, v8
	v_sub_nc_u32_e32 v6, v6, v7
	v_cndmask_b32_e64 v7, 0, 1, vcc_lo
	v_add_co_ci_u32_e64 v9, null, 0, v6, vcc_lo
	v_lshrrev_b32_e32 v8, v7, v8
; %bb.1130:                             ;   in Loop: Header=BB6_130 Depth=2
	s_andn2_saveexec_b32 s13, s13
; %bb.1131:                             ;   in Loop: Header=BB6_130 Depth=2
	v_bfe_u32 v9, v8, 23, 1
; %bb.1132:                             ;   in Loop: Header=BB6_130 Depth=2
	s_or_b32 exec_lo, exec_lo, s13
	v_lshrrev_b32_e32 v6, 20, v8
	v_min_i32_e32 v7, 15, v9
	v_cmp_gt_i32_e32 vcc_lo, 16, v9
	v_and_b32_sdwa v5, v5, v114 dst_sel:DWORD dst_unused:UNUSED_PAD src0_sel:BYTE_3 src1_sel:DWORD
	v_lshlrev_b32_e32 v7, 3, v7
	v_cndmask_b32_e32 v6, 7, v6, vcc_lo
	v_and_b32_e32 v7, 0xf8, v7
	v_or_b32_e32 v8, v9, v6
	v_and_b32_e32 v6, 7, v6
	v_cmp_ne_u32_e32 vcc_lo, 0, v8
	v_or3_b32 v5, v7, v5, v6
	v_cndmask_b32_e32 v63, 0, v5, vcc_lo
.LBB6_1133:                             ;   in Loop: Header=BB6_130 Depth=2
	s_or_b32 exec_lo, exec_lo, s41
.LBB6_1134:                             ;   in Loop: Header=BB6_130 Depth=2
	s_or_b32 exec_lo, exec_lo, s40
	v_cmp_gt_i16_sdwa s13, v4, v113 src0_sel:BYTE_1 src1_sel:DWORD
	s_mov_b32 s40, 0
	s_and_saveexec_b32 s41, s13
	s_xor_b32 s13, exec_lo, s41
	s_cbranch_execz .LBB6_2460
; %bb.1135:                             ;   in Loop: Header=BB6_130 Depth=2
	v_cmp_eq_u16_sdwa s42, v4, v114 src0_sel:BYTE_1 src1_sel:DWORD
	s_mov_b32 s40, -1
	s_and_saveexec_b32 s41, s42
; %bb.1136:                             ;   in Loop: Header=BB6_130 Depth=2
	s_xor_b32 s40, exec_lo, -1
; %bb.1137:                             ;   in Loop: Header=BB6_130 Depth=2
	s_or_b32 exec_lo, exec_lo, s41
	s_and_b32 s40, s40, exec_lo
	s_or_saveexec_b32 s13, s13
	v_mov_b32_e32 v5, 0x7f800001
	s_xor_b32 exec_lo, exec_lo, s13
	s_cbranch_execnz .LBB6_2461
.LBB6_1138:                             ;   in Loop: Header=BB6_130 Depth=2
	s_or_b32 exec_lo, exec_lo, s13
	s_and_saveexec_b32 s13, s40
	s_cbranch_execz .LBB6_1140
.LBB6_1139:                             ;   in Loop: Header=BB6_130 Depth=2
	v_and_b32_sdwa v5, v115, v4 dst_sel:DWORD dst_unused:UNUSED_PAD src0_sel:DWORD src1_sel:BYTE_1
	v_and_b32_e32 v6, 7, v5
	v_bfe_u32 v9, v5, 3, 4
	v_ffbh_u32_e32 v7, v6
	v_cmp_eq_u32_e32 vcc_lo, 0, v9
	v_min_u32_e32 v7, 32, v7
	v_subrev_nc_u32_e32 v8, 28, v7
	v_sub_nc_u32_e32 v7, 29, v7
	v_lshlrev_b32_e32 v5, v8, v5
	v_lshlrev_b32_sdwa v8, v116, v4 dst_sel:DWORD dst_unused:UNUSED_PAD src0_sel:DWORD src1_sel:BYTE_1
	v_cndmask_b32_e32 v7, v9, v7, vcc_lo
	v_and_b32_e32 v5, 7, v5
	v_lshl_add_u32 v7, v7, 23, 0x3b800000
	v_cndmask_b32_e32 v5, v6, v5, vcc_lo
	v_and_b32_e32 v6, 0x80000000, v8
	v_lshlrev_b32_e32 v5, 20, v5
	v_or3_b32 v5, v6, v7, v5
.LBB6_1140:                             ;   in Loop: Header=BB6_130 Depth=2
	s_or_b32 exec_lo, exec_lo, s13
	v_cmp_gt_i16_sdwa s13, v23, v113 src0_sel:BYTE_1 src1_sel:DWORD
	s_mov_b32 s40, 0
	s_and_saveexec_b32 s41, s13
	s_xor_b32 s13, exec_lo, s41
	s_cbranch_execz .LBB6_2462
; %bb.1141:                             ;   in Loop: Header=BB6_130 Depth=2
	v_cmp_eq_u16_sdwa s42, v23, v114 src0_sel:BYTE_1 src1_sel:DWORD
	s_mov_b32 s40, -1
	s_and_saveexec_b32 s41, s42
; %bb.1142:                             ;   in Loop: Header=BB6_130 Depth=2
	s_xor_b32 s40, exec_lo, -1
; %bb.1143:                             ;   in Loop: Header=BB6_130 Depth=2
	s_or_b32 exec_lo, exec_lo, s41
	s_and_b32 s40, s40, exec_lo
	s_or_saveexec_b32 s13, s13
	v_mov_b32_e32 v6, 0x7f800001
	s_xor_b32 exec_lo, exec_lo, s13
	s_cbranch_execnz .LBB6_2463
.LBB6_1144:                             ;   in Loop: Header=BB6_130 Depth=2
	s_or_b32 exec_lo, exec_lo, s13
	s_and_saveexec_b32 s13, s40
	s_cbranch_execz .LBB6_1146
.LBB6_1145:                             ;   in Loop: Header=BB6_130 Depth=2
	v_and_b32_sdwa v6, v115, v23 dst_sel:DWORD dst_unused:UNUSED_PAD src0_sel:DWORD src1_sel:BYTE_1
	v_and_b32_e32 v7, 7, v6
	v_bfe_u32 v32, v6, 3, 4
	v_ffbh_u32_e32 v8, v7
	v_cmp_eq_u32_e32 vcc_lo, 0, v32
	v_min_u32_e32 v8, 32, v8
	v_subrev_nc_u32_e32 v9, 28, v8
	v_sub_nc_u32_e32 v8, 29, v8
	v_lshlrev_b32_e32 v6, v9, v6
	v_lshlrev_b32_sdwa v9, v116, v23 dst_sel:DWORD dst_unused:UNUSED_PAD src0_sel:DWORD src1_sel:BYTE_1
	v_cndmask_b32_e32 v8, v32, v8, vcc_lo
	v_and_b32_e32 v6, 7, v6
	v_lshl_add_u32 v8, v8, 23, 0x3b800000
	v_cndmask_b32_e32 v6, v7, v6, vcc_lo
	v_and_b32_e32 v7, 0x80000000, v9
	v_lshlrev_b32_e32 v6, 20, v6
	v_or3_b32 v6, v7, v8, v6
.LBB6_1146:                             ;   in Loop: Header=BB6_130 Depth=2
	s_or_b32 exec_lo, exec_lo, s13
	v_add_f32_e32 v5, v5, v6
	v_mov_b32_e32 v74, 0x8000
	s_mov_b32 s40, exec_lo
	v_and_b32_e32 v6, 0x7f800000, v5
	v_cmpx_ne_u32_e32 0x7f800000, v6
	s_cbranch_execz .LBB6_1154
; %bb.1147:                             ;   in Loop: Header=BB6_130 Depth=2
	v_mov_b32_e32 v74, 0
	s_mov_b32 s41, exec_lo
	v_cmpx_ne_u32_e32 0, v5
	s_cbranch_execz .LBB6_1153
; %bb.1148:                             ;   in Loop: Header=BB6_130 Depth=2
	v_bfe_u32 v7, v5, 23, 8
	v_and_b32_e32 v6, 0x7fffff, v5
	v_cmp_gt_u32_e64 s13, 0x79, v7
	v_sub_nc_u32_e32 v8, 0x78, v7
	v_cmp_eq_u32_e32 vcc_lo, 0, v7
	v_or_b32_e32 v9, 0x800000, v6
	v_cndmask_b32_e64 v8, 0, v8, s13
	v_cndmask_b32_e32 v6, v9, v6, vcc_lo
	v_cndmask_b32_e64 v8, v8, 0x77, vcc_lo
	v_lshl_add_u32 v9, 0x100000, v8, -1
	v_lshlrev_b32_e64 v32, v8, 0x80000
	v_and_b32_e32 v9, v9, v6
	v_cmp_eq_u32_e64 s13, v9, v32
	v_lshrrev_b32_e32 v9, v8, v6
	v_add_nc_u32_e32 v6, 0xffffff89, v7
	v_lshrrev_b32_e32 v7, 23, v9
	v_cndmask_b32_e64 v6, v6, 0xffffff8a, vcc_lo
	v_xor_b32_e32 v7, 1, v7
	v_add_nc_u32_e32 v6, v8, v6
	v_bfe_u32 v8, v9, 20, 1
	v_add_nc_u32_e32 v8, -1, v8
	v_cndmask_b32_e64 v8, 0, v8, s13
	s_mov_b32 s13, exec_lo
	v_add_nc_u32_e32 v8, v8, v9
	v_and_b32_e32 v8, 0xfffff, v8
	v_add_nc_u32_e32 v8, v8, v9
                                        ; implicit-def: $vgpr9
	v_cmpx_ne_u32_e64 v6, v7
	s_xor_b32 s13, exec_lo, s13
; %bb.1149:                             ;   in Loop: Header=BB6_130 Depth=2
	v_cmp_lt_u32_e32 vcc_lo, 0xffffff, v8
	v_sub_nc_u32_e32 v6, v6, v7
	v_cndmask_b32_e64 v7, 0, 1, vcc_lo
	v_add_co_ci_u32_e64 v9, null, 0, v6, vcc_lo
	v_lshrrev_b32_e32 v8, v7, v8
; %bb.1150:                             ;   in Loop: Header=BB6_130 Depth=2
	s_andn2_saveexec_b32 s13, s13
; %bb.1151:                             ;   in Loop: Header=BB6_130 Depth=2
	v_bfe_u32 v9, v8, 23, 1
; %bb.1152:                             ;   in Loop: Header=BB6_130 Depth=2
	s_or_b32 exec_lo, exec_lo, s13
	v_lshrrev_b32_e32 v6, 20, v8
	v_min_i32_e32 v7, 15, v9
	v_cmp_gt_i32_e32 vcc_lo, 16, v9
	v_and_b32_sdwa v5, v5, v114 dst_sel:DWORD dst_unused:UNUSED_PAD src0_sel:BYTE_3 src1_sel:DWORD
	v_lshlrev_b32_e32 v7, 3, v7
	v_cndmask_b32_e32 v6, 7, v6, vcc_lo
	v_and_b32_e32 v7, 0xf8, v7
	v_or_b32_e32 v8, v9, v6
	v_and_b32_e32 v6, 7, v6
	v_cmp_ne_u32_e32 vcc_lo, 0, v8
	v_or3_b32 v5, v5, v7, v6
	v_lshlrev_b32_e32 v5, 8, v5
	v_cndmask_b32_e32 v74, 0, v5, vcc_lo
.LBB6_1153:                             ;   in Loop: Header=BB6_130 Depth=2
	s_or_b32 exec_lo, exec_lo, s41
.LBB6_1154:                             ;   in Loop: Header=BB6_130 Depth=2
	s_or_b32 exec_lo, exec_lo, s40
	v_or_b32_e32 v1, v77, v1
	s_mov_b32 s40, 0
	v_cmp_gt_i16_sdwa s13, v1, v113 src0_sel:BYTE_0 src1_sel:DWORD
	s_and_saveexec_b32 s41, s13
	s_xor_b32 s13, exec_lo, s41
	s_cbranch_execz .LBB6_2464
; %bb.1155:                             ;   in Loop: Header=BB6_130 Depth=2
	v_cmp_eq_u16_sdwa s42, v1, v114 src0_sel:BYTE_0 src1_sel:DWORD
	s_mov_b32 s40, -1
	s_and_saveexec_b32 s41, s42
; %bb.1156:                             ;   in Loop: Header=BB6_130 Depth=2
	s_xor_b32 s40, exec_lo, -1
; %bb.1157:                             ;   in Loop: Header=BB6_130 Depth=2
	s_or_b32 exec_lo, exec_lo, s41
	s_and_b32 s40, s40, exec_lo
	s_or_saveexec_b32 s13, s13
	v_mov_b32_e32 v5, 0x7f800001
	s_xor_b32 exec_lo, exec_lo, s13
	s_cbranch_execnz .LBB6_2465
.LBB6_1158:                             ;   in Loop: Header=BB6_130 Depth=2
	s_or_b32 exec_lo, exec_lo, s13
	v_lshl_or_b32 v1, v1, 16, v4
	s_and_saveexec_b32 s13, s40
	s_cbranch_execz .LBB6_1160
.LBB6_1159:                             ;   in Loop: Header=BB6_130 Depth=2
	v_bfe_u32 v4, v1, 16, 3
	v_bfe_u32 v5, v1, 19, 4
	v_ffbh_u32_e32 v6, v4
	v_cmp_eq_u32_e32 vcc_lo, 0, v5
	v_min_u32_e32 v6, 32, v6
	v_subrev_nc_u32_e32 v7, 28, v6
	v_sub_nc_u32_e32 v6, 29, v6
	v_lshlrev_b32_sdwa v7, v7, v1 dst_sel:DWORD dst_unused:UNUSED_PAD src0_sel:DWORD src1_sel:WORD_1
	v_cndmask_b32_e32 v5, v5, v6, vcc_lo
	v_lshlrev_b32_e32 v6, 8, v1
	v_and_b32_e32 v7, 7, v7
	v_lshl_add_u32 v5, v5, 23, 0x3b800000
	v_and_b32_e32 v6, 0x80000000, v6
	v_cndmask_b32_e32 v4, v4, v7, vcc_lo
	v_lshlrev_b32_e32 v4, 20, v4
	v_or3_b32 v5, v6, v5, v4
.LBB6_1160:                             ;   in Loop: Header=BB6_130 Depth=2
	s_or_b32 exec_lo, exec_lo, s13
	v_and_b32_sdwa v6, v23, v117 dst_sel:DWORD dst_unused:UNUSED_PAD src0_sel:WORD_1 src1_sel:DWORD
	s_mov_b32 s40, 0
	s_mov_b32 s13, exec_lo
	v_cmpx_lt_i16_e32 0x7f, v6
	s_xor_b32 s13, exec_lo, s13
	s_cbranch_execz .LBB6_2466
; %bb.1161:                             ;   in Loop: Header=BB6_130 Depth=2
	s_mov_b32 s40, -1
	s_mov_b32 s41, exec_lo
	v_cmpx_eq_u16_e32 0x80, v6
; %bb.1162:                             ;   in Loop: Header=BB6_130 Depth=2
	s_xor_b32 s40, exec_lo, -1
; %bb.1163:                             ;   in Loop: Header=BB6_130 Depth=2
	s_or_b32 exec_lo, exec_lo, s41
	s_and_b32 s40, s40, exec_lo
                                        ; implicit-def: $vgpr6
	s_or_saveexec_b32 s13, s13
	v_mov_b32_e32 v4, 0x7f800001
	s_xor_b32 exec_lo, exec_lo, s13
	s_cbranch_execnz .LBB6_2467
.LBB6_1164:                             ;   in Loop: Header=BB6_130 Depth=2
	s_or_b32 exec_lo, exec_lo, s13
	s_and_saveexec_b32 s13, s40
	s_cbranch_execz .LBB6_1166
.LBB6_1165:                             ;   in Loop: Header=BB6_130 Depth=2
	v_bfe_u32 v4, v23, 16, 3
	v_bfe_u32 v6, v23, 19, 4
	v_ffbh_u32_e32 v7, v4
	v_cmp_eq_u32_e32 vcc_lo, 0, v6
	v_min_u32_e32 v7, 32, v7
	v_subrev_nc_u32_e32 v8, 28, v7
	v_sub_nc_u32_e32 v7, 29, v7
	v_lshlrev_b32_sdwa v8, v8, v23 dst_sel:DWORD dst_unused:UNUSED_PAD src0_sel:DWORD src1_sel:WORD_1
	v_cndmask_b32_e32 v6, v6, v7, vcc_lo
	v_lshlrev_b32_e32 v7, 8, v23
	v_and_b32_e32 v8, 7, v8
	v_lshl_add_u32 v6, v6, 23, 0x3b800000
	v_and_b32_e32 v7, 0x80000000, v7
	v_cndmask_b32_e32 v4, v4, v8, vcc_lo
	v_lshlrev_b32_e32 v4, 20, v4
	v_or3_b32 v4, v7, v6, v4
.LBB6_1166:                             ;   in Loop: Header=BB6_130 Depth=2
	s_or_b32 exec_lo, exec_lo, s13
	v_add_f32_e32 v4, v5, v4
	v_mov_b32_e32 v77, 0x80
	s_mov_b32 s40, exec_lo
	v_and_b32_e32 v5, 0x7f800000, v4
	v_cmpx_ne_u32_e32 0x7f800000, v5
	s_cbranch_execz .LBB6_1174
; %bb.1167:                             ;   in Loop: Header=BB6_130 Depth=2
	v_mov_b32_e32 v77, 0
	s_mov_b32 s41, exec_lo
	v_cmpx_ne_u32_e32 0, v4
	s_cbranch_execz .LBB6_1173
; %bb.1168:                             ;   in Loop: Header=BB6_130 Depth=2
	v_bfe_u32 v6, v4, 23, 8
	v_and_b32_e32 v5, 0x7fffff, v4
	v_cmp_gt_u32_e64 s13, 0x79, v6
	v_sub_nc_u32_e32 v7, 0x78, v6
	v_cmp_eq_u32_e32 vcc_lo, 0, v6
	v_or_b32_e32 v8, 0x800000, v5
	v_cndmask_b32_e64 v7, 0, v7, s13
	v_cndmask_b32_e32 v5, v8, v5, vcc_lo
	v_cndmask_b32_e64 v7, v7, 0x77, vcc_lo
	v_lshl_add_u32 v8, 0x100000, v7, -1
	v_lshlrev_b32_e64 v9, v7, 0x80000
	v_and_b32_e32 v8, v8, v5
	v_cmp_eq_u32_e64 s13, v8, v9
	v_lshrrev_b32_e32 v8, v7, v5
	v_add_nc_u32_e32 v5, 0xffffff89, v6
	v_lshrrev_b32_e32 v6, 23, v8
	v_cndmask_b32_e64 v5, v5, 0xffffff8a, vcc_lo
	v_xor_b32_e32 v6, 1, v6
	v_add_nc_u32_e32 v5, v7, v5
	v_bfe_u32 v7, v8, 20, 1
	v_add_nc_u32_e32 v7, -1, v7
	v_cndmask_b32_e64 v7, 0, v7, s13
	s_mov_b32 s13, exec_lo
	v_add_nc_u32_e32 v7, v7, v8
	v_and_b32_e32 v7, 0xfffff, v7
	v_add_nc_u32_e32 v7, v7, v8
                                        ; implicit-def: $vgpr8
	v_cmpx_ne_u32_e64 v5, v6
	s_xor_b32 s13, exec_lo, s13
; %bb.1169:                             ;   in Loop: Header=BB6_130 Depth=2
	v_cmp_lt_u32_e32 vcc_lo, 0xffffff, v7
	v_sub_nc_u32_e32 v5, v5, v6
	v_cndmask_b32_e64 v6, 0, 1, vcc_lo
	v_add_co_ci_u32_e64 v8, null, 0, v5, vcc_lo
	v_lshrrev_b32_e32 v7, v6, v7
; %bb.1170:                             ;   in Loop: Header=BB6_130 Depth=2
	s_andn2_saveexec_b32 s13, s13
; %bb.1171:                             ;   in Loop: Header=BB6_130 Depth=2
	v_bfe_u32 v8, v7, 23, 1
; %bb.1172:                             ;   in Loop: Header=BB6_130 Depth=2
	s_or_b32 exec_lo, exec_lo, s13
	v_lshrrev_b32_e32 v5, 20, v7
	v_min_i32_e32 v6, 15, v8
	v_cmp_gt_i32_e32 vcc_lo, 16, v8
	v_and_b32_sdwa v4, v4, v114 dst_sel:DWORD dst_unused:UNUSED_PAD src0_sel:BYTE_3 src1_sel:DWORD
	v_lshlrev_b32_e32 v6, 3, v6
	v_cndmask_b32_e32 v5, 7, v5, vcc_lo
	v_and_b32_e32 v6, 0xf8, v6
	v_or_b32_e32 v7, v8, v5
	v_and_b32_e32 v5, 7, v5
	v_cmp_ne_u32_e32 vcc_lo, 0, v7
	v_or3_b32 v4, v6, v4, v5
	v_cndmask_b32_e32 v77, 0, v4, vcc_lo
.LBB6_1173:                             ;   in Loop: Header=BB6_130 Depth=2
	s_or_b32 exec_lo, exec_lo, s41
.LBB6_1174:                             ;   in Loop: Header=BB6_130 Depth=2
	s_or_b32 exec_lo, exec_lo, s40
	v_cmp_gt_i16_sdwa s13, v1, v113 src0_sel:BYTE_3 src1_sel:DWORD
	s_mov_b32 s40, 0
	s_and_saveexec_b32 s41, s13
	s_xor_b32 s13, exec_lo, s41
	s_cbranch_execz .LBB6_2468
; %bb.1175:                             ;   in Loop: Header=BB6_130 Depth=2
	v_cmp_eq_u16_sdwa s42, v1, v114 src0_sel:BYTE_3 src1_sel:DWORD
	s_mov_b32 s40, -1
	s_and_saveexec_b32 s41, s42
; %bb.1176:                             ;   in Loop: Header=BB6_130 Depth=2
	s_xor_b32 s40, exec_lo, -1
; %bb.1177:                             ;   in Loop: Header=BB6_130 Depth=2
	s_or_b32 exec_lo, exec_lo, s41
	s_and_b32 s40, s40, exec_lo
	s_or_saveexec_b32 s13, s13
	v_mov_b32_e32 v4, 0x7f800001
	s_xor_b32 exec_lo, exec_lo, s13
	s_cbranch_execnz .LBB6_2469
.LBB6_1178:                             ;   in Loop: Header=BB6_130 Depth=2
	s_or_b32 exec_lo, exec_lo, s13
	s_and_saveexec_b32 s13, s40
	s_cbranch_execz .LBB6_1180
.LBB6_1179:                             ;   in Loop: Header=BB6_130 Depth=2
	v_bfe_u32 v4, v1, 24, 3
	v_bfe_u32 v7, v1, 27, 4
	v_ffbh_u32_e32 v5, v4
	v_cmp_eq_u32_e32 vcc_lo, 0, v7
	v_min_u32_e32 v5, 32, v5
	v_subrev_nc_u32_e32 v6, 28, v5
	v_sub_nc_u32_e32 v5, 29, v5
	v_lshlrev_b32_sdwa v6, v6, v1 dst_sel:DWORD dst_unused:UNUSED_PAD src0_sel:DWORD src1_sel:BYTE_3
	v_cndmask_b32_e32 v5, v7, v5, vcc_lo
	v_and_b32_e32 v1, 0x80000000, v1
	v_and_b32_e32 v6, 7, v6
	v_lshl_add_u32 v5, v5, 23, 0x3b800000
	v_cndmask_b32_e32 v4, v4, v6, vcc_lo
	v_lshlrev_b32_e32 v4, 20, v4
	v_or3_b32 v4, v1, v5, v4
.LBB6_1180:                             ;   in Loop: Header=BB6_130 Depth=2
	s_or_b32 exec_lo, exec_lo, s13
	v_cmp_gt_i16_sdwa s13, v23, v113 src0_sel:BYTE_3 src1_sel:DWORD
	s_mov_b32 s40, 0
	s_and_saveexec_b32 s41, s13
	s_xor_b32 s13, exec_lo, s41
	s_cbranch_execz .LBB6_2470
; %bb.1181:                             ;   in Loop: Header=BB6_130 Depth=2
	v_cmp_eq_u16_sdwa s42, v23, v114 src0_sel:BYTE_3 src1_sel:DWORD
	s_mov_b32 s40, -1
	s_and_saveexec_b32 s41, s42
; %bb.1182:                             ;   in Loop: Header=BB6_130 Depth=2
	s_xor_b32 s40, exec_lo, -1
; %bb.1183:                             ;   in Loop: Header=BB6_130 Depth=2
	s_or_b32 exec_lo, exec_lo, s41
	s_and_b32 s40, s40, exec_lo
	s_or_saveexec_b32 s13, s13
	v_mov_b32_e32 v1, 0x7f800001
	s_xor_b32 exec_lo, exec_lo, s13
	s_cbranch_execnz .LBB6_2471
.LBB6_1184:                             ;   in Loop: Header=BB6_130 Depth=2
	s_or_b32 exec_lo, exec_lo, s13
	s_and_saveexec_b32 s13, s40
	s_cbranch_execz .LBB6_1186
.LBB6_1185:                             ;   in Loop: Header=BB6_130 Depth=2
	v_bfe_u32 v1, v23, 24, 3
	v_bfe_u32 v7, v23, 27, 4
	v_ffbh_u32_e32 v5, v1
	v_cmp_eq_u32_e32 vcc_lo, 0, v7
	v_min_u32_e32 v5, 32, v5
	v_subrev_nc_u32_e32 v6, 28, v5
	v_sub_nc_u32_e32 v5, 29, v5
	v_lshlrev_b32_sdwa v6, v6, v23 dst_sel:DWORD dst_unused:UNUSED_PAD src0_sel:DWORD src1_sel:BYTE_3
	v_cndmask_b32_e32 v5, v7, v5, vcc_lo
	v_and_b32_e32 v6, 7, v6
	v_lshl_add_u32 v5, v5, 23, 0x3b800000
	v_cndmask_b32_e32 v1, v1, v6, vcc_lo
	v_and_b32_e32 v6, 0x80000000, v23
	v_lshlrev_b32_e32 v1, 20, v1
	v_or3_b32 v1, v6, v5, v1
.LBB6_1186:                             ;   in Loop: Header=BB6_130 Depth=2
	s_or_b32 exec_lo, exec_lo, s13
	v_add_f32_e32 v1, v4, v1
	v_mov_b32_e32 v23, 0x8000
	s_mov_b32 s40, exec_lo
	v_and_b32_e32 v4, 0x7f800000, v1
	v_cmpx_ne_u32_e32 0x7f800000, v4
	s_cbranch_execz .LBB6_1194
; %bb.1187:                             ;   in Loop: Header=BB6_130 Depth=2
	v_mov_b32_e32 v23, 0
	s_mov_b32 s41, exec_lo
	v_cmpx_ne_u32_e32 0, v1
	s_cbranch_execz .LBB6_1193
; %bb.1188:                             ;   in Loop: Header=BB6_130 Depth=2
	v_bfe_u32 v5, v1, 23, 8
	v_and_b32_e32 v4, 0x7fffff, v1
	v_cmp_gt_u32_e64 s13, 0x79, v5
	v_sub_nc_u32_e32 v6, 0x78, v5
	v_cmp_eq_u32_e32 vcc_lo, 0, v5
	v_or_b32_e32 v7, 0x800000, v4
	v_cndmask_b32_e64 v6, 0, v6, s13
	v_cndmask_b32_e32 v4, v7, v4, vcc_lo
	v_cndmask_b32_e64 v6, v6, 0x77, vcc_lo
	v_lshl_add_u32 v7, 0x100000, v6, -1
	v_lshlrev_b32_e64 v8, v6, 0x80000
	v_and_b32_e32 v7, v7, v4
	v_cmp_eq_u32_e64 s13, v7, v8
	v_lshrrev_b32_e32 v7, v6, v4
	v_add_nc_u32_e32 v4, 0xffffff89, v5
	v_lshrrev_b32_e32 v5, 23, v7
	v_cndmask_b32_e64 v4, v4, 0xffffff8a, vcc_lo
	v_xor_b32_e32 v5, 1, v5
	v_add_nc_u32_e32 v4, v6, v4
	v_bfe_u32 v6, v7, 20, 1
	v_add_nc_u32_e32 v6, -1, v6
	v_cndmask_b32_e64 v6, 0, v6, s13
	s_mov_b32 s13, exec_lo
	v_add_nc_u32_e32 v6, v6, v7
	v_and_b32_e32 v6, 0xfffff, v6
	v_add_nc_u32_e32 v6, v6, v7
                                        ; implicit-def: $vgpr7
	v_cmpx_ne_u32_e64 v4, v5
	s_xor_b32 s13, exec_lo, s13
; %bb.1189:                             ;   in Loop: Header=BB6_130 Depth=2
	v_cmp_lt_u32_e32 vcc_lo, 0xffffff, v6
	v_sub_nc_u32_e32 v4, v4, v5
	v_cndmask_b32_e64 v5, 0, 1, vcc_lo
	v_add_co_ci_u32_e64 v7, null, 0, v4, vcc_lo
	v_lshrrev_b32_e32 v6, v5, v6
; %bb.1190:                             ;   in Loop: Header=BB6_130 Depth=2
	s_andn2_saveexec_b32 s13, s13
; %bb.1191:                             ;   in Loop: Header=BB6_130 Depth=2
	v_bfe_u32 v7, v6, 23, 1
; %bb.1192:                             ;   in Loop: Header=BB6_130 Depth=2
	s_or_b32 exec_lo, exec_lo, s13
	v_lshrrev_b32_e32 v4, 20, v6
	v_min_i32_e32 v5, 15, v7
	v_cmp_gt_i32_e32 vcc_lo, 16, v7
	v_and_b32_sdwa v1, v1, v114 dst_sel:DWORD dst_unused:UNUSED_PAD src0_sel:BYTE_3 src1_sel:DWORD
	v_lshlrev_b32_e32 v5, 3, v5
	v_cndmask_b32_e32 v4, 7, v4, vcc_lo
	v_and_b32_e32 v5, 0xf8, v5
	v_or_b32_e32 v6, v7, v4
	v_and_b32_e32 v4, 7, v4
	v_cmp_ne_u32_e32 vcc_lo, 0, v6
	v_or3_b32 v1, v1, v5, v4
	v_lshlrev_b32_e32 v1, 8, v1
	v_cndmask_b32_e32 v23, 0, v1, vcc_lo
.LBB6_1193:                             ;   in Loop: Header=BB6_130 Depth=2
	s_or_b32 exec_lo, exec_lo, s41
.LBB6_1194:                             ;   in Loop: Header=BB6_130 Depth=2
	s_or_b32 exec_lo, exec_lo, s40
	v_or_b32_e32 v0, v0, v90
	s_mov_b32 s40, 0
	v_cmp_gt_i16_sdwa s13, v0, v113 src0_sel:BYTE_0 src1_sel:DWORD
	s_and_saveexec_b32 s41, s13
	s_xor_b32 s13, exec_lo, s41
	s_cbranch_execz .LBB6_2472
; %bb.1195:                             ;   in Loop: Header=BB6_130 Depth=2
	v_cmp_eq_u16_sdwa s42, v0, v114 src0_sel:BYTE_0 src1_sel:DWORD
	s_mov_b32 s40, -1
	s_and_saveexec_b32 s41, s42
; %bb.1196:                             ;   in Loop: Header=BB6_130 Depth=2
	s_xor_b32 s40, exec_lo, -1
; %bb.1197:                             ;   in Loop: Header=BB6_130 Depth=2
	s_or_b32 exec_lo, exec_lo, s41
	s_and_b32 s40, s40, exec_lo
	s_or_saveexec_b32 s13, s13
	v_mov_b32_e32 v1, 0x7f800001
	s_xor_b32 exec_lo, exec_lo, s13
	s_cbranch_execnz .LBB6_2473
.LBB6_1198:                             ;   in Loop: Header=BB6_130 Depth=2
	s_or_b32 exec_lo, exec_lo, s13
	s_and_saveexec_b32 s13, s40
	s_cbranch_execz .LBB6_1200
.LBB6_1199:                             ;   in Loop: Header=BB6_130 Depth=2
	v_and_b32_e32 v1, 7, v0
	v_bfe_u32 v4, v0, 3, 4
	v_ffbh_u32_e32 v5, v1
	v_cmp_eq_u32_e32 vcc_lo, 0, v4
	v_min_u32_e32 v5, 32, v5
	v_subrev_nc_u32_e32 v6, 28, v5
	v_sub_nc_u32_e32 v5, 29, v5
	v_lshlrev_b32_e32 v6, v6, v0
	v_cndmask_b32_e32 v4, v4, v5, vcc_lo
	v_lshlrev_b32_e32 v5, 24, v0
	v_and_b32_e32 v6, 7, v6
	v_lshl_add_u32 v4, v4, 23, 0x3b800000
	v_and_b32_e32 v5, 0x80000000, v5
	v_cndmask_b32_e32 v1, v1, v6, vcc_lo
	v_lshlrev_b32_e32 v1, 20, v1
	v_or3_b32 v1, v5, v4, v1
.LBB6_1200:                             ;   in Loop: Header=BB6_130 Depth=2
	s_or_b32 exec_lo, exec_lo, s13
	v_cmp_gt_i16_sdwa s13, v24, v113 src0_sel:BYTE_0 src1_sel:DWORD
	s_mov_b32 s40, 0
	s_and_saveexec_b32 s41, s13
	s_xor_b32 s13, exec_lo, s41
	s_cbranch_execz .LBB6_2474
; %bb.1201:                             ;   in Loop: Header=BB6_130 Depth=2
	v_cmp_eq_u16_sdwa s42, v24, v114 src0_sel:BYTE_0 src1_sel:DWORD
	s_mov_b32 s40, -1
	s_and_saveexec_b32 s41, s42
; %bb.1202:                             ;   in Loop: Header=BB6_130 Depth=2
	s_xor_b32 s40, exec_lo, -1
; %bb.1203:                             ;   in Loop: Header=BB6_130 Depth=2
	s_or_b32 exec_lo, exec_lo, s41
	s_and_b32 s40, s40, exec_lo
	s_or_saveexec_b32 s13, s13
	v_mov_b32_e32 v4, 0x7f800001
	s_xor_b32 exec_lo, exec_lo, s13
	s_cbranch_execnz .LBB6_2475
.LBB6_1204:                             ;   in Loop: Header=BB6_130 Depth=2
	s_or_b32 exec_lo, exec_lo, s13
	s_and_saveexec_b32 s13, s40
	s_cbranch_execz .LBB6_1206
.LBB6_1205:                             ;   in Loop: Header=BB6_130 Depth=2
	v_and_b32_e32 v4, 7, v24
	v_bfe_u32 v5, v24, 3, 4
	v_ffbh_u32_e32 v6, v4
	v_cmp_eq_u32_e32 vcc_lo, 0, v5
	v_min_u32_e32 v6, 32, v6
	v_subrev_nc_u32_e32 v7, 28, v6
	v_sub_nc_u32_e32 v6, 29, v6
	v_lshlrev_b32_e32 v7, v7, v24
	v_cndmask_b32_e32 v5, v5, v6, vcc_lo
	v_lshlrev_b32_e32 v6, 24, v24
	v_and_b32_e32 v7, 7, v7
	v_lshl_add_u32 v5, v5, 23, 0x3b800000
	v_and_b32_e32 v6, 0x80000000, v6
	v_cndmask_b32_e32 v4, v4, v7, vcc_lo
	v_lshlrev_b32_e32 v4, 20, v4
	v_or3_b32 v4, v6, v5, v4
.LBB6_1206:                             ;   in Loop: Header=BB6_130 Depth=2
	s_or_b32 exec_lo, exec_lo, s13
	v_add_f32_e32 v1, v1, v4
	v_mov_b32_e32 v90, 0x80
	s_mov_b32 s40, exec_lo
	v_and_b32_e32 v4, 0x7f800000, v1
	v_cmpx_ne_u32_e32 0x7f800000, v4
	s_cbranch_execz .LBB6_1214
; %bb.1207:                             ;   in Loop: Header=BB6_130 Depth=2
	v_mov_b32_e32 v90, 0
	s_mov_b32 s41, exec_lo
	v_cmpx_ne_u32_e32 0, v1
	s_cbranch_execz .LBB6_1213
; %bb.1208:                             ;   in Loop: Header=BB6_130 Depth=2
	v_bfe_u32 v5, v1, 23, 8
	v_and_b32_e32 v4, 0x7fffff, v1
	v_cmp_gt_u32_e64 s13, 0x79, v5
	v_sub_nc_u32_e32 v6, 0x78, v5
	v_cmp_eq_u32_e32 vcc_lo, 0, v5
	v_or_b32_e32 v7, 0x800000, v4
	v_cndmask_b32_e64 v6, 0, v6, s13
	v_cndmask_b32_e32 v4, v7, v4, vcc_lo
	v_cndmask_b32_e64 v6, v6, 0x77, vcc_lo
	v_lshl_add_u32 v7, 0x100000, v6, -1
	v_lshlrev_b32_e64 v8, v6, 0x80000
	v_and_b32_e32 v7, v7, v4
	v_cmp_eq_u32_e64 s13, v7, v8
	v_lshrrev_b32_e32 v7, v6, v4
	v_add_nc_u32_e32 v4, 0xffffff89, v5
	v_lshrrev_b32_e32 v5, 23, v7
	v_cndmask_b32_e64 v4, v4, 0xffffff8a, vcc_lo
	v_xor_b32_e32 v5, 1, v5
	v_add_nc_u32_e32 v4, v6, v4
	v_bfe_u32 v6, v7, 20, 1
	v_add_nc_u32_e32 v6, -1, v6
	v_cndmask_b32_e64 v6, 0, v6, s13
	s_mov_b32 s13, exec_lo
	v_add_nc_u32_e32 v6, v6, v7
	v_and_b32_e32 v6, 0xfffff, v6
	v_add_nc_u32_e32 v6, v6, v7
                                        ; implicit-def: $vgpr7
	v_cmpx_ne_u32_e64 v4, v5
	s_xor_b32 s13, exec_lo, s13
; %bb.1209:                             ;   in Loop: Header=BB6_130 Depth=2
	v_cmp_lt_u32_e32 vcc_lo, 0xffffff, v6
	v_sub_nc_u32_e32 v4, v4, v5
	v_cndmask_b32_e64 v5, 0, 1, vcc_lo
	v_add_co_ci_u32_e64 v7, null, 0, v4, vcc_lo
	v_lshrrev_b32_e32 v6, v5, v6
; %bb.1210:                             ;   in Loop: Header=BB6_130 Depth=2
	s_andn2_saveexec_b32 s13, s13
; %bb.1211:                             ;   in Loop: Header=BB6_130 Depth=2
	v_bfe_u32 v7, v6, 23, 1
; %bb.1212:                             ;   in Loop: Header=BB6_130 Depth=2
	s_or_b32 exec_lo, exec_lo, s13
	v_lshrrev_b32_e32 v4, 20, v6
	v_min_i32_e32 v5, 15, v7
	v_cmp_gt_i32_e32 vcc_lo, 16, v7
	v_and_b32_sdwa v1, v1, v114 dst_sel:DWORD dst_unused:UNUSED_PAD src0_sel:BYTE_3 src1_sel:DWORD
	v_lshlrev_b32_e32 v5, 3, v5
	v_cndmask_b32_e32 v4, 7, v4, vcc_lo
	v_and_b32_e32 v5, 0xf8, v5
	v_or_b32_e32 v6, v7, v4
	v_and_b32_e32 v4, 7, v4
	v_cmp_ne_u32_e32 vcc_lo, 0, v6
	v_or3_b32 v1, v5, v1, v4
	v_cndmask_b32_e32 v90, 0, v1, vcc_lo
.LBB6_1213:                             ;   in Loop: Header=BB6_130 Depth=2
	s_or_b32 exec_lo, exec_lo, s41
.LBB6_1214:                             ;   in Loop: Header=BB6_130 Depth=2
	s_or_b32 exec_lo, exec_lo, s40
	v_cmp_gt_i16_sdwa s13, v0, v113 src0_sel:BYTE_1 src1_sel:DWORD
	s_mov_b32 s40, 0
	s_and_saveexec_b32 s41, s13
	s_xor_b32 s13, exec_lo, s41
	s_cbranch_execz .LBB6_2476
; %bb.1215:                             ;   in Loop: Header=BB6_130 Depth=2
	v_cmp_eq_u16_sdwa s42, v0, v114 src0_sel:BYTE_1 src1_sel:DWORD
	s_mov_b32 s40, -1
	s_and_saveexec_b32 s41, s42
; %bb.1216:                             ;   in Loop: Header=BB6_130 Depth=2
	s_xor_b32 s40, exec_lo, -1
; %bb.1217:                             ;   in Loop: Header=BB6_130 Depth=2
	s_or_b32 exec_lo, exec_lo, s41
	s_and_b32 s40, s40, exec_lo
	s_or_saveexec_b32 s13, s13
	v_mov_b32_e32 v1, 0x7f800001
	s_xor_b32 exec_lo, exec_lo, s13
	s_cbranch_execnz .LBB6_2477
.LBB6_1218:                             ;   in Loop: Header=BB6_130 Depth=2
	s_or_b32 exec_lo, exec_lo, s13
	s_and_saveexec_b32 s13, s40
	s_cbranch_execz .LBB6_1220
.LBB6_1219:                             ;   in Loop: Header=BB6_130 Depth=2
	v_and_b32_sdwa v1, v115, v0 dst_sel:DWORD dst_unused:UNUSED_PAD src0_sel:DWORD src1_sel:BYTE_1
	v_and_b32_e32 v4, 7, v1
	v_bfe_u32 v7, v1, 3, 4
	v_ffbh_u32_e32 v5, v4
	v_cmp_eq_u32_e32 vcc_lo, 0, v7
	v_min_u32_e32 v5, 32, v5
	v_subrev_nc_u32_e32 v6, 28, v5
	v_sub_nc_u32_e32 v5, 29, v5
	v_lshlrev_b32_e32 v1, v6, v1
	v_lshlrev_b32_sdwa v6, v116, v0 dst_sel:DWORD dst_unused:UNUSED_PAD src0_sel:DWORD src1_sel:BYTE_1
	v_cndmask_b32_e32 v5, v7, v5, vcc_lo
	v_and_b32_e32 v1, 7, v1
	v_lshl_add_u32 v5, v5, 23, 0x3b800000
	v_cndmask_b32_e32 v1, v4, v1, vcc_lo
	v_and_b32_e32 v4, 0x80000000, v6
	v_lshlrev_b32_e32 v1, 20, v1
	v_or3_b32 v1, v4, v5, v1
.LBB6_1220:                             ;   in Loop: Header=BB6_130 Depth=2
	s_or_b32 exec_lo, exec_lo, s13
	v_cmp_gt_i16_sdwa s13, v24, v113 src0_sel:BYTE_1 src1_sel:DWORD
	s_mov_b32 s40, 0
	s_and_saveexec_b32 s41, s13
	s_xor_b32 s13, exec_lo, s41
	s_cbranch_execz .LBB6_2478
; %bb.1221:                             ;   in Loop: Header=BB6_130 Depth=2
	v_cmp_eq_u16_sdwa s42, v24, v114 src0_sel:BYTE_1 src1_sel:DWORD
	s_mov_b32 s40, -1
	s_and_saveexec_b32 s41, s42
; %bb.1222:                             ;   in Loop: Header=BB6_130 Depth=2
	s_xor_b32 s40, exec_lo, -1
; %bb.1223:                             ;   in Loop: Header=BB6_130 Depth=2
	s_or_b32 exec_lo, exec_lo, s41
	s_and_b32 s40, s40, exec_lo
	s_or_saveexec_b32 s13, s13
	v_mov_b32_e32 v4, 0x7f800001
	s_xor_b32 exec_lo, exec_lo, s13
	s_cbranch_execnz .LBB6_2479
.LBB6_1224:                             ;   in Loop: Header=BB6_130 Depth=2
	s_or_b32 exec_lo, exec_lo, s13
	s_and_saveexec_b32 s13, s40
	s_cbranch_execz .LBB6_1226
.LBB6_1225:                             ;   in Loop: Header=BB6_130 Depth=2
	v_and_b32_sdwa v4, v115, v24 dst_sel:DWORD dst_unused:UNUSED_PAD src0_sel:DWORD src1_sel:BYTE_1
	v_and_b32_e32 v5, 7, v4
	v_bfe_u32 v8, v4, 3, 4
	v_ffbh_u32_e32 v6, v5
	v_cmp_eq_u32_e32 vcc_lo, 0, v8
	v_min_u32_e32 v6, 32, v6
	v_subrev_nc_u32_e32 v7, 28, v6
	v_sub_nc_u32_e32 v6, 29, v6
	v_lshlrev_b32_e32 v4, v7, v4
	v_lshlrev_b32_sdwa v7, v116, v24 dst_sel:DWORD dst_unused:UNUSED_PAD src0_sel:DWORD src1_sel:BYTE_1
	v_cndmask_b32_e32 v6, v8, v6, vcc_lo
	v_and_b32_e32 v4, 7, v4
	v_lshl_add_u32 v6, v6, 23, 0x3b800000
	v_cndmask_b32_e32 v4, v5, v4, vcc_lo
	v_and_b32_e32 v5, 0x80000000, v7
	v_lshlrev_b32_e32 v4, 20, v4
	v_or3_b32 v4, v5, v6, v4
.LBB6_1226:                             ;   in Loop: Header=BB6_130 Depth=2
	s_or_b32 exec_lo, exec_lo, s13
	v_add_f32_e32 v1, v1, v4
	v_mov_b32_e32 v93, 0x8000
	s_mov_b32 s40, exec_lo
	v_and_b32_e32 v4, 0x7f800000, v1
	v_cmpx_ne_u32_e32 0x7f800000, v4
	s_cbranch_execz .LBB6_1234
; %bb.1227:                             ;   in Loop: Header=BB6_130 Depth=2
	v_mov_b32_e32 v93, 0
	s_mov_b32 s41, exec_lo
	v_cmpx_ne_u32_e32 0, v1
	s_cbranch_execz .LBB6_1233
; %bb.1228:                             ;   in Loop: Header=BB6_130 Depth=2
	v_bfe_u32 v5, v1, 23, 8
	v_and_b32_e32 v4, 0x7fffff, v1
	v_cmp_gt_u32_e64 s13, 0x79, v5
	v_sub_nc_u32_e32 v6, 0x78, v5
	v_cmp_eq_u32_e32 vcc_lo, 0, v5
	v_or_b32_e32 v7, 0x800000, v4
	v_cndmask_b32_e64 v6, 0, v6, s13
	v_cndmask_b32_e32 v4, v7, v4, vcc_lo
	v_cndmask_b32_e64 v6, v6, 0x77, vcc_lo
	v_lshl_add_u32 v7, 0x100000, v6, -1
	v_lshlrev_b32_e64 v8, v6, 0x80000
	v_and_b32_e32 v7, v7, v4
	v_cmp_eq_u32_e64 s13, v7, v8
	v_lshrrev_b32_e32 v7, v6, v4
	v_add_nc_u32_e32 v4, 0xffffff89, v5
	v_lshrrev_b32_e32 v5, 23, v7
	v_cndmask_b32_e64 v4, v4, 0xffffff8a, vcc_lo
	v_xor_b32_e32 v5, 1, v5
	v_add_nc_u32_e32 v4, v6, v4
	v_bfe_u32 v6, v7, 20, 1
	v_add_nc_u32_e32 v6, -1, v6
	v_cndmask_b32_e64 v6, 0, v6, s13
	s_mov_b32 s13, exec_lo
	v_add_nc_u32_e32 v6, v6, v7
	v_and_b32_e32 v6, 0xfffff, v6
	v_add_nc_u32_e32 v6, v6, v7
                                        ; implicit-def: $vgpr7
	v_cmpx_ne_u32_e64 v4, v5
	s_xor_b32 s13, exec_lo, s13
; %bb.1229:                             ;   in Loop: Header=BB6_130 Depth=2
	v_cmp_lt_u32_e32 vcc_lo, 0xffffff, v6
	v_sub_nc_u32_e32 v4, v4, v5
	v_cndmask_b32_e64 v5, 0, 1, vcc_lo
	v_add_co_ci_u32_e64 v7, null, 0, v4, vcc_lo
	v_lshrrev_b32_e32 v6, v5, v6
; %bb.1230:                             ;   in Loop: Header=BB6_130 Depth=2
	s_andn2_saveexec_b32 s13, s13
; %bb.1231:                             ;   in Loop: Header=BB6_130 Depth=2
	v_bfe_u32 v7, v6, 23, 1
; %bb.1232:                             ;   in Loop: Header=BB6_130 Depth=2
	s_or_b32 exec_lo, exec_lo, s13
	v_lshrrev_b32_e32 v4, 20, v6
	v_min_i32_e32 v5, 15, v7
	v_cmp_gt_i32_e32 vcc_lo, 16, v7
	v_and_b32_sdwa v1, v1, v114 dst_sel:DWORD dst_unused:UNUSED_PAD src0_sel:BYTE_3 src1_sel:DWORD
	v_lshlrev_b32_e32 v5, 3, v5
	v_cndmask_b32_e32 v4, 7, v4, vcc_lo
	v_and_b32_e32 v5, 0xf8, v5
	v_or_b32_e32 v6, v7, v4
	v_and_b32_e32 v4, 7, v4
	v_cmp_ne_u32_e32 vcc_lo, 0, v6
	v_or3_b32 v1, v1, v5, v4
	v_lshlrev_b32_e32 v1, 8, v1
	v_cndmask_b32_e32 v93, 0, v1, vcc_lo
.LBB6_1233:                             ;   in Loop: Header=BB6_130 Depth=2
	s_or_b32 exec_lo, exec_lo, s41
.LBB6_1234:                             ;   in Loop: Header=BB6_130 Depth=2
	s_or_b32 exec_lo, exec_lo, s40
	v_or_b32_e32 v4, v27, v26
	s_mov_b32 s40, 0
	v_cmp_gt_i16_sdwa s13, v4, v113 src0_sel:BYTE_0 src1_sel:DWORD
	s_and_saveexec_b32 s41, s13
	s_xor_b32 s13, exec_lo, s41
	s_cbranch_execz .LBB6_2480
; %bb.1235:                             ;   in Loop: Header=BB6_130 Depth=2
	v_cmp_eq_u16_sdwa s42, v4, v114 src0_sel:BYTE_0 src1_sel:DWORD
	s_mov_b32 s40, -1
	s_and_saveexec_b32 s41, s42
; %bb.1236:                             ;   in Loop: Header=BB6_130 Depth=2
	s_xor_b32 s40, exec_lo, -1
; %bb.1237:                             ;   in Loop: Header=BB6_130 Depth=2
	s_or_b32 exec_lo, exec_lo, s41
	s_and_b32 s40, s40, exec_lo
	s_or_saveexec_b32 s13, s13
	v_mov_b32_e32 v1, 0x7f800001
	s_xor_b32 exec_lo, exec_lo, s13
	s_cbranch_execnz .LBB6_2481
.LBB6_1238:                             ;   in Loop: Header=BB6_130 Depth=2
	s_or_b32 exec_lo, exec_lo, s13
	v_lshl_or_b32 v0, v4, 16, v0
	s_and_saveexec_b32 s13, s40
	s_cbranch_execz .LBB6_1240
.LBB6_1239:                             ;   in Loop: Header=BB6_130 Depth=2
	v_bfe_u32 v1, v0, 16, 3
	v_bfe_u32 v4, v0, 19, 4
	v_ffbh_u32_e32 v5, v1
	v_cmp_eq_u32_e32 vcc_lo, 0, v4
	v_min_u32_e32 v5, 32, v5
	v_subrev_nc_u32_e32 v6, 28, v5
	v_sub_nc_u32_e32 v5, 29, v5
	v_lshlrev_b32_sdwa v6, v6, v0 dst_sel:DWORD dst_unused:UNUSED_PAD src0_sel:DWORD src1_sel:WORD_1
	v_cndmask_b32_e32 v4, v4, v5, vcc_lo
	v_lshlrev_b32_e32 v5, 8, v0
	v_and_b32_e32 v6, 7, v6
	v_lshl_add_u32 v4, v4, 23, 0x3b800000
	v_and_b32_e32 v5, 0x80000000, v5
	v_cndmask_b32_e32 v1, v1, v6, vcc_lo
	v_lshlrev_b32_e32 v1, 20, v1
	v_or3_b32 v1, v5, v4, v1
.LBB6_1240:                             ;   in Loop: Header=BB6_130 Depth=2
	s_or_b32 exec_lo, exec_lo, s13
	v_and_b32_sdwa v5, v24, v117 dst_sel:DWORD dst_unused:UNUSED_PAD src0_sel:WORD_1 src1_sel:DWORD
	s_mov_b32 s40, 0
	s_mov_b32 s13, exec_lo
	v_cmpx_lt_i16_e32 0x7f, v5
	s_xor_b32 s13, exec_lo, s13
	s_cbranch_execz .LBB6_2482
; %bb.1241:                             ;   in Loop: Header=BB6_130 Depth=2
	s_mov_b32 s40, -1
	s_mov_b32 s41, exec_lo
	v_cmpx_eq_u16_e32 0x80, v5
; %bb.1242:                             ;   in Loop: Header=BB6_130 Depth=2
	s_xor_b32 s40, exec_lo, -1
; %bb.1243:                             ;   in Loop: Header=BB6_130 Depth=2
	s_or_b32 exec_lo, exec_lo, s41
	s_and_b32 s40, s40, exec_lo
                                        ; implicit-def: $vgpr5
	s_or_saveexec_b32 s13, s13
	v_mov_b32_e32 v4, 0x7f800001
	s_xor_b32 exec_lo, exec_lo, s13
	s_cbranch_execnz .LBB6_2483
.LBB6_1244:                             ;   in Loop: Header=BB6_130 Depth=2
	s_or_b32 exec_lo, exec_lo, s13
	s_and_saveexec_b32 s13, s40
	s_cbranch_execz .LBB6_1246
.LBB6_1245:                             ;   in Loop: Header=BB6_130 Depth=2
	v_bfe_u32 v4, v24, 16, 3
	v_bfe_u32 v5, v24, 19, 4
	v_ffbh_u32_e32 v6, v4
	v_cmp_eq_u32_e32 vcc_lo, 0, v5
	v_min_u32_e32 v6, 32, v6
	v_subrev_nc_u32_e32 v7, 28, v6
	v_sub_nc_u32_e32 v6, 29, v6
	v_lshlrev_b32_sdwa v7, v7, v24 dst_sel:DWORD dst_unused:UNUSED_PAD src0_sel:DWORD src1_sel:WORD_1
	v_cndmask_b32_e32 v5, v5, v6, vcc_lo
	v_lshlrev_b32_e32 v6, 8, v24
	v_and_b32_e32 v7, 7, v7
	v_lshl_add_u32 v5, v5, 23, 0x3b800000
	v_and_b32_e32 v6, 0x80000000, v6
	v_cndmask_b32_e32 v4, v4, v7, vcc_lo
	v_lshlrev_b32_e32 v4, 20, v4
	v_or3_b32 v4, v6, v5, v4
.LBB6_1246:                             ;   in Loop: Header=BB6_130 Depth=2
	s_or_b32 exec_lo, exec_lo, s13
	v_add_f32_e32 v1, v1, v4
	v_mov_b32_e32 v105, 0x80
	s_mov_b32 s40, exec_lo
	v_and_b32_e32 v4, 0x7f800000, v1
	v_cmpx_ne_u32_e32 0x7f800000, v4
	s_cbranch_execz .LBB6_1254
; %bb.1247:                             ;   in Loop: Header=BB6_130 Depth=2
	v_mov_b32_e32 v105, 0
	s_mov_b32 s41, exec_lo
	v_cmpx_ne_u32_e32 0, v1
	s_cbranch_execz .LBB6_1253
; %bb.1248:                             ;   in Loop: Header=BB6_130 Depth=2
	v_bfe_u32 v5, v1, 23, 8
	v_and_b32_e32 v4, 0x7fffff, v1
	v_cmp_gt_u32_e64 s13, 0x79, v5
	v_sub_nc_u32_e32 v6, 0x78, v5
	v_cmp_eq_u32_e32 vcc_lo, 0, v5
	v_or_b32_e32 v7, 0x800000, v4
	v_cndmask_b32_e64 v6, 0, v6, s13
	v_cndmask_b32_e32 v4, v7, v4, vcc_lo
	v_cndmask_b32_e64 v6, v6, 0x77, vcc_lo
	v_lshl_add_u32 v7, 0x100000, v6, -1
	v_lshlrev_b32_e64 v8, v6, 0x80000
	v_and_b32_e32 v7, v7, v4
	v_cmp_eq_u32_e64 s13, v7, v8
	v_lshrrev_b32_e32 v7, v6, v4
	v_add_nc_u32_e32 v4, 0xffffff89, v5
	v_lshrrev_b32_e32 v5, 23, v7
	v_cndmask_b32_e64 v4, v4, 0xffffff8a, vcc_lo
	v_xor_b32_e32 v5, 1, v5
	v_add_nc_u32_e32 v4, v6, v4
	v_bfe_u32 v6, v7, 20, 1
	v_add_nc_u32_e32 v6, -1, v6
	v_cndmask_b32_e64 v6, 0, v6, s13
	s_mov_b32 s13, exec_lo
	v_add_nc_u32_e32 v6, v6, v7
	v_and_b32_e32 v6, 0xfffff, v6
	v_add_nc_u32_e32 v6, v6, v7
                                        ; implicit-def: $vgpr7
	v_cmpx_ne_u32_e64 v4, v5
	s_xor_b32 s13, exec_lo, s13
; %bb.1249:                             ;   in Loop: Header=BB6_130 Depth=2
	v_cmp_lt_u32_e32 vcc_lo, 0xffffff, v6
	v_sub_nc_u32_e32 v4, v4, v5
	v_cndmask_b32_e64 v5, 0, 1, vcc_lo
	v_add_co_ci_u32_e64 v7, null, 0, v4, vcc_lo
	v_lshrrev_b32_e32 v6, v5, v6
; %bb.1250:                             ;   in Loop: Header=BB6_130 Depth=2
	s_andn2_saveexec_b32 s13, s13
; %bb.1251:                             ;   in Loop: Header=BB6_130 Depth=2
	v_bfe_u32 v7, v6, 23, 1
; %bb.1252:                             ;   in Loop: Header=BB6_130 Depth=2
	s_or_b32 exec_lo, exec_lo, s13
	v_lshrrev_b32_e32 v4, 20, v6
	v_min_i32_e32 v5, 15, v7
	v_cmp_gt_i32_e32 vcc_lo, 16, v7
	v_and_b32_sdwa v1, v1, v114 dst_sel:DWORD dst_unused:UNUSED_PAD src0_sel:BYTE_3 src1_sel:DWORD
	v_lshlrev_b32_e32 v5, 3, v5
	v_cndmask_b32_e32 v4, 7, v4, vcc_lo
	v_and_b32_e32 v5, 0xf8, v5
	v_or_b32_e32 v6, v7, v4
	v_and_b32_e32 v4, 7, v4
	v_cmp_ne_u32_e32 vcc_lo, 0, v6
	v_or3_b32 v1, v5, v1, v4
	v_cndmask_b32_e32 v105, 0, v1, vcc_lo
.LBB6_1253:                             ;   in Loop: Header=BB6_130 Depth=2
	s_or_b32 exec_lo, exec_lo, s41
.LBB6_1254:                             ;   in Loop: Header=BB6_130 Depth=2
	s_or_b32 exec_lo, exec_lo, s40
	v_cmp_gt_i16_sdwa s13, v0, v113 src0_sel:BYTE_3 src1_sel:DWORD
	s_mov_b32 s40, 0
	s_and_saveexec_b32 s41, s13
	s_xor_b32 s13, exec_lo, s41
	s_cbranch_execz .LBB6_2484
; %bb.1255:                             ;   in Loop: Header=BB6_130 Depth=2
	v_cmp_eq_u16_sdwa s42, v0, v114 src0_sel:BYTE_3 src1_sel:DWORD
	s_mov_b32 s40, -1
	s_and_saveexec_b32 s41, s42
; %bb.1256:                             ;   in Loop: Header=BB6_130 Depth=2
	s_xor_b32 s40, exec_lo, -1
; %bb.1257:                             ;   in Loop: Header=BB6_130 Depth=2
	s_or_b32 exec_lo, exec_lo, s41
	s_and_b32 s40, s40, exec_lo
	s_or_saveexec_b32 s13, s13
	v_mov_b32_e32 v1, 0x7f800001
	s_xor_b32 exec_lo, exec_lo, s13
	s_cbranch_execnz .LBB6_2485
.LBB6_1258:                             ;   in Loop: Header=BB6_130 Depth=2
	s_or_b32 exec_lo, exec_lo, s13
	s_and_saveexec_b32 s13, s40
	s_cbranch_execz .LBB6_1260
.LBB6_1259:                             ;   in Loop: Header=BB6_130 Depth=2
	v_bfe_u32 v1, v0, 24, 3
	v_bfe_u32 v6, v0, 27, 4
	v_ffbh_u32_e32 v4, v1
	v_cmp_eq_u32_e32 vcc_lo, 0, v6
	v_min_u32_e32 v4, 32, v4
	v_subrev_nc_u32_e32 v5, 28, v4
	v_sub_nc_u32_e32 v4, 29, v4
	v_lshlrev_b32_sdwa v5, v5, v0 dst_sel:DWORD dst_unused:UNUSED_PAD src0_sel:DWORD src1_sel:BYTE_3
	v_cndmask_b32_e32 v4, v6, v4, vcc_lo
	v_and_b32_e32 v0, 0x80000000, v0
	v_and_b32_e32 v5, 7, v5
	v_lshl_add_u32 v4, v4, 23, 0x3b800000
	v_cndmask_b32_e32 v1, v1, v5, vcc_lo
	v_lshlrev_b32_e32 v1, 20, v1
	v_or3_b32 v1, v0, v4, v1
.LBB6_1260:                             ;   in Loop: Header=BB6_130 Depth=2
	s_or_b32 exec_lo, exec_lo, s13
	v_cmp_gt_i16_sdwa s13, v24, v113 src0_sel:BYTE_3 src1_sel:DWORD
	s_mov_b32 s40, 0
	s_and_saveexec_b32 s41, s13
	s_xor_b32 s13, exec_lo, s41
	s_cbranch_execz .LBB6_2486
; %bb.1261:                             ;   in Loop: Header=BB6_130 Depth=2
	v_cmp_eq_u16_sdwa s42, v24, v114 src0_sel:BYTE_3 src1_sel:DWORD
	s_mov_b32 s40, -1
	s_and_saveexec_b32 s41, s42
; %bb.1262:                             ;   in Loop: Header=BB6_130 Depth=2
	s_xor_b32 s40, exec_lo, -1
; %bb.1263:                             ;   in Loop: Header=BB6_130 Depth=2
	s_or_b32 exec_lo, exec_lo, s41
	s_and_b32 s40, s40, exec_lo
	s_or_saveexec_b32 s13, s13
	v_mov_b32_e32 v0, 0x7f800001
	s_xor_b32 exec_lo, exec_lo, s13
	s_cbranch_execnz .LBB6_2487
.LBB6_1264:                             ;   in Loop: Header=BB6_130 Depth=2
	s_or_b32 exec_lo, exec_lo, s13
	s_and_saveexec_b32 s13, s40
	s_cbranch_execz .LBB6_1266
.LBB6_1265:                             ;   in Loop: Header=BB6_130 Depth=2
	v_bfe_u32 v0, v24, 24, 3
	v_bfe_u32 v6, v24, 27, 4
	v_ffbh_u32_e32 v4, v0
	v_cmp_eq_u32_e32 vcc_lo, 0, v6
	v_min_u32_e32 v4, 32, v4
	v_subrev_nc_u32_e32 v5, 28, v4
	v_sub_nc_u32_e32 v4, 29, v4
	v_lshlrev_b32_sdwa v5, v5, v24 dst_sel:DWORD dst_unused:UNUSED_PAD src0_sel:DWORD src1_sel:BYTE_3
	v_cndmask_b32_e32 v4, v6, v4, vcc_lo
	v_and_b32_e32 v5, 7, v5
	v_lshl_add_u32 v4, v4, 23, 0x3b800000
	v_cndmask_b32_e32 v0, v0, v5, vcc_lo
	v_and_b32_e32 v5, 0x80000000, v24
	v_lshlrev_b32_e32 v0, 20, v0
	v_or3_b32 v0, v5, v4, v0
.LBB6_1266:                             ;   in Loop: Header=BB6_130 Depth=2
	s_or_b32 exec_lo, exec_lo, s13
	v_add_f32_e32 v0, v1, v0
	v_mov_b32_e32 v24, 0x8000
	s_mov_b32 s40, exec_lo
	v_and_b32_e32 v1, 0x7f800000, v0
	v_cmpx_ne_u32_e32 0x7f800000, v1
	s_cbranch_execz .LBB6_1274
; %bb.1267:                             ;   in Loop: Header=BB6_130 Depth=2
	v_mov_b32_e32 v24, 0
	s_mov_b32 s41, exec_lo
	v_cmpx_ne_u32_e32 0, v0
	s_cbranch_execz .LBB6_1273
; %bb.1268:                             ;   in Loop: Header=BB6_130 Depth=2
	v_bfe_u32 v4, v0, 23, 8
	v_and_b32_e32 v1, 0x7fffff, v0
	v_cmp_gt_u32_e64 s13, 0x79, v4
	v_sub_nc_u32_e32 v5, 0x78, v4
	v_cmp_eq_u32_e32 vcc_lo, 0, v4
	v_or_b32_e32 v6, 0x800000, v1
	v_cndmask_b32_e64 v5, 0, v5, s13
	v_cndmask_b32_e32 v1, v6, v1, vcc_lo
	v_cndmask_b32_e64 v5, v5, 0x77, vcc_lo
	v_lshl_add_u32 v6, 0x100000, v5, -1
	v_lshlrev_b32_e64 v7, v5, 0x80000
	v_and_b32_e32 v6, v6, v1
	v_cmp_eq_u32_e64 s13, v6, v7
	v_lshrrev_b32_e32 v6, v5, v1
	v_add_nc_u32_e32 v1, 0xffffff89, v4
	v_lshrrev_b32_e32 v4, 23, v6
	v_cndmask_b32_e64 v1, v1, 0xffffff8a, vcc_lo
	v_xor_b32_e32 v4, 1, v4
	v_add_nc_u32_e32 v1, v5, v1
	v_bfe_u32 v5, v6, 20, 1
	v_add_nc_u32_e32 v5, -1, v5
	v_cndmask_b32_e64 v5, 0, v5, s13
	s_mov_b32 s13, exec_lo
	v_add_nc_u32_e32 v5, v5, v6
	v_and_b32_e32 v5, 0xfffff, v5
	v_add_nc_u32_e32 v5, v5, v6
                                        ; implicit-def: $vgpr6
	v_cmpx_ne_u32_e64 v1, v4
	s_xor_b32 s13, exec_lo, s13
; %bb.1269:                             ;   in Loop: Header=BB6_130 Depth=2
	v_cmp_lt_u32_e32 vcc_lo, 0xffffff, v5
	v_sub_nc_u32_e32 v1, v1, v4
	v_cndmask_b32_e64 v4, 0, 1, vcc_lo
	v_add_co_ci_u32_e64 v6, null, 0, v1, vcc_lo
	v_lshrrev_b32_e32 v5, v4, v5
; %bb.1270:                             ;   in Loop: Header=BB6_130 Depth=2
	s_andn2_saveexec_b32 s13, s13
; %bb.1271:                             ;   in Loop: Header=BB6_130 Depth=2
	v_bfe_u32 v6, v5, 23, 1
; %bb.1272:                             ;   in Loop: Header=BB6_130 Depth=2
	s_or_b32 exec_lo, exec_lo, s13
	v_lshrrev_b32_e32 v1, 20, v5
	v_min_i32_e32 v4, 15, v6
	v_cmp_gt_i32_e32 vcc_lo, 16, v6
	v_and_b32_sdwa v0, v0, v114 dst_sel:DWORD dst_unused:UNUSED_PAD src0_sel:BYTE_3 src1_sel:DWORD
	v_lshlrev_b32_e32 v4, 3, v4
	v_cndmask_b32_e32 v1, 7, v1, vcc_lo
	v_and_b32_e32 v4, 0xf8, v4
	v_or_b32_e32 v5, v6, v1
	v_and_b32_e32 v1, 7, v1
	v_cmp_ne_u32_e32 vcc_lo, 0, v5
	v_or3_b32 v0, v0, v4, v1
	v_lshlrev_b32_e32 v0, 8, v0
	v_cndmask_b32_e32 v24, 0, v0, vcc_lo
.LBB6_1273:                             ;   in Loop: Header=BB6_130 Depth=2
	s_or_b32 exec_lo, exec_lo, s41
.LBB6_1274:                             ;   in Loop: Header=BB6_130 Depth=2
	s_or_b32 exec_lo, exec_lo, s40
	v_or_b32_e32 v0, v110, v51
	s_mov_b32 s40, 0
	v_cmp_gt_i16_sdwa s13, v0, v113 src0_sel:BYTE_0 src1_sel:DWORD
	s_and_saveexec_b32 s41, s13
	s_xor_b32 s13, exec_lo, s41
	s_cbranch_execz .LBB6_2488
; %bb.1275:                             ;   in Loop: Header=BB6_130 Depth=2
	v_cmp_eq_u16_sdwa s42, v0, v114 src0_sel:BYTE_0 src1_sel:DWORD
	s_mov_b32 s40, -1
	s_and_saveexec_b32 s41, s42
; %bb.1276:                             ;   in Loop: Header=BB6_130 Depth=2
	s_xor_b32 s40, exec_lo, -1
; %bb.1277:                             ;   in Loop: Header=BB6_130 Depth=2
	s_or_b32 exec_lo, exec_lo, s41
	s_and_b32 s40, s40, exec_lo
	s_or_saveexec_b32 s13, s13
	v_mov_b32_e32 v1, 0x7f800001
	s_xor_b32 exec_lo, exec_lo, s13
	s_cbranch_execnz .LBB6_2489
.LBB6_1278:                             ;   in Loop: Header=BB6_130 Depth=2
	s_or_b32 exec_lo, exec_lo, s13
	s_and_saveexec_b32 s13, s40
	s_cbranch_execz .LBB6_1280
.LBB6_1279:                             ;   in Loop: Header=BB6_130 Depth=2
	v_and_b32_e32 v1, 7, v0
	v_bfe_u32 v4, v0, 3, 4
	v_ffbh_u32_e32 v5, v1
	v_cmp_eq_u32_e32 vcc_lo, 0, v4
	v_min_u32_e32 v5, 32, v5
	v_subrev_nc_u32_e32 v6, 28, v5
	v_sub_nc_u32_e32 v5, 29, v5
	v_lshlrev_b32_e32 v6, v6, v0
	v_cndmask_b32_e32 v4, v4, v5, vcc_lo
	v_lshlrev_b32_e32 v5, 24, v0
	v_and_b32_e32 v6, 7, v6
	v_lshl_add_u32 v4, v4, 23, 0x3b800000
	v_and_b32_e32 v5, 0x80000000, v5
	v_cndmask_b32_e32 v1, v1, v6, vcc_lo
	v_lshlrev_b32_e32 v1, 20, v1
	v_or3_b32 v1, v5, v4, v1
.LBB6_1280:                             ;   in Loop: Header=BB6_130 Depth=2
	s_or_b32 exec_lo, exec_lo, s13
	v_cmp_gt_i16_sdwa s13, v25, v113 src0_sel:BYTE_0 src1_sel:DWORD
	s_mov_b32 s40, 0
	s_and_saveexec_b32 s41, s13
	s_xor_b32 s13, exec_lo, s41
	s_cbranch_execz .LBB6_2490
; %bb.1281:                             ;   in Loop: Header=BB6_130 Depth=2
	v_cmp_eq_u16_sdwa s42, v25, v114 src0_sel:BYTE_0 src1_sel:DWORD
	s_mov_b32 s40, -1
	s_and_saveexec_b32 s41, s42
; %bb.1282:                             ;   in Loop: Header=BB6_130 Depth=2
	s_xor_b32 s40, exec_lo, -1
; %bb.1283:                             ;   in Loop: Header=BB6_130 Depth=2
	s_or_b32 exec_lo, exec_lo, s41
	s_and_b32 s40, s40, exec_lo
	s_or_saveexec_b32 s13, s13
	v_mov_b32_e32 v4, 0x7f800001
	s_xor_b32 exec_lo, exec_lo, s13
	s_cbranch_execnz .LBB6_2491
.LBB6_1284:                             ;   in Loop: Header=BB6_130 Depth=2
	s_or_b32 exec_lo, exec_lo, s13
	s_and_saveexec_b32 s13, s40
	s_cbranch_execz .LBB6_1286
.LBB6_1285:                             ;   in Loop: Header=BB6_130 Depth=2
	v_and_b32_e32 v4, 7, v25
	v_bfe_u32 v5, v25, 3, 4
	v_ffbh_u32_e32 v6, v4
	v_cmp_eq_u32_e32 vcc_lo, 0, v5
	v_min_u32_e32 v6, 32, v6
	v_subrev_nc_u32_e32 v7, 28, v6
	v_sub_nc_u32_e32 v6, 29, v6
	v_lshlrev_b32_e32 v7, v7, v25
	v_cndmask_b32_e32 v5, v5, v6, vcc_lo
	v_lshlrev_b32_e32 v6, 24, v25
	v_and_b32_e32 v7, 7, v7
	v_lshl_add_u32 v5, v5, 23, 0x3b800000
	v_and_b32_e32 v6, 0x80000000, v6
	v_cndmask_b32_e32 v4, v4, v7, vcc_lo
	v_lshlrev_b32_e32 v4, 20, v4
	v_or3_b32 v4, v6, v5, v4
.LBB6_1286:                             ;   in Loop: Header=BB6_130 Depth=2
	s_or_b32 exec_lo, exec_lo, s13
	v_add_f32_e32 v1, v1, v4
	v_mov_b32_e32 v110, 0x80
	s_mov_b32 s40, exec_lo
	v_and_b32_e32 v4, 0x7f800000, v1
	v_cmpx_ne_u32_e32 0x7f800000, v4
	s_cbranch_execz .LBB6_1294
; %bb.1287:                             ;   in Loop: Header=BB6_130 Depth=2
	v_mov_b32_e32 v110, 0
	s_mov_b32 s41, exec_lo
	v_cmpx_ne_u32_e32 0, v1
	s_cbranch_execz .LBB6_1293
; %bb.1288:                             ;   in Loop: Header=BB6_130 Depth=2
	v_bfe_u32 v5, v1, 23, 8
	v_and_b32_e32 v4, 0x7fffff, v1
	v_cmp_gt_u32_e64 s13, 0x79, v5
	v_sub_nc_u32_e32 v6, 0x78, v5
	v_cmp_eq_u32_e32 vcc_lo, 0, v5
	v_or_b32_e32 v7, 0x800000, v4
	v_cndmask_b32_e64 v6, 0, v6, s13
	v_cndmask_b32_e32 v4, v7, v4, vcc_lo
	v_cndmask_b32_e64 v6, v6, 0x77, vcc_lo
	v_lshl_add_u32 v7, 0x100000, v6, -1
	v_lshlrev_b32_e64 v8, v6, 0x80000
	v_and_b32_e32 v7, v7, v4
	v_cmp_eq_u32_e64 s13, v7, v8
	v_lshrrev_b32_e32 v7, v6, v4
	v_add_nc_u32_e32 v4, 0xffffff89, v5
	v_lshrrev_b32_e32 v5, 23, v7
	v_cndmask_b32_e64 v4, v4, 0xffffff8a, vcc_lo
	v_xor_b32_e32 v5, 1, v5
	v_add_nc_u32_e32 v4, v6, v4
	v_bfe_u32 v6, v7, 20, 1
	v_add_nc_u32_e32 v6, -1, v6
	v_cndmask_b32_e64 v6, 0, v6, s13
	s_mov_b32 s13, exec_lo
	v_add_nc_u32_e32 v6, v6, v7
	v_and_b32_e32 v6, 0xfffff, v6
	v_add_nc_u32_e32 v6, v6, v7
                                        ; implicit-def: $vgpr7
	v_cmpx_ne_u32_e64 v4, v5
	s_xor_b32 s13, exec_lo, s13
; %bb.1289:                             ;   in Loop: Header=BB6_130 Depth=2
	v_cmp_lt_u32_e32 vcc_lo, 0xffffff, v6
	v_sub_nc_u32_e32 v4, v4, v5
	v_cndmask_b32_e64 v5, 0, 1, vcc_lo
	v_add_co_ci_u32_e64 v7, null, 0, v4, vcc_lo
	v_lshrrev_b32_e32 v6, v5, v6
; %bb.1290:                             ;   in Loop: Header=BB6_130 Depth=2
	s_andn2_saveexec_b32 s13, s13
; %bb.1291:                             ;   in Loop: Header=BB6_130 Depth=2
	v_bfe_u32 v7, v6, 23, 1
; %bb.1292:                             ;   in Loop: Header=BB6_130 Depth=2
	s_or_b32 exec_lo, exec_lo, s13
	v_lshrrev_b32_e32 v4, 20, v6
	v_min_i32_e32 v5, 15, v7
	v_cmp_gt_i32_e32 vcc_lo, 16, v7
	v_and_b32_sdwa v1, v1, v114 dst_sel:DWORD dst_unused:UNUSED_PAD src0_sel:BYTE_3 src1_sel:DWORD
	v_lshlrev_b32_e32 v5, 3, v5
	v_cndmask_b32_e32 v4, 7, v4, vcc_lo
	v_and_b32_e32 v5, 0xf8, v5
	v_or_b32_e32 v6, v7, v4
	v_and_b32_e32 v4, 7, v4
	v_cmp_ne_u32_e32 vcc_lo, 0, v6
	v_or3_b32 v1, v5, v1, v4
	v_cndmask_b32_e32 v110, 0, v1, vcc_lo
.LBB6_1293:                             ;   in Loop: Header=BB6_130 Depth=2
	s_or_b32 exec_lo, exec_lo, s41
.LBB6_1294:                             ;   in Loop: Header=BB6_130 Depth=2
	s_or_b32 exec_lo, exec_lo, s40
	v_cmp_gt_i16_sdwa s13, v0, v113 src0_sel:BYTE_1 src1_sel:DWORD
	s_mov_b32 s40, 0
	s_and_saveexec_b32 s41, s13
	s_xor_b32 s13, exec_lo, s41
	s_cbranch_execz .LBB6_2492
; %bb.1295:                             ;   in Loop: Header=BB6_130 Depth=2
	v_cmp_eq_u16_sdwa s42, v0, v114 src0_sel:BYTE_1 src1_sel:DWORD
	s_mov_b32 s40, -1
	s_and_saveexec_b32 s41, s42
; %bb.1296:                             ;   in Loop: Header=BB6_130 Depth=2
	s_xor_b32 s40, exec_lo, -1
; %bb.1297:                             ;   in Loop: Header=BB6_130 Depth=2
	s_or_b32 exec_lo, exec_lo, s41
	s_and_b32 s40, s40, exec_lo
	s_or_saveexec_b32 s13, s13
	v_mov_b32_e32 v1, 0x7f800001
	s_xor_b32 exec_lo, exec_lo, s13
	s_cbranch_execnz .LBB6_2493
.LBB6_1298:                             ;   in Loop: Header=BB6_130 Depth=2
	s_or_b32 exec_lo, exec_lo, s13
	s_and_saveexec_b32 s13, s40
	s_cbranch_execz .LBB6_1300
.LBB6_1299:                             ;   in Loop: Header=BB6_130 Depth=2
	v_and_b32_sdwa v1, v115, v0 dst_sel:DWORD dst_unused:UNUSED_PAD src0_sel:DWORD src1_sel:BYTE_1
	v_and_b32_e32 v4, 7, v1
	v_bfe_u32 v7, v1, 3, 4
	v_ffbh_u32_e32 v5, v4
	v_cmp_eq_u32_e32 vcc_lo, 0, v7
	v_min_u32_e32 v5, 32, v5
	v_subrev_nc_u32_e32 v6, 28, v5
	v_sub_nc_u32_e32 v5, 29, v5
	v_lshlrev_b32_e32 v1, v6, v1
	v_lshlrev_b32_sdwa v6, v116, v0 dst_sel:DWORD dst_unused:UNUSED_PAD src0_sel:DWORD src1_sel:BYTE_1
	v_cndmask_b32_e32 v5, v7, v5, vcc_lo
	v_and_b32_e32 v1, 7, v1
	v_lshl_add_u32 v5, v5, 23, 0x3b800000
	v_cndmask_b32_e32 v1, v4, v1, vcc_lo
	v_and_b32_e32 v4, 0x80000000, v6
	v_lshlrev_b32_e32 v1, 20, v1
	v_or3_b32 v1, v4, v5, v1
.LBB6_1300:                             ;   in Loop: Header=BB6_130 Depth=2
	s_or_b32 exec_lo, exec_lo, s13
	v_cmp_gt_i16_sdwa s13, v25, v113 src0_sel:BYTE_1 src1_sel:DWORD
	s_mov_b32 s40, 0
	s_and_saveexec_b32 s41, s13
	s_xor_b32 s13, exec_lo, s41
	s_cbranch_execz .LBB6_2494
; %bb.1301:                             ;   in Loop: Header=BB6_130 Depth=2
	v_cmp_eq_u16_sdwa s42, v25, v114 src0_sel:BYTE_1 src1_sel:DWORD
	s_mov_b32 s40, -1
	s_and_saveexec_b32 s41, s42
; %bb.1302:                             ;   in Loop: Header=BB6_130 Depth=2
	s_xor_b32 s40, exec_lo, -1
; %bb.1303:                             ;   in Loop: Header=BB6_130 Depth=2
	s_or_b32 exec_lo, exec_lo, s41
	s_and_b32 s40, s40, exec_lo
	s_or_saveexec_b32 s13, s13
	v_mov_b32_e32 v4, 0x7f800001
	s_xor_b32 exec_lo, exec_lo, s13
	s_cbranch_execnz .LBB6_2495
.LBB6_1304:                             ;   in Loop: Header=BB6_130 Depth=2
	s_or_b32 exec_lo, exec_lo, s13
	s_and_saveexec_b32 s13, s40
	s_cbranch_execz .LBB6_1306
.LBB6_1305:                             ;   in Loop: Header=BB6_130 Depth=2
	v_and_b32_sdwa v4, v115, v25 dst_sel:DWORD dst_unused:UNUSED_PAD src0_sel:DWORD src1_sel:BYTE_1
	v_and_b32_e32 v5, 7, v4
	v_bfe_u32 v8, v4, 3, 4
	v_ffbh_u32_e32 v6, v5
	v_cmp_eq_u32_e32 vcc_lo, 0, v8
	v_min_u32_e32 v6, 32, v6
	v_subrev_nc_u32_e32 v7, 28, v6
	v_sub_nc_u32_e32 v6, 29, v6
	v_lshlrev_b32_e32 v4, v7, v4
	v_lshlrev_b32_sdwa v7, v116, v25 dst_sel:DWORD dst_unused:UNUSED_PAD src0_sel:DWORD src1_sel:BYTE_1
	v_cndmask_b32_e32 v6, v8, v6, vcc_lo
	v_and_b32_e32 v4, 7, v4
	v_lshl_add_u32 v6, v6, 23, 0x3b800000
	v_cndmask_b32_e32 v4, v5, v4, vcc_lo
	v_and_b32_e32 v5, 0x80000000, v7
	v_lshlrev_b32_e32 v4, 20, v4
	v_or3_b32 v4, v5, v6, v4
.LBB6_1306:                             ;   in Loop: Header=BB6_130 Depth=2
	s_or_b32 exec_lo, exec_lo, s13
	v_add_f32_e32 v1, v1, v4
	v_mov_b32_e32 v121, 0x8000
	s_mov_b32 s40, exec_lo
	v_and_b32_e32 v4, 0x7f800000, v1
	v_cmpx_ne_u32_e32 0x7f800000, v4
	s_cbranch_execz .LBB6_1314
; %bb.1307:                             ;   in Loop: Header=BB6_130 Depth=2
	v_mov_b32_e32 v121, 0
	s_mov_b32 s41, exec_lo
	v_cmpx_ne_u32_e32 0, v1
	s_cbranch_execz .LBB6_1313
; %bb.1308:                             ;   in Loop: Header=BB6_130 Depth=2
	v_bfe_u32 v5, v1, 23, 8
	v_and_b32_e32 v4, 0x7fffff, v1
	v_cmp_gt_u32_e64 s13, 0x79, v5
	v_sub_nc_u32_e32 v6, 0x78, v5
	v_cmp_eq_u32_e32 vcc_lo, 0, v5
	v_or_b32_e32 v7, 0x800000, v4
	v_cndmask_b32_e64 v6, 0, v6, s13
	v_cndmask_b32_e32 v4, v7, v4, vcc_lo
	v_cndmask_b32_e64 v6, v6, 0x77, vcc_lo
	v_lshl_add_u32 v7, 0x100000, v6, -1
	v_lshlrev_b32_e64 v8, v6, 0x80000
	v_and_b32_e32 v7, v7, v4
	v_cmp_eq_u32_e64 s13, v7, v8
	v_lshrrev_b32_e32 v7, v6, v4
	v_add_nc_u32_e32 v4, 0xffffff89, v5
	v_lshrrev_b32_e32 v5, 23, v7
	v_cndmask_b32_e64 v4, v4, 0xffffff8a, vcc_lo
	v_xor_b32_e32 v5, 1, v5
	v_add_nc_u32_e32 v4, v6, v4
	v_bfe_u32 v6, v7, 20, 1
	v_add_nc_u32_e32 v6, -1, v6
	v_cndmask_b32_e64 v6, 0, v6, s13
	s_mov_b32 s13, exec_lo
	v_add_nc_u32_e32 v6, v6, v7
	v_and_b32_e32 v6, 0xfffff, v6
	v_add_nc_u32_e32 v6, v6, v7
                                        ; implicit-def: $vgpr7
	v_cmpx_ne_u32_e64 v4, v5
	s_xor_b32 s13, exec_lo, s13
; %bb.1309:                             ;   in Loop: Header=BB6_130 Depth=2
	v_cmp_lt_u32_e32 vcc_lo, 0xffffff, v6
	v_sub_nc_u32_e32 v4, v4, v5
	v_cndmask_b32_e64 v5, 0, 1, vcc_lo
	v_add_co_ci_u32_e64 v7, null, 0, v4, vcc_lo
	v_lshrrev_b32_e32 v6, v5, v6
; %bb.1310:                             ;   in Loop: Header=BB6_130 Depth=2
	s_andn2_saveexec_b32 s13, s13
; %bb.1311:                             ;   in Loop: Header=BB6_130 Depth=2
	v_bfe_u32 v7, v6, 23, 1
; %bb.1312:                             ;   in Loop: Header=BB6_130 Depth=2
	s_or_b32 exec_lo, exec_lo, s13
	v_lshrrev_b32_e32 v4, 20, v6
	v_min_i32_e32 v5, 15, v7
	v_cmp_gt_i32_e32 vcc_lo, 16, v7
	v_and_b32_sdwa v1, v1, v114 dst_sel:DWORD dst_unused:UNUSED_PAD src0_sel:BYTE_3 src1_sel:DWORD
	v_lshlrev_b32_e32 v5, 3, v5
	v_cndmask_b32_e32 v4, 7, v4, vcc_lo
	v_and_b32_e32 v5, 0xf8, v5
	v_or_b32_e32 v6, v7, v4
	v_and_b32_e32 v4, 7, v4
	v_cmp_ne_u32_e32 vcc_lo, 0, v6
	v_or3_b32 v1, v1, v5, v4
	v_lshlrev_b32_e32 v1, 8, v1
	v_cndmask_b32_e32 v121, 0, v1, vcc_lo
.LBB6_1313:                             ;   in Loop: Header=BB6_130 Depth=2
	s_or_b32 exec_lo, exec_lo, s41
.LBB6_1314:                             ;   in Loop: Header=BB6_130 Depth=2
	s_or_b32 exec_lo, exec_lo, s40
	v_or_b32_e32 v4, v50, v124
	s_mov_b32 s40, 0
	v_cmp_gt_i16_sdwa s13, v4, v113 src0_sel:BYTE_0 src1_sel:DWORD
	s_and_saveexec_b32 s41, s13
	s_xor_b32 s13, exec_lo, s41
	s_cbranch_execz .LBB6_2496
; %bb.1315:                             ;   in Loop: Header=BB6_130 Depth=2
	v_cmp_eq_u16_sdwa s42, v4, v114 src0_sel:BYTE_0 src1_sel:DWORD
	s_mov_b32 s40, -1
	s_and_saveexec_b32 s41, s42
; %bb.1316:                             ;   in Loop: Header=BB6_130 Depth=2
	s_xor_b32 s40, exec_lo, -1
; %bb.1317:                             ;   in Loop: Header=BB6_130 Depth=2
	s_or_b32 exec_lo, exec_lo, s41
	s_and_b32 s40, s40, exec_lo
	s_or_saveexec_b32 s13, s13
	v_mov_b32_e32 v1, 0x7f800001
	s_xor_b32 exec_lo, exec_lo, s13
	s_cbranch_execnz .LBB6_2497
.LBB6_1318:                             ;   in Loop: Header=BB6_130 Depth=2
	s_or_b32 exec_lo, exec_lo, s13
	v_lshl_or_b32 v0, v4, 16, v0
	s_and_saveexec_b32 s13, s40
	s_cbranch_execz .LBB6_1320
.LBB6_1319:                             ;   in Loop: Header=BB6_130 Depth=2
	v_bfe_u32 v1, v0, 16, 3
	v_bfe_u32 v4, v0, 19, 4
	v_ffbh_u32_e32 v5, v1
	v_cmp_eq_u32_e32 vcc_lo, 0, v4
	v_min_u32_e32 v5, 32, v5
	v_subrev_nc_u32_e32 v6, 28, v5
	v_sub_nc_u32_e32 v5, 29, v5
	v_lshlrev_b32_sdwa v6, v6, v0 dst_sel:DWORD dst_unused:UNUSED_PAD src0_sel:DWORD src1_sel:WORD_1
	v_cndmask_b32_e32 v4, v4, v5, vcc_lo
	v_lshlrev_b32_e32 v5, 8, v0
	v_and_b32_e32 v6, 7, v6
	v_lshl_add_u32 v4, v4, 23, 0x3b800000
	v_and_b32_e32 v5, 0x80000000, v5
	v_cndmask_b32_e32 v1, v1, v6, vcc_lo
	v_lshlrev_b32_e32 v1, 20, v1
	v_or3_b32 v1, v5, v4, v1
.LBB6_1320:                             ;   in Loop: Header=BB6_130 Depth=2
	s_or_b32 exec_lo, exec_lo, s13
	v_and_b32_sdwa v5, v25, v117 dst_sel:DWORD dst_unused:UNUSED_PAD src0_sel:WORD_1 src1_sel:DWORD
	s_mov_b32 s40, 0
	s_mov_b32 s13, exec_lo
	v_cmpx_lt_i16_e32 0x7f, v5
	s_xor_b32 s13, exec_lo, s13
	s_cbranch_execz .LBB6_2498
; %bb.1321:                             ;   in Loop: Header=BB6_130 Depth=2
	s_mov_b32 s40, -1
	s_mov_b32 s41, exec_lo
	v_cmpx_eq_u16_e32 0x80, v5
; %bb.1322:                             ;   in Loop: Header=BB6_130 Depth=2
	s_xor_b32 s40, exec_lo, -1
; %bb.1323:                             ;   in Loop: Header=BB6_130 Depth=2
	s_or_b32 exec_lo, exec_lo, s41
	s_and_b32 s40, s40, exec_lo
                                        ; implicit-def: $vgpr5
	s_or_saveexec_b32 s13, s13
	v_mov_b32_e32 v4, 0x7f800001
	s_xor_b32 exec_lo, exec_lo, s13
	s_cbranch_execnz .LBB6_2499
.LBB6_1324:                             ;   in Loop: Header=BB6_130 Depth=2
	s_or_b32 exec_lo, exec_lo, s13
	s_and_saveexec_b32 s13, s40
	s_cbranch_execz .LBB6_1326
.LBB6_1325:                             ;   in Loop: Header=BB6_130 Depth=2
	v_bfe_u32 v4, v25, 16, 3
	v_bfe_u32 v5, v25, 19, 4
	v_ffbh_u32_e32 v6, v4
	v_cmp_eq_u32_e32 vcc_lo, 0, v5
	v_min_u32_e32 v6, 32, v6
	v_subrev_nc_u32_e32 v7, 28, v6
	v_sub_nc_u32_e32 v6, 29, v6
	v_lshlrev_b32_sdwa v7, v7, v25 dst_sel:DWORD dst_unused:UNUSED_PAD src0_sel:DWORD src1_sel:WORD_1
	v_cndmask_b32_e32 v5, v5, v6, vcc_lo
	v_lshlrev_b32_e32 v6, 8, v25
	v_and_b32_e32 v7, 7, v7
	v_lshl_add_u32 v5, v5, 23, 0x3b800000
	v_and_b32_e32 v6, 0x80000000, v6
	v_cndmask_b32_e32 v4, v4, v7, vcc_lo
	v_lshlrev_b32_e32 v4, 20, v4
	v_or3_b32 v4, v6, v5, v4
.LBB6_1326:                             ;   in Loop: Header=BB6_130 Depth=2
	s_or_b32 exec_lo, exec_lo, s13
	v_add_f32_e32 v1, v1, v4
	v_mov_b32_e32 v124, 0x80
	s_mov_b32 s40, exec_lo
	v_and_b32_e32 v4, 0x7f800000, v1
	v_cmpx_ne_u32_e32 0x7f800000, v4
	s_cbranch_execz .LBB6_1334
; %bb.1327:                             ;   in Loop: Header=BB6_130 Depth=2
	v_mov_b32_e32 v124, 0
	s_mov_b32 s41, exec_lo
	v_cmpx_ne_u32_e32 0, v1
	s_cbranch_execz .LBB6_1333
; %bb.1328:                             ;   in Loop: Header=BB6_130 Depth=2
	v_bfe_u32 v5, v1, 23, 8
	v_and_b32_e32 v4, 0x7fffff, v1
	v_cmp_gt_u32_e64 s13, 0x79, v5
	v_sub_nc_u32_e32 v6, 0x78, v5
	v_cmp_eq_u32_e32 vcc_lo, 0, v5
	v_or_b32_e32 v7, 0x800000, v4
	v_cndmask_b32_e64 v6, 0, v6, s13
	v_cndmask_b32_e32 v4, v7, v4, vcc_lo
	v_cndmask_b32_e64 v6, v6, 0x77, vcc_lo
	v_lshl_add_u32 v7, 0x100000, v6, -1
	v_lshlrev_b32_e64 v8, v6, 0x80000
	v_and_b32_e32 v7, v7, v4
	v_cmp_eq_u32_e64 s13, v7, v8
	v_lshrrev_b32_e32 v7, v6, v4
	v_add_nc_u32_e32 v4, 0xffffff89, v5
	v_lshrrev_b32_e32 v5, 23, v7
	v_cndmask_b32_e64 v4, v4, 0xffffff8a, vcc_lo
	v_xor_b32_e32 v5, 1, v5
	v_add_nc_u32_e32 v4, v6, v4
	v_bfe_u32 v6, v7, 20, 1
	v_add_nc_u32_e32 v6, -1, v6
	v_cndmask_b32_e64 v6, 0, v6, s13
	s_mov_b32 s13, exec_lo
	v_add_nc_u32_e32 v6, v6, v7
	v_and_b32_e32 v6, 0xfffff, v6
	v_add_nc_u32_e32 v6, v6, v7
                                        ; implicit-def: $vgpr7
	v_cmpx_ne_u32_e64 v4, v5
	s_xor_b32 s13, exec_lo, s13
; %bb.1329:                             ;   in Loop: Header=BB6_130 Depth=2
	v_cmp_lt_u32_e32 vcc_lo, 0xffffff, v6
	v_sub_nc_u32_e32 v4, v4, v5
	v_cndmask_b32_e64 v5, 0, 1, vcc_lo
	v_add_co_ci_u32_e64 v7, null, 0, v4, vcc_lo
	v_lshrrev_b32_e32 v6, v5, v6
; %bb.1330:                             ;   in Loop: Header=BB6_130 Depth=2
	s_andn2_saveexec_b32 s13, s13
; %bb.1331:                             ;   in Loop: Header=BB6_130 Depth=2
	v_bfe_u32 v7, v6, 23, 1
; %bb.1332:                             ;   in Loop: Header=BB6_130 Depth=2
	s_or_b32 exec_lo, exec_lo, s13
	v_lshrrev_b32_e32 v4, 20, v6
	v_min_i32_e32 v5, 15, v7
	v_cmp_gt_i32_e32 vcc_lo, 16, v7
	v_and_b32_sdwa v1, v1, v114 dst_sel:DWORD dst_unused:UNUSED_PAD src0_sel:BYTE_3 src1_sel:DWORD
	v_lshlrev_b32_e32 v5, 3, v5
	v_cndmask_b32_e32 v4, 7, v4, vcc_lo
	v_and_b32_e32 v5, 0xf8, v5
	v_or_b32_e32 v6, v7, v4
	v_and_b32_e32 v4, 7, v4
	v_cmp_ne_u32_e32 vcc_lo, 0, v6
	v_or3_b32 v1, v5, v1, v4
	v_cndmask_b32_e32 v124, 0, v1, vcc_lo
.LBB6_1333:                             ;   in Loop: Header=BB6_130 Depth=2
	s_or_b32 exec_lo, exec_lo, s41
.LBB6_1334:                             ;   in Loop: Header=BB6_130 Depth=2
	s_or_b32 exec_lo, exec_lo, s40
	v_cmp_gt_i16_sdwa s13, v0, v113 src0_sel:BYTE_3 src1_sel:DWORD
	s_mov_b32 s40, 0
	s_and_saveexec_b32 s41, s13
	s_xor_b32 s13, exec_lo, s41
	s_cbranch_execz .LBB6_2500
; %bb.1335:                             ;   in Loop: Header=BB6_130 Depth=2
	v_cmp_eq_u16_sdwa s42, v0, v114 src0_sel:BYTE_3 src1_sel:DWORD
	s_mov_b32 s40, -1
	s_and_saveexec_b32 s41, s42
; %bb.1336:                             ;   in Loop: Header=BB6_130 Depth=2
	s_xor_b32 s40, exec_lo, -1
; %bb.1337:                             ;   in Loop: Header=BB6_130 Depth=2
	s_or_b32 exec_lo, exec_lo, s41
	s_and_b32 s40, s40, exec_lo
	s_or_saveexec_b32 s13, s13
	v_mov_b32_e32 v1, 0x7f800001
	s_xor_b32 exec_lo, exec_lo, s13
	s_cbranch_execnz .LBB6_2501
.LBB6_1338:                             ;   in Loop: Header=BB6_130 Depth=2
	s_or_b32 exec_lo, exec_lo, s13
	s_and_saveexec_b32 s13, s40
	s_cbranch_execz .LBB6_1340
.LBB6_1339:                             ;   in Loop: Header=BB6_130 Depth=2
	v_bfe_u32 v1, v0, 24, 3
	v_bfe_u32 v6, v0, 27, 4
	v_ffbh_u32_e32 v4, v1
	v_cmp_eq_u32_e32 vcc_lo, 0, v6
	v_min_u32_e32 v4, 32, v4
	v_subrev_nc_u32_e32 v5, 28, v4
	v_sub_nc_u32_e32 v4, 29, v4
	v_lshlrev_b32_sdwa v5, v5, v0 dst_sel:DWORD dst_unused:UNUSED_PAD src0_sel:DWORD src1_sel:BYTE_3
	v_cndmask_b32_e32 v4, v6, v4, vcc_lo
	v_and_b32_e32 v0, 0x80000000, v0
	v_and_b32_e32 v5, 7, v5
	v_lshl_add_u32 v4, v4, 23, 0x3b800000
	v_cndmask_b32_e32 v1, v1, v5, vcc_lo
	v_lshlrev_b32_e32 v1, 20, v1
	v_or3_b32 v1, v0, v4, v1
.LBB6_1340:                             ;   in Loop: Header=BB6_130 Depth=2
	s_or_b32 exec_lo, exec_lo, s13
	v_cmp_gt_i16_sdwa s13, v25, v113 src0_sel:BYTE_3 src1_sel:DWORD
	s_mov_b32 s40, 0
	s_and_saveexec_b32 s41, s13
	s_xor_b32 s13, exec_lo, s41
	s_cbranch_execz .LBB6_2502
; %bb.1341:                             ;   in Loop: Header=BB6_130 Depth=2
	v_cmp_eq_u16_sdwa s42, v25, v114 src0_sel:BYTE_3 src1_sel:DWORD
	s_mov_b32 s40, -1
	s_and_saveexec_b32 s41, s42
; %bb.1342:                             ;   in Loop: Header=BB6_130 Depth=2
	s_xor_b32 s40, exec_lo, -1
; %bb.1343:                             ;   in Loop: Header=BB6_130 Depth=2
	s_or_b32 exec_lo, exec_lo, s41
	s_and_b32 s40, s40, exec_lo
	s_or_saveexec_b32 s13, s13
	v_mov_b32_e32 v0, 0x7f800001
	s_xor_b32 exec_lo, exec_lo, s13
	s_cbranch_execnz .LBB6_2503
.LBB6_1344:                             ;   in Loop: Header=BB6_130 Depth=2
	s_or_b32 exec_lo, exec_lo, s13
	s_and_saveexec_b32 s13, s40
	s_cbranch_execz .LBB6_1346
.LBB6_1345:                             ;   in Loop: Header=BB6_130 Depth=2
	v_bfe_u32 v0, v25, 24, 3
	v_bfe_u32 v6, v25, 27, 4
	v_ffbh_u32_e32 v4, v0
	v_cmp_eq_u32_e32 vcc_lo, 0, v6
	v_min_u32_e32 v4, 32, v4
	v_subrev_nc_u32_e32 v5, 28, v4
	v_sub_nc_u32_e32 v4, 29, v4
	v_lshlrev_b32_sdwa v5, v5, v25 dst_sel:DWORD dst_unused:UNUSED_PAD src0_sel:DWORD src1_sel:BYTE_3
	v_cndmask_b32_e32 v4, v6, v4, vcc_lo
	v_and_b32_e32 v5, 7, v5
	v_lshl_add_u32 v4, v4, 23, 0x3b800000
	v_cndmask_b32_e32 v0, v0, v5, vcc_lo
	v_and_b32_e32 v5, 0x80000000, v25
	v_lshlrev_b32_e32 v0, 20, v0
	v_or3_b32 v0, v5, v4, v0
.LBB6_1346:                             ;   in Loop: Header=BB6_130 Depth=2
	s_or_b32 exec_lo, exec_lo, s13
	v_add_f32_e32 v0, v1, v0
	v_mov_b32_e32 v25, 0x8000
	s_mov_b32 s40, exec_lo
	v_and_b32_e32 v1, 0x7f800000, v0
	v_cmpx_ne_u32_e32 0x7f800000, v1
	s_cbranch_execz .LBB6_1354
; %bb.1347:                             ;   in Loop: Header=BB6_130 Depth=2
	v_mov_b32_e32 v25, 0
	s_mov_b32 s41, exec_lo
	v_cmpx_ne_u32_e32 0, v0
	s_cbranch_execz .LBB6_1353
; %bb.1348:                             ;   in Loop: Header=BB6_130 Depth=2
	v_bfe_u32 v4, v0, 23, 8
	v_and_b32_e32 v1, 0x7fffff, v0
	v_cmp_gt_u32_e64 s13, 0x79, v4
	v_sub_nc_u32_e32 v5, 0x78, v4
	v_cmp_eq_u32_e32 vcc_lo, 0, v4
	v_or_b32_e32 v6, 0x800000, v1
	v_cndmask_b32_e64 v5, 0, v5, s13
	v_cndmask_b32_e32 v1, v6, v1, vcc_lo
	v_cndmask_b32_e64 v5, v5, 0x77, vcc_lo
	v_lshl_add_u32 v6, 0x100000, v5, -1
	v_lshlrev_b32_e64 v7, v5, 0x80000
	v_and_b32_e32 v6, v6, v1
	v_cmp_eq_u32_e64 s13, v6, v7
	v_lshrrev_b32_e32 v6, v5, v1
	v_add_nc_u32_e32 v1, 0xffffff89, v4
	v_lshrrev_b32_e32 v4, 23, v6
	v_cndmask_b32_e64 v1, v1, 0xffffff8a, vcc_lo
	v_xor_b32_e32 v4, 1, v4
	v_add_nc_u32_e32 v1, v5, v1
	v_bfe_u32 v5, v6, 20, 1
	v_add_nc_u32_e32 v5, -1, v5
	v_cndmask_b32_e64 v5, 0, v5, s13
	s_mov_b32 s13, exec_lo
	v_add_nc_u32_e32 v5, v5, v6
	v_and_b32_e32 v5, 0xfffff, v5
	v_add_nc_u32_e32 v5, v5, v6
                                        ; implicit-def: $vgpr6
	v_cmpx_ne_u32_e64 v1, v4
	s_xor_b32 s13, exec_lo, s13
; %bb.1349:                             ;   in Loop: Header=BB6_130 Depth=2
	v_cmp_lt_u32_e32 vcc_lo, 0xffffff, v5
	v_sub_nc_u32_e32 v1, v1, v4
	v_cndmask_b32_e64 v4, 0, 1, vcc_lo
	v_add_co_ci_u32_e64 v6, null, 0, v1, vcc_lo
	v_lshrrev_b32_e32 v5, v4, v5
; %bb.1350:                             ;   in Loop: Header=BB6_130 Depth=2
	s_andn2_saveexec_b32 s13, s13
; %bb.1351:                             ;   in Loop: Header=BB6_130 Depth=2
	v_bfe_u32 v6, v5, 23, 1
; %bb.1352:                             ;   in Loop: Header=BB6_130 Depth=2
	s_or_b32 exec_lo, exec_lo, s13
	v_lshrrev_b32_e32 v1, 20, v5
	v_min_i32_e32 v4, 15, v6
	v_cmp_gt_i32_e32 vcc_lo, 16, v6
	v_and_b32_sdwa v0, v0, v114 dst_sel:DWORD dst_unused:UNUSED_PAD src0_sel:BYTE_3 src1_sel:DWORD
	v_lshlrev_b32_e32 v4, 3, v4
	v_cndmask_b32_e32 v1, 7, v1, vcc_lo
	v_and_b32_e32 v4, 0xf8, v4
	v_or_b32_e32 v5, v6, v1
	v_and_b32_e32 v1, 7, v1
	v_cmp_ne_u32_e32 vcc_lo, 0, v5
	v_or3_b32 v0, v0, v4, v1
	v_lshlrev_b32_e32 v0, 8, v0
	v_cndmask_b32_e32 v25, 0, v0, vcc_lo
.LBB6_1353:                             ;   in Loop: Header=BB6_130 Depth=2
	s_or_b32 exec_lo, exec_lo, s41
.LBB6_1354:                             ;   in Loop: Header=BB6_130 Depth=2
	s_or_b32 exec_lo, exec_lo, s40
	v_or_b32_e32 v0, v86, v30
	s_mov_b32 s40, 0
	v_cmp_gt_i16_sdwa s13, v0, v113 src0_sel:BYTE_0 src1_sel:DWORD
	s_and_saveexec_b32 s41, s13
	s_xor_b32 s13, exec_lo, s41
	s_cbranch_execz .LBB6_2504
; %bb.1355:                             ;   in Loop: Header=BB6_130 Depth=2
	v_cmp_eq_u16_sdwa s42, v0, v114 src0_sel:BYTE_0 src1_sel:DWORD
	s_mov_b32 s40, -1
	s_and_saveexec_b32 s41, s42
; %bb.1356:                             ;   in Loop: Header=BB6_130 Depth=2
	s_xor_b32 s40, exec_lo, -1
; %bb.1357:                             ;   in Loop: Header=BB6_130 Depth=2
	s_or_b32 exec_lo, exec_lo, s41
	s_and_b32 s40, s40, exec_lo
	s_or_saveexec_b32 s13, s13
	v_mov_b32_e32 v1, 0x7f800001
	s_xor_b32 exec_lo, exec_lo, s13
	s_cbranch_execnz .LBB6_2505
.LBB6_1358:                             ;   in Loop: Header=BB6_130 Depth=2
	s_or_b32 exec_lo, exec_lo, s13
	s_and_saveexec_b32 s13, s40
	s_cbranch_execz .LBB6_1360
.LBB6_1359:                             ;   in Loop: Header=BB6_130 Depth=2
	v_and_b32_e32 v1, 7, v0
	v_bfe_u32 v4, v0, 3, 4
	v_ffbh_u32_e32 v5, v1
	v_cmp_eq_u32_e32 vcc_lo, 0, v4
	v_min_u32_e32 v5, 32, v5
	v_subrev_nc_u32_e32 v6, 28, v5
	v_sub_nc_u32_e32 v5, 29, v5
	v_lshlrev_b32_e32 v6, v6, v0
	v_cndmask_b32_e32 v4, v4, v5, vcc_lo
	v_lshlrev_b32_e32 v5, 24, v0
	v_and_b32_e32 v6, 7, v6
	v_lshl_add_u32 v4, v4, 23, 0x3b800000
	v_and_b32_e32 v5, 0x80000000, v5
	v_cndmask_b32_e32 v1, v1, v6, vcc_lo
	v_lshlrev_b32_e32 v1, 20, v1
	v_or3_b32 v1, v5, v4, v1
.LBB6_1360:                             ;   in Loop: Header=BB6_130 Depth=2
	s_or_b32 exec_lo, exec_lo, s13
	s_waitcnt vmcnt(2)
	v_cmp_gt_i16_sdwa s13, v18, v113 src0_sel:BYTE_0 src1_sel:DWORD
	s_mov_b32 s40, 0
	s_and_saveexec_b32 s41, s13
	s_xor_b32 s13, exec_lo, s41
	s_cbranch_execz .LBB6_2506
; %bb.1361:                             ;   in Loop: Header=BB6_130 Depth=2
	v_cmp_eq_u16_sdwa s42, v18, v114 src0_sel:BYTE_0 src1_sel:DWORD
	s_mov_b32 s40, -1
	s_and_saveexec_b32 s41, s42
; %bb.1362:                             ;   in Loop: Header=BB6_130 Depth=2
	s_xor_b32 s40, exec_lo, -1
; %bb.1363:                             ;   in Loop: Header=BB6_130 Depth=2
	s_or_b32 exec_lo, exec_lo, s41
	s_and_b32 s40, s40, exec_lo
	s_or_saveexec_b32 s13, s13
	v_mov_b32_e32 v4, 0x7f800001
	s_xor_b32 exec_lo, exec_lo, s13
	s_cbranch_execnz .LBB6_2507
.LBB6_1364:                             ;   in Loop: Header=BB6_130 Depth=2
	s_or_b32 exec_lo, exec_lo, s13
	s_and_saveexec_b32 s13, s40
	s_cbranch_execz .LBB6_1366
.LBB6_1365:                             ;   in Loop: Header=BB6_130 Depth=2
	v_and_b32_e32 v4, 7, v18
	v_bfe_u32 v5, v18, 3, 4
	v_ffbh_u32_e32 v6, v4
	v_cmp_eq_u32_e32 vcc_lo, 0, v5
	v_min_u32_e32 v6, 32, v6
	v_subrev_nc_u32_e32 v7, 28, v6
	v_sub_nc_u32_e32 v6, 29, v6
	v_lshlrev_b32_e32 v7, v7, v18
	v_cndmask_b32_e32 v5, v5, v6, vcc_lo
	v_lshlrev_b32_e32 v6, 24, v18
	v_and_b32_e32 v7, 7, v7
	v_lshl_add_u32 v5, v5, 23, 0x3b800000
	v_and_b32_e32 v6, 0x80000000, v6
	v_cndmask_b32_e32 v4, v4, v7, vcc_lo
	v_lshlrev_b32_e32 v4, 20, v4
	v_or3_b32 v4, v6, v5, v4
.LBB6_1366:                             ;   in Loop: Header=BB6_130 Depth=2
	s_or_b32 exec_lo, exec_lo, s13
	v_add_f32_e32 v1, v1, v4
	v_mov_b32_e32 v30, 0x80
	s_mov_b32 s40, exec_lo
	v_and_b32_e32 v4, 0x7f800000, v1
	v_cmpx_ne_u32_e32 0x7f800000, v4
	s_cbranch_execz .LBB6_1374
; %bb.1367:                             ;   in Loop: Header=BB6_130 Depth=2
	v_mov_b32_e32 v30, 0
	s_mov_b32 s41, exec_lo
	v_cmpx_ne_u32_e32 0, v1
	s_cbranch_execz .LBB6_1373
; %bb.1368:                             ;   in Loop: Header=BB6_130 Depth=2
	v_bfe_u32 v5, v1, 23, 8
	v_and_b32_e32 v4, 0x7fffff, v1
	v_cmp_gt_u32_e64 s13, 0x79, v5
	v_sub_nc_u32_e32 v6, 0x78, v5
	v_cmp_eq_u32_e32 vcc_lo, 0, v5
	v_or_b32_e32 v7, 0x800000, v4
	v_cndmask_b32_e64 v6, 0, v6, s13
	v_cndmask_b32_e32 v4, v7, v4, vcc_lo
	v_cndmask_b32_e64 v6, v6, 0x77, vcc_lo
	v_lshl_add_u32 v7, 0x100000, v6, -1
	v_lshlrev_b32_e64 v8, v6, 0x80000
	v_and_b32_e32 v7, v7, v4
	v_cmp_eq_u32_e64 s13, v7, v8
	v_lshrrev_b32_e32 v7, v6, v4
	v_add_nc_u32_e32 v4, 0xffffff89, v5
	v_lshrrev_b32_e32 v5, 23, v7
	v_cndmask_b32_e64 v4, v4, 0xffffff8a, vcc_lo
	v_xor_b32_e32 v5, 1, v5
	v_add_nc_u32_e32 v4, v6, v4
	v_bfe_u32 v6, v7, 20, 1
	v_add_nc_u32_e32 v6, -1, v6
	v_cndmask_b32_e64 v6, 0, v6, s13
	s_mov_b32 s13, exec_lo
	v_add_nc_u32_e32 v6, v6, v7
	v_and_b32_e32 v6, 0xfffff, v6
	v_add_nc_u32_e32 v6, v6, v7
                                        ; implicit-def: $vgpr7
	v_cmpx_ne_u32_e64 v4, v5
	s_xor_b32 s13, exec_lo, s13
; %bb.1369:                             ;   in Loop: Header=BB6_130 Depth=2
	v_cmp_lt_u32_e32 vcc_lo, 0xffffff, v6
	v_sub_nc_u32_e32 v4, v4, v5
	v_cndmask_b32_e64 v5, 0, 1, vcc_lo
	v_add_co_ci_u32_e64 v7, null, 0, v4, vcc_lo
	v_lshrrev_b32_e32 v6, v5, v6
; %bb.1370:                             ;   in Loop: Header=BB6_130 Depth=2
	s_andn2_saveexec_b32 s13, s13
; %bb.1371:                             ;   in Loop: Header=BB6_130 Depth=2
	v_bfe_u32 v7, v6, 23, 1
; %bb.1372:                             ;   in Loop: Header=BB6_130 Depth=2
	s_or_b32 exec_lo, exec_lo, s13
	v_lshrrev_b32_e32 v4, 20, v6
	v_min_i32_e32 v5, 15, v7
	v_cmp_gt_i32_e32 vcc_lo, 16, v7
	v_and_b32_sdwa v1, v1, v114 dst_sel:DWORD dst_unused:UNUSED_PAD src0_sel:BYTE_3 src1_sel:DWORD
	v_lshlrev_b32_e32 v5, 3, v5
	v_cndmask_b32_e32 v4, 7, v4, vcc_lo
	v_and_b32_e32 v5, 0xf8, v5
	v_or_b32_e32 v6, v7, v4
	v_and_b32_e32 v4, 7, v4
	v_cmp_ne_u32_e32 vcc_lo, 0, v6
	v_or3_b32 v1, v5, v1, v4
	v_cndmask_b32_e32 v30, 0, v1, vcc_lo
.LBB6_1373:                             ;   in Loop: Header=BB6_130 Depth=2
	s_or_b32 exec_lo, exec_lo, s41
.LBB6_1374:                             ;   in Loop: Header=BB6_130 Depth=2
	s_or_b32 exec_lo, exec_lo, s40
	v_cmp_gt_i16_sdwa s40, v0, v113 src0_sel:BYTE_1 src1_sel:DWORD
	s_mov_b32 s13, 0
	s_and_saveexec_b32 s41, s40
	s_xor_b32 s40, exec_lo, s41
	s_cbranch_execz .LBB6_2508
; %bb.1375:                             ;   in Loop: Header=BB6_130 Depth=2
	v_cmp_eq_u16_sdwa s42, v0, v114 src0_sel:BYTE_1 src1_sel:DWORD
	s_mov_b32 s13, -1
	s_and_saveexec_b32 s41, s42
; %bb.1376:                             ;   in Loop: Header=BB6_130 Depth=2
	s_xor_b32 s13, exec_lo, -1
; %bb.1377:                             ;   in Loop: Header=BB6_130 Depth=2
	s_or_b32 exec_lo, exec_lo, s41
	s_and_b32 s13, s13, exec_lo
	s_or_saveexec_b32 s40, s40
	v_mov_b32_e32 v1, 0x7f800001
	s_xor_b32 exec_lo, exec_lo, s40
	s_cbranch_execnz .LBB6_2509
.LBB6_1378:                             ;   in Loop: Header=BB6_130 Depth=2
	s_or_b32 exec_lo, exec_lo, s40
	s_and_saveexec_b32 s40, s13
	s_cbranch_execz .LBB6_1380
.LBB6_1379:                             ;   in Loop: Header=BB6_130 Depth=2
	v_and_b32_sdwa v1, v115, v0 dst_sel:DWORD dst_unused:UNUSED_PAD src0_sel:DWORD src1_sel:BYTE_1
	v_and_b32_e32 v4, 7, v1
	v_bfe_u32 v7, v1, 3, 4
	v_ffbh_u32_e32 v5, v4
	v_cmp_eq_u32_e32 vcc_lo, 0, v7
	v_min_u32_e32 v5, 32, v5
	v_subrev_nc_u32_e32 v6, 28, v5
	v_sub_nc_u32_e32 v5, 29, v5
	v_lshlrev_b32_e32 v1, v6, v1
	v_lshlrev_b32_sdwa v6, v116, v0 dst_sel:DWORD dst_unused:UNUSED_PAD src0_sel:DWORD src1_sel:BYTE_1
	v_cndmask_b32_e32 v5, v7, v5, vcc_lo
	v_and_b32_e32 v1, 7, v1
	v_lshl_add_u32 v5, v5, 23, 0x3b800000
	v_cndmask_b32_e32 v1, v4, v1, vcc_lo
	v_and_b32_e32 v4, 0x80000000, v6
	v_lshlrev_b32_e32 v1, 20, v1
	v_or3_b32 v1, v4, v5, v1
.LBB6_1380:                             ;   in Loop: Header=BB6_130 Depth=2
	s_or_b32 exec_lo, exec_lo, s40
	v_cmp_gt_i16_sdwa s40, v18, v113 src0_sel:BYTE_1 src1_sel:DWORD
	s_mov_b32 s13, 0
	s_and_saveexec_b32 s41, s40
	s_xor_b32 s40, exec_lo, s41
	s_cbranch_execz .LBB6_2510
; %bb.1381:                             ;   in Loop: Header=BB6_130 Depth=2
	v_cmp_eq_u16_sdwa s42, v18, v114 src0_sel:BYTE_1 src1_sel:DWORD
	s_mov_b32 s13, -1
	s_and_saveexec_b32 s41, s42
; %bb.1382:                             ;   in Loop: Header=BB6_130 Depth=2
	s_xor_b32 s13, exec_lo, -1
; %bb.1383:                             ;   in Loop: Header=BB6_130 Depth=2
	s_or_b32 exec_lo, exec_lo, s41
	s_and_b32 s13, s13, exec_lo
	s_or_saveexec_b32 s40, s40
	v_mov_b32_e32 v4, 0x7f800001
	s_xor_b32 exec_lo, exec_lo, s40
	s_cbranch_execnz .LBB6_2511
.LBB6_1384:                             ;   in Loop: Header=BB6_130 Depth=2
	s_or_b32 exec_lo, exec_lo, s40
	s_and_saveexec_b32 s40, s13
	s_cbranch_execz .LBB6_1386
.LBB6_1385:                             ;   in Loop: Header=BB6_130 Depth=2
	v_and_b32_sdwa v4, v115, v18 dst_sel:DWORD dst_unused:UNUSED_PAD src0_sel:DWORD src1_sel:BYTE_1
	v_and_b32_e32 v5, 7, v4
	v_bfe_u32 v8, v4, 3, 4
	v_ffbh_u32_e32 v6, v5
	v_cmp_eq_u32_e32 vcc_lo, 0, v8
	v_min_u32_e32 v6, 32, v6
	v_subrev_nc_u32_e32 v7, 28, v6
	v_sub_nc_u32_e32 v6, 29, v6
	v_lshlrev_b32_e32 v4, v7, v4
	v_lshlrev_b32_sdwa v7, v116, v18 dst_sel:DWORD dst_unused:UNUSED_PAD src0_sel:DWORD src1_sel:BYTE_1
	v_cndmask_b32_e32 v6, v8, v6, vcc_lo
	v_and_b32_e32 v4, 7, v4
	v_lshl_add_u32 v6, v6, 23, 0x3b800000
	v_cndmask_b32_e32 v4, v5, v4, vcc_lo
	v_and_b32_e32 v5, 0x80000000, v7
	v_lshlrev_b32_e32 v4, 20, v4
	v_or3_b32 v4, v5, v6, v4
.LBB6_1386:                             ;   in Loop: Header=BB6_130 Depth=2
	s_or_b32 exec_lo, exec_lo, s40
	v_add_f32_e32 v1, v1, v4
	v_mov_b32_e32 v86, 0x8000
	s_mov_b32 s40, exec_lo
	v_and_b32_e32 v4, 0x7f800000, v1
	v_cmpx_ne_u32_e32 0x7f800000, v4
	s_cbranch_execz .LBB6_1394
; %bb.1387:                             ;   in Loop: Header=BB6_130 Depth=2
	v_mov_b32_e32 v86, 0
	s_mov_b32 s41, exec_lo
	v_cmpx_ne_u32_e32 0, v1
	s_cbranch_execz .LBB6_1393
; %bb.1388:                             ;   in Loop: Header=BB6_130 Depth=2
	v_bfe_u32 v5, v1, 23, 8
	v_and_b32_e32 v4, 0x7fffff, v1
	v_cmp_gt_u32_e64 s13, 0x79, v5
	v_sub_nc_u32_e32 v6, 0x78, v5
	v_cmp_eq_u32_e32 vcc_lo, 0, v5
	v_or_b32_e32 v7, 0x800000, v4
	v_cndmask_b32_e64 v6, 0, v6, s13
	v_cndmask_b32_e32 v4, v7, v4, vcc_lo
	v_cndmask_b32_e64 v6, v6, 0x77, vcc_lo
	v_lshl_add_u32 v7, 0x100000, v6, -1
	v_lshlrev_b32_e64 v8, v6, 0x80000
	v_and_b32_e32 v7, v7, v4
	v_cmp_eq_u32_e64 s13, v7, v8
	v_lshrrev_b32_e32 v7, v6, v4
	v_add_nc_u32_e32 v4, 0xffffff89, v5
	v_lshrrev_b32_e32 v5, 23, v7
	v_cndmask_b32_e64 v4, v4, 0xffffff8a, vcc_lo
	v_xor_b32_e32 v5, 1, v5
	v_add_nc_u32_e32 v4, v6, v4
	v_bfe_u32 v6, v7, 20, 1
	v_add_nc_u32_e32 v6, -1, v6
	v_cndmask_b32_e64 v6, 0, v6, s13
	s_mov_b32 s13, exec_lo
	v_add_nc_u32_e32 v6, v6, v7
	v_and_b32_e32 v6, 0xfffff, v6
	v_add_nc_u32_e32 v6, v6, v7
                                        ; implicit-def: $vgpr7
	v_cmpx_ne_u32_e64 v4, v5
	s_xor_b32 s13, exec_lo, s13
; %bb.1389:                             ;   in Loop: Header=BB6_130 Depth=2
	v_cmp_lt_u32_e32 vcc_lo, 0xffffff, v6
	v_sub_nc_u32_e32 v4, v4, v5
	v_cndmask_b32_e64 v5, 0, 1, vcc_lo
	v_add_co_ci_u32_e64 v7, null, 0, v4, vcc_lo
	v_lshrrev_b32_e32 v6, v5, v6
; %bb.1390:                             ;   in Loop: Header=BB6_130 Depth=2
	s_andn2_saveexec_b32 s13, s13
; %bb.1391:                             ;   in Loop: Header=BB6_130 Depth=2
	v_bfe_u32 v7, v6, 23, 1
; %bb.1392:                             ;   in Loop: Header=BB6_130 Depth=2
	s_or_b32 exec_lo, exec_lo, s13
	v_lshrrev_b32_e32 v4, 20, v6
	v_min_i32_e32 v5, 15, v7
	v_cmp_gt_i32_e32 vcc_lo, 16, v7
	v_and_b32_sdwa v1, v1, v114 dst_sel:DWORD dst_unused:UNUSED_PAD src0_sel:BYTE_3 src1_sel:DWORD
	v_lshlrev_b32_e32 v5, 3, v5
	v_cndmask_b32_e32 v4, 7, v4, vcc_lo
	v_and_b32_e32 v5, 0xf8, v5
	v_or_b32_e32 v6, v7, v4
	v_and_b32_e32 v4, 7, v4
	v_cmp_ne_u32_e32 vcc_lo, 0, v6
	v_or3_b32 v1, v1, v5, v4
	v_lshlrev_b32_e32 v1, 8, v1
	v_cndmask_b32_e32 v86, 0, v1, vcc_lo
.LBB6_1393:                             ;   in Loop: Header=BB6_130 Depth=2
	s_or_b32 exec_lo, exec_lo, s41
.LBB6_1394:                             ;   in Loop: Header=BB6_130 Depth=2
	s_or_b32 exec_lo, exec_lo, s40
	v_or_b32_e32 v4, v85, v31
	s_mov_b32 s40, 0
	v_cmp_gt_i16_sdwa s13, v4, v113 src0_sel:BYTE_0 src1_sel:DWORD
	s_and_saveexec_b32 s41, s13
	s_xor_b32 s13, exec_lo, s41
	s_cbranch_execz .LBB6_2512
; %bb.1395:                             ;   in Loop: Header=BB6_130 Depth=2
	v_cmp_eq_u16_sdwa s42, v4, v114 src0_sel:BYTE_0 src1_sel:DWORD
	s_mov_b32 s40, -1
	s_and_saveexec_b32 s41, s42
; %bb.1396:                             ;   in Loop: Header=BB6_130 Depth=2
	s_xor_b32 s40, exec_lo, -1
; %bb.1397:                             ;   in Loop: Header=BB6_130 Depth=2
	s_or_b32 exec_lo, exec_lo, s41
	s_and_b32 s40, s40, exec_lo
	s_or_saveexec_b32 s13, s13
	v_mov_b32_e32 v1, 0x7f800001
	s_xor_b32 exec_lo, exec_lo, s13
	s_cbranch_execnz .LBB6_2513
.LBB6_1398:                             ;   in Loop: Header=BB6_130 Depth=2
	s_or_b32 exec_lo, exec_lo, s13
	v_lshl_or_b32 v0, v4, 16, v0
	s_and_saveexec_b32 s13, s40
	s_cbranch_execz .LBB6_1400
.LBB6_1399:                             ;   in Loop: Header=BB6_130 Depth=2
	v_bfe_u32 v1, v0, 16, 3
	v_bfe_u32 v4, v0, 19, 4
	v_ffbh_u32_e32 v5, v1
	v_cmp_eq_u32_e32 vcc_lo, 0, v4
	v_min_u32_e32 v5, 32, v5
	v_subrev_nc_u32_e32 v6, 28, v5
	v_sub_nc_u32_e32 v5, 29, v5
	v_lshlrev_b32_sdwa v6, v6, v0 dst_sel:DWORD dst_unused:UNUSED_PAD src0_sel:DWORD src1_sel:WORD_1
	v_cndmask_b32_e32 v4, v4, v5, vcc_lo
	v_lshlrev_b32_e32 v5, 8, v0
	v_and_b32_e32 v6, 7, v6
	v_lshl_add_u32 v4, v4, 23, 0x3b800000
	v_and_b32_e32 v5, 0x80000000, v5
	v_cndmask_b32_e32 v1, v1, v6, vcc_lo
	v_lshlrev_b32_e32 v1, 20, v1
	v_or3_b32 v1, v5, v4, v1
.LBB6_1400:                             ;   in Loop: Header=BB6_130 Depth=2
	s_or_b32 exec_lo, exec_lo, s13
	v_and_b32_sdwa v5, v18, v117 dst_sel:DWORD dst_unused:UNUSED_PAD src0_sel:WORD_1 src1_sel:DWORD
	s_mov_b32 s40, 0
	s_mov_b32 s13, exec_lo
	v_cmpx_lt_i16_e32 0x7f, v5
	s_xor_b32 s13, exec_lo, s13
	s_cbranch_execz .LBB6_2514
; %bb.1401:                             ;   in Loop: Header=BB6_130 Depth=2
	s_mov_b32 s40, -1
	s_mov_b32 s41, exec_lo
	v_cmpx_eq_u16_e32 0x80, v5
; %bb.1402:                             ;   in Loop: Header=BB6_130 Depth=2
	s_xor_b32 s40, exec_lo, -1
; %bb.1403:                             ;   in Loop: Header=BB6_130 Depth=2
	s_or_b32 exec_lo, exec_lo, s41
	s_and_b32 s40, s40, exec_lo
                                        ; implicit-def: $vgpr5
	s_or_saveexec_b32 s13, s13
	v_mov_b32_e32 v4, 0x7f800001
	s_xor_b32 exec_lo, exec_lo, s13
	s_cbranch_execnz .LBB6_2515
.LBB6_1404:                             ;   in Loop: Header=BB6_130 Depth=2
	s_or_b32 exec_lo, exec_lo, s13
	s_and_saveexec_b32 s13, s40
	s_cbranch_execz .LBB6_1406
.LBB6_1405:                             ;   in Loop: Header=BB6_130 Depth=2
	v_bfe_u32 v4, v18, 16, 3
	v_bfe_u32 v5, v18, 19, 4
	v_ffbh_u32_e32 v6, v4
	v_cmp_eq_u32_e32 vcc_lo, 0, v5
	v_min_u32_e32 v6, 32, v6
	v_subrev_nc_u32_e32 v7, 28, v6
	v_sub_nc_u32_e32 v6, 29, v6
	v_lshlrev_b32_sdwa v7, v7, v18 dst_sel:DWORD dst_unused:UNUSED_PAD src0_sel:DWORD src1_sel:WORD_1
	v_cndmask_b32_e32 v5, v5, v6, vcc_lo
	v_lshlrev_b32_e32 v6, 8, v18
	v_and_b32_e32 v7, 7, v7
	v_lshl_add_u32 v5, v5, 23, 0x3b800000
	v_and_b32_e32 v6, 0x80000000, v6
	v_cndmask_b32_e32 v4, v4, v7, vcc_lo
	v_lshlrev_b32_e32 v4, 20, v4
	v_or3_b32 v4, v6, v5, v4
.LBB6_1406:                             ;   in Loop: Header=BB6_130 Depth=2
	s_or_b32 exec_lo, exec_lo, s13
	v_add_f32_e32 v1, v1, v4
	v_mov_b32_e32 v31, 0x80
	s_mov_b32 s40, exec_lo
	v_and_b32_e32 v4, 0x7f800000, v1
	v_cmpx_ne_u32_e32 0x7f800000, v4
	s_cbranch_execz .LBB6_1414
; %bb.1407:                             ;   in Loop: Header=BB6_130 Depth=2
	v_mov_b32_e32 v31, 0
	s_mov_b32 s41, exec_lo
	v_cmpx_ne_u32_e32 0, v1
	s_cbranch_execz .LBB6_1413
; %bb.1408:                             ;   in Loop: Header=BB6_130 Depth=2
	v_bfe_u32 v5, v1, 23, 8
	v_and_b32_e32 v4, 0x7fffff, v1
	v_cmp_gt_u32_e64 s13, 0x79, v5
	v_sub_nc_u32_e32 v6, 0x78, v5
	v_cmp_eq_u32_e32 vcc_lo, 0, v5
	v_or_b32_e32 v7, 0x800000, v4
	v_cndmask_b32_e64 v6, 0, v6, s13
	v_cndmask_b32_e32 v4, v7, v4, vcc_lo
	v_cndmask_b32_e64 v6, v6, 0x77, vcc_lo
	v_lshl_add_u32 v7, 0x100000, v6, -1
	v_lshlrev_b32_e64 v8, v6, 0x80000
	v_and_b32_e32 v7, v7, v4
	v_cmp_eq_u32_e64 s13, v7, v8
	v_lshrrev_b32_e32 v7, v6, v4
	v_add_nc_u32_e32 v4, 0xffffff89, v5
	v_lshrrev_b32_e32 v5, 23, v7
	v_cndmask_b32_e64 v4, v4, 0xffffff8a, vcc_lo
	v_xor_b32_e32 v5, 1, v5
	v_add_nc_u32_e32 v4, v6, v4
	v_bfe_u32 v6, v7, 20, 1
	v_add_nc_u32_e32 v6, -1, v6
	v_cndmask_b32_e64 v6, 0, v6, s13
	s_mov_b32 s13, exec_lo
	v_add_nc_u32_e32 v6, v6, v7
	v_and_b32_e32 v6, 0xfffff, v6
	v_add_nc_u32_e32 v6, v6, v7
                                        ; implicit-def: $vgpr7
	v_cmpx_ne_u32_e64 v4, v5
	s_xor_b32 s13, exec_lo, s13
; %bb.1409:                             ;   in Loop: Header=BB6_130 Depth=2
	v_cmp_lt_u32_e32 vcc_lo, 0xffffff, v6
	v_sub_nc_u32_e32 v4, v4, v5
	v_cndmask_b32_e64 v5, 0, 1, vcc_lo
	v_add_co_ci_u32_e64 v7, null, 0, v4, vcc_lo
	v_lshrrev_b32_e32 v6, v5, v6
; %bb.1410:                             ;   in Loop: Header=BB6_130 Depth=2
	s_andn2_saveexec_b32 s13, s13
; %bb.1411:                             ;   in Loop: Header=BB6_130 Depth=2
	v_bfe_u32 v7, v6, 23, 1
; %bb.1412:                             ;   in Loop: Header=BB6_130 Depth=2
	s_or_b32 exec_lo, exec_lo, s13
	v_lshrrev_b32_e32 v4, 20, v6
	v_min_i32_e32 v5, 15, v7
	v_cmp_gt_i32_e32 vcc_lo, 16, v7
	v_and_b32_sdwa v1, v1, v114 dst_sel:DWORD dst_unused:UNUSED_PAD src0_sel:BYTE_3 src1_sel:DWORD
	v_lshlrev_b32_e32 v5, 3, v5
	v_cndmask_b32_e32 v4, 7, v4, vcc_lo
	v_and_b32_e32 v5, 0xf8, v5
	v_or_b32_e32 v6, v7, v4
	v_and_b32_e32 v4, 7, v4
	v_cmp_ne_u32_e32 vcc_lo, 0, v6
	v_or3_b32 v1, v5, v1, v4
	v_cndmask_b32_e32 v31, 0, v1, vcc_lo
.LBB6_1413:                             ;   in Loop: Header=BB6_130 Depth=2
	s_or_b32 exec_lo, exec_lo, s41
.LBB6_1414:                             ;   in Loop: Header=BB6_130 Depth=2
	s_or_b32 exec_lo, exec_lo, s40
	v_cmp_gt_i16_sdwa s40, v0, v113 src0_sel:BYTE_3 src1_sel:DWORD
	s_mov_b32 s13, 0
	s_and_saveexec_b32 s41, s40
	s_xor_b32 s40, exec_lo, s41
	s_cbranch_execz .LBB6_2516
; %bb.1415:                             ;   in Loop: Header=BB6_130 Depth=2
	v_cmp_eq_u16_sdwa s42, v0, v114 src0_sel:BYTE_3 src1_sel:DWORD
	s_mov_b32 s13, -1
	s_and_saveexec_b32 s41, s42
; %bb.1416:                             ;   in Loop: Header=BB6_130 Depth=2
	s_xor_b32 s13, exec_lo, -1
; %bb.1417:                             ;   in Loop: Header=BB6_130 Depth=2
	s_or_b32 exec_lo, exec_lo, s41
	s_and_b32 s13, s13, exec_lo
	s_or_saveexec_b32 s40, s40
	v_mov_b32_e32 v1, 0x7f800001
	s_xor_b32 exec_lo, exec_lo, s40
	s_cbranch_execnz .LBB6_2517
.LBB6_1418:                             ;   in Loop: Header=BB6_130 Depth=2
	s_or_b32 exec_lo, exec_lo, s40
	s_and_saveexec_b32 s40, s13
	s_cbranch_execz .LBB6_1420
.LBB6_1419:                             ;   in Loop: Header=BB6_130 Depth=2
	v_bfe_u32 v1, v0, 24, 3
	v_bfe_u32 v6, v0, 27, 4
	v_ffbh_u32_e32 v4, v1
	v_cmp_eq_u32_e32 vcc_lo, 0, v6
	v_min_u32_e32 v4, 32, v4
	v_subrev_nc_u32_e32 v5, 28, v4
	v_sub_nc_u32_e32 v4, 29, v4
	v_lshlrev_b32_sdwa v5, v5, v0 dst_sel:DWORD dst_unused:UNUSED_PAD src0_sel:DWORD src1_sel:BYTE_3
	v_cndmask_b32_e32 v4, v6, v4, vcc_lo
	v_and_b32_e32 v0, 0x80000000, v0
	v_and_b32_e32 v5, 7, v5
	v_lshl_add_u32 v4, v4, 23, 0x3b800000
	v_cndmask_b32_e32 v1, v1, v5, vcc_lo
	v_lshlrev_b32_e32 v1, 20, v1
	v_or3_b32 v1, v0, v4, v1
.LBB6_1420:                             ;   in Loop: Header=BB6_130 Depth=2
	s_or_b32 exec_lo, exec_lo, s40
	v_cmp_gt_i16_sdwa s40, v18, v113 src0_sel:BYTE_3 src1_sel:DWORD
	s_mov_b32 s13, 0
	s_and_saveexec_b32 s41, s40
	s_xor_b32 s40, exec_lo, s41
	s_cbranch_execz .LBB6_2518
; %bb.1421:                             ;   in Loop: Header=BB6_130 Depth=2
	v_cmp_eq_u16_sdwa s42, v18, v114 src0_sel:BYTE_3 src1_sel:DWORD
	s_mov_b32 s13, -1
	s_and_saveexec_b32 s41, s42
; %bb.1422:                             ;   in Loop: Header=BB6_130 Depth=2
	s_xor_b32 s13, exec_lo, -1
; %bb.1423:                             ;   in Loop: Header=BB6_130 Depth=2
	s_or_b32 exec_lo, exec_lo, s41
	s_and_b32 s13, s13, exec_lo
	s_or_saveexec_b32 s40, s40
	v_mov_b32_e32 v0, 0x7f800001
	s_xor_b32 exec_lo, exec_lo, s40
	s_cbranch_execnz .LBB6_2519
.LBB6_1424:                             ;   in Loop: Header=BB6_130 Depth=2
	s_or_b32 exec_lo, exec_lo, s40
	s_and_saveexec_b32 s40, s13
	s_cbranch_execz .LBB6_1426
.LBB6_1425:                             ;   in Loop: Header=BB6_130 Depth=2
	v_bfe_u32 v0, v18, 24, 3
	v_bfe_u32 v6, v18, 27, 4
	v_ffbh_u32_e32 v4, v0
	v_cmp_eq_u32_e32 vcc_lo, 0, v6
	v_min_u32_e32 v4, 32, v4
	v_subrev_nc_u32_e32 v5, 28, v4
	v_sub_nc_u32_e32 v4, 29, v4
	v_lshlrev_b32_sdwa v5, v5, v18 dst_sel:DWORD dst_unused:UNUSED_PAD src0_sel:DWORD src1_sel:BYTE_3
	v_cndmask_b32_e32 v4, v6, v4, vcc_lo
	v_and_b32_e32 v5, 7, v5
	v_lshl_add_u32 v4, v4, 23, 0x3b800000
	v_cndmask_b32_e32 v0, v0, v5, vcc_lo
	v_and_b32_e32 v5, 0x80000000, v18
	v_lshlrev_b32_e32 v0, 20, v0
	v_or3_b32 v0, v5, v4, v0
.LBB6_1426:                             ;   in Loop: Header=BB6_130 Depth=2
	s_or_b32 exec_lo, exec_lo, s40
	v_add_f32_e32 v0, v1, v0
	v_mov_b32_e32 v18, 0x8000
	s_mov_b32 s40, exec_lo
	v_and_b32_e32 v1, 0x7f800000, v0
	v_cmpx_ne_u32_e32 0x7f800000, v1
	s_cbranch_execz .LBB6_1434
; %bb.1427:                             ;   in Loop: Header=BB6_130 Depth=2
	v_mov_b32_e32 v18, 0
	s_mov_b32 s41, exec_lo
	v_cmpx_ne_u32_e32 0, v0
	s_cbranch_execz .LBB6_1433
; %bb.1428:                             ;   in Loop: Header=BB6_130 Depth=2
	v_bfe_u32 v4, v0, 23, 8
	v_and_b32_e32 v1, 0x7fffff, v0
	v_cmp_gt_u32_e64 s13, 0x79, v4
	v_sub_nc_u32_e32 v5, 0x78, v4
	v_cmp_eq_u32_e32 vcc_lo, 0, v4
	v_or_b32_e32 v6, 0x800000, v1
	v_cndmask_b32_e64 v5, 0, v5, s13
	v_cndmask_b32_e32 v1, v6, v1, vcc_lo
	v_cndmask_b32_e64 v5, v5, 0x77, vcc_lo
	v_lshl_add_u32 v6, 0x100000, v5, -1
	v_lshlrev_b32_e64 v7, v5, 0x80000
	v_and_b32_e32 v6, v6, v1
	v_cmp_eq_u32_e64 s13, v6, v7
	v_lshrrev_b32_e32 v6, v5, v1
	v_add_nc_u32_e32 v1, 0xffffff89, v4
	v_lshrrev_b32_e32 v4, 23, v6
	v_cndmask_b32_e64 v1, v1, 0xffffff8a, vcc_lo
	v_xor_b32_e32 v4, 1, v4
	v_add_nc_u32_e32 v1, v5, v1
	v_bfe_u32 v5, v6, 20, 1
	v_add_nc_u32_e32 v5, -1, v5
	v_cndmask_b32_e64 v5, 0, v5, s13
	s_mov_b32 s13, exec_lo
	v_add_nc_u32_e32 v5, v5, v6
	v_and_b32_e32 v5, 0xfffff, v5
	v_add_nc_u32_e32 v5, v5, v6
                                        ; implicit-def: $vgpr6
	v_cmpx_ne_u32_e64 v1, v4
	s_xor_b32 s13, exec_lo, s13
; %bb.1429:                             ;   in Loop: Header=BB6_130 Depth=2
	v_cmp_lt_u32_e32 vcc_lo, 0xffffff, v5
	v_sub_nc_u32_e32 v1, v1, v4
	v_cndmask_b32_e64 v4, 0, 1, vcc_lo
	v_add_co_ci_u32_e64 v6, null, 0, v1, vcc_lo
	v_lshrrev_b32_e32 v5, v4, v5
; %bb.1430:                             ;   in Loop: Header=BB6_130 Depth=2
	s_andn2_saveexec_b32 s13, s13
; %bb.1431:                             ;   in Loop: Header=BB6_130 Depth=2
	v_bfe_u32 v6, v5, 23, 1
; %bb.1432:                             ;   in Loop: Header=BB6_130 Depth=2
	s_or_b32 exec_lo, exec_lo, s13
	v_lshrrev_b32_e32 v1, 20, v5
	v_min_i32_e32 v4, 15, v6
	v_cmp_gt_i32_e32 vcc_lo, 16, v6
	v_and_b32_sdwa v0, v0, v114 dst_sel:DWORD dst_unused:UNUSED_PAD src0_sel:BYTE_3 src1_sel:DWORD
	v_lshlrev_b32_e32 v4, 3, v4
	v_cndmask_b32_e32 v1, 7, v1, vcc_lo
	v_and_b32_e32 v4, 0xf8, v4
	v_or_b32_e32 v5, v6, v1
	v_and_b32_e32 v1, 7, v1
	v_cmp_ne_u32_e32 vcc_lo, 0, v5
	v_or3_b32 v0, v0, v4, v1
	v_lshlrev_b32_e32 v0, 8, v0
	v_cndmask_b32_e32 v18, 0, v0, vcc_lo
.LBB6_1433:                             ;   in Loop: Header=BB6_130 Depth=2
	s_or_b32 exec_lo, exec_lo, s41
.LBB6_1434:                             ;   in Loop: Header=BB6_130 Depth=2
	s_or_b32 exec_lo, exec_lo, s40
	v_or_b32_e32 v0, v29, v28
	s_mov_b32 s40, 0
	v_cmp_gt_i16_sdwa s13, v0, v113 src0_sel:BYTE_0 src1_sel:DWORD
	s_and_saveexec_b32 s41, s13
	s_xor_b32 s13, exec_lo, s41
	s_cbranch_execz .LBB6_2520
; %bb.1435:                             ;   in Loop: Header=BB6_130 Depth=2
	v_cmp_eq_u16_sdwa s42, v0, v114 src0_sel:BYTE_0 src1_sel:DWORD
	s_mov_b32 s40, -1
	s_and_saveexec_b32 s41, s42
; %bb.1436:                             ;   in Loop: Header=BB6_130 Depth=2
	s_xor_b32 s40, exec_lo, -1
; %bb.1437:                             ;   in Loop: Header=BB6_130 Depth=2
	s_or_b32 exec_lo, exec_lo, s41
	s_and_b32 s40, s40, exec_lo
	s_or_saveexec_b32 s13, s13
	v_mov_b32_e32 v1, 0x7f800001
	s_xor_b32 exec_lo, exec_lo, s13
	s_cbranch_execnz .LBB6_2521
.LBB6_1438:                             ;   in Loop: Header=BB6_130 Depth=2
	s_or_b32 exec_lo, exec_lo, s13
	s_and_saveexec_b32 s13, s40
	s_cbranch_execz .LBB6_1440
.LBB6_1439:                             ;   in Loop: Header=BB6_130 Depth=2
	v_and_b32_e32 v1, 7, v0
	v_bfe_u32 v4, v0, 3, 4
	v_ffbh_u32_e32 v5, v1
	v_cmp_eq_u32_e32 vcc_lo, 0, v4
	v_min_u32_e32 v5, 32, v5
	v_subrev_nc_u32_e32 v6, 28, v5
	v_sub_nc_u32_e32 v5, 29, v5
	v_lshlrev_b32_e32 v6, v6, v0
	v_cndmask_b32_e32 v4, v4, v5, vcc_lo
	v_lshlrev_b32_e32 v5, 24, v0
	v_and_b32_e32 v6, 7, v6
	v_lshl_add_u32 v4, v4, 23, 0x3b800000
	v_and_b32_e32 v5, 0x80000000, v5
	v_cndmask_b32_e32 v1, v1, v6, vcc_lo
	v_lshlrev_b32_e32 v1, 20, v1
	v_or3_b32 v1, v5, v4, v1
.LBB6_1440:                             ;   in Loop: Header=BB6_130 Depth=2
	s_or_b32 exec_lo, exec_lo, s13
	v_cmp_gt_i16_sdwa s13, v19, v113 src0_sel:BYTE_0 src1_sel:DWORD
	s_mov_b32 s40, 0
	s_and_saveexec_b32 s41, s13
	s_xor_b32 s13, exec_lo, s41
	s_cbranch_execz .LBB6_2522
; %bb.1441:                             ;   in Loop: Header=BB6_130 Depth=2
	v_cmp_eq_u16_sdwa s42, v19, v114 src0_sel:BYTE_0 src1_sel:DWORD
	s_mov_b32 s40, -1
	s_and_saveexec_b32 s41, s42
; %bb.1442:                             ;   in Loop: Header=BB6_130 Depth=2
	s_xor_b32 s40, exec_lo, -1
; %bb.1443:                             ;   in Loop: Header=BB6_130 Depth=2
	s_or_b32 exec_lo, exec_lo, s41
	s_and_b32 s40, s40, exec_lo
	s_or_saveexec_b32 s13, s13
	v_mov_b32_e32 v4, 0x7f800001
	s_xor_b32 exec_lo, exec_lo, s13
	s_cbranch_execnz .LBB6_2523
.LBB6_1444:                             ;   in Loop: Header=BB6_130 Depth=2
	s_or_b32 exec_lo, exec_lo, s13
	s_and_saveexec_b32 s13, s40
	s_cbranch_execz .LBB6_1446
.LBB6_1445:                             ;   in Loop: Header=BB6_130 Depth=2
	v_and_b32_e32 v4, 7, v19
	v_bfe_u32 v5, v19, 3, 4
	v_ffbh_u32_e32 v6, v4
	v_cmp_eq_u32_e32 vcc_lo, 0, v5
	v_min_u32_e32 v6, 32, v6
	v_subrev_nc_u32_e32 v7, 28, v6
	v_sub_nc_u32_e32 v6, 29, v6
	v_lshlrev_b32_e32 v7, v7, v19
	v_cndmask_b32_e32 v5, v5, v6, vcc_lo
	v_lshlrev_b32_e32 v6, 24, v19
	v_and_b32_e32 v7, 7, v7
	v_lshl_add_u32 v5, v5, 23, 0x3b800000
	v_and_b32_e32 v6, 0x80000000, v6
	v_cndmask_b32_e32 v4, v4, v7, vcc_lo
	v_lshlrev_b32_e32 v4, 20, v4
	v_or3_b32 v4, v6, v5, v4
.LBB6_1446:                             ;   in Loop: Header=BB6_130 Depth=2
	s_or_b32 exec_lo, exec_lo, s13
	v_add_f32_e32 v1, v1, v4
	v_mov_b32_e32 v28, 0x80
	s_mov_b32 s40, exec_lo
	v_and_b32_e32 v4, 0x7f800000, v1
	v_cmpx_ne_u32_e32 0x7f800000, v4
	s_cbranch_execz .LBB6_1454
; %bb.1447:                             ;   in Loop: Header=BB6_130 Depth=2
	v_mov_b32_e32 v28, 0
	s_mov_b32 s41, exec_lo
	v_cmpx_ne_u32_e32 0, v1
	s_cbranch_execz .LBB6_1453
; %bb.1448:                             ;   in Loop: Header=BB6_130 Depth=2
	v_bfe_u32 v5, v1, 23, 8
	v_and_b32_e32 v4, 0x7fffff, v1
	v_cmp_gt_u32_e64 s13, 0x79, v5
	v_sub_nc_u32_e32 v6, 0x78, v5
	v_cmp_eq_u32_e32 vcc_lo, 0, v5
	v_or_b32_e32 v7, 0x800000, v4
	v_cndmask_b32_e64 v6, 0, v6, s13
	v_cndmask_b32_e32 v4, v7, v4, vcc_lo
	v_cndmask_b32_e64 v6, v6, 0x77, vcc_lo
	v_lshl_add_u32 v7, 0x100000, v6, -1
	v_lshlrev_b32_e64 v8, v6, 0x80000
	v_and_b32_e32 v7, v7, v4
	v_cmp_eq_u32_e64 s13, v7, v8
	v_lshrrev_b32_e32 v7, v6, v4
	v_add_nc_u32_e32 v4, 0xffffff89, v5
	v_lshrrev_b32_e32 v5, 23, v7
	v_cndmask_b32_e64 v4, v4, 0xffffff8a, vcc_lo
	v_xor_b32_e32 v5, 1, v5
	v_add_nc_u32_e32 v4, v6, v4
	v_bfe_u32 v6, v7, 20, 1
	v_add_nc_u32_e32 v6, -1, v6
	v_cndmask_b32_e64 v6, 0, v6, s13
	s_mov_b32 s13, exec_lo
	v_add_nc_u32_e32 v6, v6, v7
	v_and_b32_e32 v6, 0xfffff, v6
	v_add_nc_u32_e32 v6, v6, v7
                                        ; implicit-def: $vgpr7
	v_cmpx_ne_u32_e64 v4, v5
	s_xor_b32 s13, exec_lo, s13
; %bb.1449:                             ;   in Loop: Header=BB6_130 Depth=2
	v_cmp_lt_u32_e32 vcc_lo, 0xffffff, v6
	v_sub_nc_u32_e32 v4, v4, v5
	v_cndmask_b32_e64 v5, 0, 1, vcc_lo
	v_add_co_ci_u32_e64 v7, null, 0, v4, vcc_lo
	v_lshrrev_b32_e32 v6, v5, v6
; %bb.1450:                             ;   in Loop: Header=BB6_130 Depth=2
	s_andn2_saveexec_b32 s13, s13
; %bb.1451:                             ;   in Loop: Header=BB6_130 Depth=2
	v_bfe_u32 v7, v6, 23, 1
; %bb.1452:                             ;   in Loop: Header=BB6_130 Depth=2
	s_or_b32 exec_lo, exec_lo, s13
	v_lshrrev_b32_e32 v4, 20, v6
	v_min_i32_e32 v5, 15, v7
	v_cmp_gt_i32_e32 vcc_lo, 16, v7
	v_and_b32_sdwa v1, v1, v114 dst_sel:DWORD dst_unused:UNUSED_PAD src0_sel:BYTE_3 src1_sel:DWORD
	v_lshlrev_b32_e32 v5, 3, v5
	v_cndmask_b32_e32 v4, 7, v4, vcc_lo
	v_and_b32_e32 v5, 0xf8, v5
	v_or_b32_e32 v6, v7, v4
	v_and_b32_e32 v4, 7, v4
	v_cmp_ne_u32_e32 vcc_lo, 0, v6
	v_or3_b32 v1, v5, v1, v4
	v_cndmask_b32_e32 v28, 0, v1, vcc_lo
.LBB6_1453:                             ;   in Loop: Header=BB6_130 Depth=2
	s_or_b32 exec_lo, exec_lo, s41
.LBB6_1454:                             ;   in Loop: Header=BB6_130 Depth=2
	s_or_b32 exec_lo, exec_lo, s40
	v_cmp_gt_i16_sdwa s40, v0, v113 src0_sel:BYTE_1 src1_sel:DWORD
	s_mov_b32 s13, 0
	s_and_saveexec_b32 s41, s40
	s_xor_b32 s40, exec_lo, s41
	s_cbranch_execz .LBB6_2524
; %bb.1455:                             ;   in Loop: Header=BB6_130 Depth=2
	v_cmp_eq_u16_sdwa s42, v0, v114 src0_sel:BYTE_1 src1_sel:DWORD
	s_mov_b32 s13, -1
	s_and_saveexec_b32 s41, s42
; %bb.1456:                             ;   in Loop: Header=BB6_130 Depth=2
	s_xor_b32 s13, exec_lo, -1
; %bb.1457:                             ;   in Loop: Header=BB6_130 Depth=2
	s_or_b32 exec_lo, exec_lo, s41
	s_and_b32 s13, s13, exec_lo
	s_or_saveexec_b32 s40, s40
	v_mov_b32_e32 v1, 0x7f800001
	s_xor_b32 exec_lo, exec_lo, s40
	s_cbranch_execnz .LBB6_2525
.LBB6_1458:                             ;   in Loop: Header=BB6_130 Depth=2
	s_or_b32 exec_lo, exec_lo, s40
	s_and_saveexec_b32 s40, s13
	s_cbranch_execz .LBB6_1460
.LBB6_1459:                             ;   in Loop: Header=BB6_130 Depth=2
	v_and_b32_sdwa v1, v115, v0 dst_sel:DWORD dst_unused:UNUSED_PAD src0_sel:DWORD src1_sel:BYTE_1
	v_and_b32_e32 v4, 7, v1
	v_bfe_u32 v7, v1, 3, 4
	v_ffbh_u32_e32 v5, v4
	v_cmp_eq_u32_e32 vcc_lo, 0, v7
	v_min_u32_e32 v5, 32, v5
	v_subrev_nc_u32_e32 v6, 28, v5
	v_sub_nc_u32_e32 v5, 29, v5
	v_lshlrev_b32_e32 v1, v6, v1
	v_lshlrev_b32_sdwa v6, v116, v0 dst_sel:DWORD dst_unused:UNUSED_PAD src0_sel:DWORD src1_sel:BYTE_1
	v_cndmask_b32_e32 v5, v7, v5, vcc_lo
	v_and_b32_e32 v1, 7, v1
	v_lshl_add_u32 v5, v5, 23, 0x3b800000
	v_cndmask_b32_e32 v1, v4, v1, vcc_lo
	v_and_b32_e32 v4, 0x80000000, v6
	v_lshlrev_b32_e32 v1, 20, v1
	v_or3_b32 v1, v4, v5, v1
.LBB6_1460:                             ;   in Loop: Header=BB6_130 Depth=2
	s_or_b32 exec_lo, exec_lo, s40
	v_cmp_gt_i16_sdwa s40, v19, v113 src0_sel:BYTE_1 src1_sel:DWORD
	s_mov_b32 s13, 0
	s_and_saveexec_b32 s41, s40
	s_xor_b32 s40, exec_lo, s41
	s_cbranch_execz .LBB6_2526
; %bb.1461:                             ;   in Loop: Header=BB6_130 Depth=2
	v_cmp_eq_u16_sdwa s42, v19, v114 src0_sel:BYTE_1 src1_sel:DWORD
	s_mov_b32 s13, -1
	s_and_saveexec_b32 s41, s42
; %bb.1462:                             ;   in Loop: Header=BB6_130 Depth=2
	s_xor_b32 s13, exec_lo, -1
; %bb.1463:                             ;   in Loop: Header=BB6_130 Depth=2
	s_or_b32 exec_lo, exec_lo, s41
	s_and_b32 s13, s13, exec_lo
	s_or_saveexec_b32 s40, s40
	v_mov_b32_e32 v4, 0x7f800001
	s_xor_b32 exec_lo, exec_lo, s40
	s_cbranch_execnz .LBB6_2527
.LBB6_1464:                             ;   in Loop: Header=BB6_130 Depth=2
	s_or_b32 exec_lo, exec_lo, s40
	s_and_saveexec_b32 s40, s13
	s_cbranch_execz .LBB6_1466
.LBB6_1465:                             ;   in Loop: Header=BB6_130 Depth=2
	v_and_b32_sdwa v4, v115, v19 dst_sel:DWORD dst_unused:UNUSED_PAD src0_sel:DWORD src1_sel:BYTE_1
	v_and_b32_e32 v5, 7, v4
	v_bfe_u32 v8, v4, 3, 4
	v_ffbh_u32_e32 v6, v5
	v_cmp_eq_u32_e32 vcc_lo, 0, v8
	v_min_u32_e32 v6, 32, v6
	v_subrev_nc_u32_e32 v7, 28, v6
	v_sub_nc_u32_e32 v6, 29, v6
	v_lshlrev_b32_e32 v4, v7, v4
	v_lshlrev_b32_sdwa v7, v116, v19 dst_sel:DWORD dst_unused:UNUSED_PAD src0_sel:DWORD src1_sel:BYTE_1
	v_cndmask_b32_e32 v6, v8, v6, vcc_lo
	v_and_b32_e32 v4, 7, v4
	v_lshl_add_u32 v6, v6, 23, 0x3b800000
	v_cndmask_b32_e32 v4, v5, v4, vcc_lo
	v_and_b32_e32 v5, 0x80000000, v7
	v_lshlrev_b32_e32 v4, 20, v4
	v_or3_b32 v4, v5, v6, v4
.LBB6_1466:                             ;   in Loop: Header=BB6_130 Depth=2
	s_or_b32 exec_lo, exec_lo, s40
	v_add_f32_e32 v1, v1, v4
	v_mov_b32_e32 v29, 0x8000
	s_mov_b32 s40, exec_lo
	v_and_b32_e32 v4, 0x7f800000, v1
	v_cmpx_ne_u32_e32 0x7f800000, v4
	s_cbranch_execz .LBB6_1474
; %bb.1467:                             ;   in Loop: Header=BB6_130 Depth=2
	v_mov_b32_e32 v29, 0
	s_mov_b32 s41, exec_lo
	v_cmpx_ne_u32_e32 0, v1
	s_cbranch_execz .LBB6_1473
; %bb.1468:                             ;   in Loop: Header=BB6_130 Depth=2
	v_bfe_u32 v5, v1, 23, 8
	v_and_b32_e32 v4, 0x7fffff, v1
	v_cmp_gt_u32_e64 s13, 0x79, v5
	v_sub_nc_u32_e32 v6, 0x78, v5
	v_cmp_eq_u32_e32 vcc_lo, 0, v5
	v_or_b32_e32 v7, 0x800000, v4
	v_cndmask_b32_e64 v6, 0, v6, s13
	v_cndmask_b32_e32 v4, v7, v4, vcc_lo
	v_cndmask_b32_e64 v6, v6, 0x77, vcc_lo
	v_lshl_add_u32 v7, 0x100000, v6, -1
	v_lshlrev_b32_e64 v8, v6, 0x80000
	v_and_b32_e32 v7, v7, v4
	v_cmp_eq_u32_e64 s13, v7, v8
	v_lshrrev_b32_e32 v7, v6, v4
	v_add_nc_u32_e32 v4, 0xffffff89, v5
	v_lshrrev_b32_e32 v5, 23, v7
	v_cndmask_b32_e64 v4, v4, 0xffffff8a, vcc_lo
	v_xor_b32_e32 v5, 1, v5
	v_add_nc_u32_e32 v4, v6, v4
	v_bfe_u32 v6, v7, 20, 1
	v_add_nc_u32_e32 v6, -1, v6
	v_cndmask_b32_e64 v6, 0, v6, s13
	s_mov_b32 s13, exec_lo
	v_add_nc_u32_e32 v6, v6, v7
	v_and_b32_e32 v6, 0xfffff, v6
	v_add_nc_u32_e32 v6, v6, v7
                                        ; implicit-def: $vgpr7
	v_cmpx_ne_u32_e64 v4, v5
	s_xor_b32 s13, exec_lo, s13
; %bb.1469:                             ;   in Loop: Header=BB6_130 Depth=2
	v_cmp_lt_u32_e32 vcc_lo, 0xffffff, v6
	v_sub_nc_u32_e32 v4, v4, v5
	v_cndmask_b32_e64 v5, 0, 1, vcc_lo
	v_add_co_ci_u32_e64 v7, null, 0, v4, vcc_lo
	v_lshrrev_b32_e32 v6, v5, v6
; %bb.1470:                             ;   in Loop: Header=BB6_130 Depth=2
	s_andn2_saveexec_b32 s13, s13
; %bb.1471:                             ;   in Loop: Header=BB6_130 Depth=2
	v_bfe_u32 v7, v6, 23, 1
; %bb.1472:                             ;   in Loop: Header=BB6_130 Depth=2
	s_or_b32 exec_lo, exec_lo, s13
	v_lshrrev_b32_e32 v4, 20, v6
	v_min_i32_e32 v5, 15, v7
	v_cmp_gt_i32_e32 vcc_lo, 16, v7
	v_and_b32_sdwa v1, v1, v114 dst_sel:DWORD dst_unused:UNUSED_PAD src0_sel:BYTE_3 src1_sel:DWORD
	v_lshlrev_b32_e32 v5, 3, v5
	v_cndmask_b32_e32 v4, 7, v4, vcc_lo
	v_and_b32_e32 v5, 0xf8, v5
	v_or_b32_e32 v6, v7, v4
	v_and_b32_e32 v4, 7, v4
	v_cmp_ne_u32_e32 vcc_lo, 0, v6
	v_or3_b32 v1, v1, v5, v4
	v_lshlrev_b32_e32 v1, 8, v1
	v_cndmask_b32_e32 v29, 0, v1, vcc_lo
.LBB6_1473:                             ;   in Loop: Header=BB6_130 Depth=2
	s_or_b32 exec_lo, exec_lo, s41
.LBB6_1474:                             ;   in Loop: Header=BB6_130 Depth=2
	s_or_b32 exec_lo, exec_lo, s40
	v_or_b32_e32 v4, v103, v112
	s_mov_b32 s40, 0
	v_cmp_gt_i16_sdwa s13, v4, v113 src0_sel:BYTE_0 src1_sel:DWORD
	s_and_saveexec_b32 s41, s13
	s_xor_b32 s13, exec_lo, s41
	s_cbranch_execz .LBB6_2528
; %bb.1475:                             ;   in Loop: Header=BB6_130 Depth=2
	v_cmp_eq_u16_sdwa s42, v4, v114 src0_sel:BYTE_0 src1_sel:DWORD
	s_mov_b32 s40, -1
	s_and_saveexec_b32 s41, s42
; %bb.1476:                             ;   in Loop: Header=BB6_130 Depth=2
	s_xor_b32 s40, exec_lo, -1
; %bb.1477:                             ;   in Loop: Header=BB6_130 Depth=2
	s_or_b32 exec_lo, exec_lo, s41
	s_and_b32 s40, s40, exec_lo
	s_or_saveexec_b32 s13, s13
	v_mov_b32_e32 v1, 0x7f800001
	s_xor_b32 exec_lo, exec_lo, s13
	s_cbranch_execnz .LBB6_2529
.LBB6_1478:                             ;   in Loop: Header=BB6_130 Depth=2
	s_or_b32 exec_lo, exec_lo, s13
	v_lshl_or_b32 v0, v4, 16, v0
	s_and_saveexec_b32 s13, s40
	s_cbranch_execz .LBB6_1480
.LBB6_1479:                             ;   in Loop: Header=BB6_130 Depth=2
	v_bfe_u32 v1, v0, 16, 3
	v_bfe_u32 v4, v0, 19, 4
	v_ffbh_u32_e32 v5, v1
	v_cmp_eq_u32_e32 vcc_lo, 0, v4
	v_min_u32_e32 v5, 32, v5
	v_subrev_nc_u32_e32 v6, 28, v5
	v_sub_nc_u32_e32 v5, 29, v5
	v_lshlrev_b32_sdwa v6, v6, v0 dst_sel:DWORD dst_unused:UNUSED_PAD src0_sel:DWORD src1_sel:WORD_1
	v_cndmask_b32_e32 v4, v4, v5, vcc_lo
	v_lshlrev_b32_e32 v5, 8, v0
	v_and_b32_e32 v6, 7, v6
	v_lshl_add_u32 v4, v4, 23, 0x3b800000
	v_and_b32_e32 v5, 0x80000000, v5
	v_cndmask_b32_e32 v1, v1, v6, vcc_lo
	v_lshlrev_b32_e32 v1, 20, v1
	v_or3_b32 v1, v5, v4, v1
.LBB6_1480:                             ;   in Loop: Header=BB6_130 Depth=2
	s_or_b32 exec_lo, exec_lo, s13
	v_and_b32_sdwa v5, v19, v117 dst_sel:DWORD dst_unused:UNUSED_PAD src0_sel:WORD_1 src1_sel:DWORD
	s_mov_b32 s40, 0
	s_mov_b32 s13, exec_lo
	v_cmpx_lt_i16_e32 0x7f, v5
	s_xor_b32 s13, exec_lo, s13
	s_cbranch_execz .LBB6_2530
; %bb.1481:                             ;   in Loop: Header=BB6_130 Depth=2
	s_mov_b32 s40, -1
	s_mov_b32 s41, exec_lo
	v_cmpx_eq_u16_e32 0x80, v5
; %bb.1482:                             ;   in Loop: Header=BB6_130 Depth=2
	s_xor_b32 s40, exec_lo, -1
; %bb.1483:                             ;   in Loop: Header=BB6_130 Depth=2
	s_or_b32 exec_lo, exec_lo, s41
	s_and_b32 s40, s40, exec_lo
                                        ; implicit-def: $vgpr5
	s_or_saveexec_b32 s13, s13
	v_mov_b32_e32 v4, 0x7f800001
	s_xor_b32 exec_lo, exec_lo, s13
	s_cbranch_execnz .LBB6_2531
.LBB6_1484:                             ;   in Loop: Header=BB6_130 Depth=2
	s_or_b32 exec_lo, exec_lo, s13
	s_and_saveexec_b32 s13, s40
	s_cbranch_execz .LBB6_1486
.LBB6_1485:                             ;   in Loop: Header=BB6_130 Depth=2
	v_bfe_u32 v4, v19, 16, 3
	v_bfe_u32 v5, v19, 19, 4
	v_ffbh_u32_e32 v6, v4
	v_cmp_eq_u32_e32 vcc_lo, 0, v5
	v_min_u32_e32 v6, 32, v6
	v_subrev_nc_u32_e32 v7, 28, v6
	v_sub_nc_u32_e32 v6, 29, v6
	v_lshlrev_b32_sdwa v7, v7, v19 dst_sel:DWORD dst_unused:UNUSED_PAD src0_sel:DWORD src1_sel:WORD_1
	v_cndmask_b32_e32 v5, v5, v6, vcc_lo
	v_lshlrev_b32_e32 v6, 8, v19
	v_and_b32_e32 v7, 7, v7
	v_lshl_add_u32 v5, v5, 23, 0x3b800000
	v_and_b32_e32 v6, 0x80000000, v6
	v_cndmask_b32_e32 v4, v4, v7, vcc_lo
	v_lshlrev_b32_e32 v4, 20, v4
	v_or3_b32 v4, v6, v5, v4
.LBB6_1486:                             ;   in Loop: Header=BB6_130 Depth=2
	s_or_b32 exec_lo, exec_lo, s13
	v_add_f32_e32 v1, v1, v4
	v_mov_b32_e32 v50, 0x80
	s_mov_b32 s40, exec_lo
	v_and_b32_e32 v4, 0x7f800000, v1
	v_cmpx_ne_u32_e32 0x7f800000, v4
	s_cbranch_execz .LBB6_1494
; %bb.1487:                             ;   in Loop: Header=BB6_130 Depth=2
	v_mov_b32_e32 v50, 0
	s_mov_b32 s41, exec_lo
	v_cmpx_ne_u32_e32 0, v1
	s_cbranch_execz .LBB6_1493
; %bb.1488:                             ;   in Loop: Header=BB6_130 Depth=2
	v_bfe_u32 v5, v1, 23, 8
	v_and_b32_e32 v4, 0x7fffff, v1
	v_cmp_gt_u32_e64 s13, 0x79, v5
	v_sub_nc_u32_e32 v6, 0x78, v5
	v_cmp_eq_u32_e32 vcc_lo, 0, v5
	v_or_b32_e32 v7, 0x800000, v4
	v_cndmask_b32_e64 v6, 0, v6, s13
	v_cndmask_b32_e32 v4, v7, v4, vcc_lo
	v_cndmask_b32_e64 v6, v6, 0x77, vcc_lo
	v_lshl_add_u32 v7, 0x100000, v6, -1
	v_lshlrev_b32_e64 v8, v6, 0x80000
	v_and_b32_e32 v7, v7, v4
	v_cmp_eq_u32_e64 s13, v7, v8
	v_lshrrev_b32_e32 v7, v6, v4
	v_add_nc_u32_e32 v4, 0xffffff89, v5
	v_lshrrev_b32_e32 v5, 23, v7
	v_cndmask_b32_e64 v4, v4, 0xffffff8a, vcc_lo
	v_xor_b32_e32 v5, 1, v5
	v_add_nc_u32_e32 v4, v6, v4
	v_bfe_u32 v6, v7, 20, 1
	v_add_nc_u32_e32 v6, -1, v6
	v_cndmask_b32_e64 v6, 0, v6, s13
	s_mov_b32 s13, exec_lo
	v_add_nc_u32_e32 v6, v6, v7
	v_and_b32_e32 v6, 0xfffff, v6
	v_add_nc_u32_e32 v6, v6, v7
                                        ; implicit-def: $vgpr7
	v_cmpx_ne_u32_e64 v4, v5
	s_xor_b32 s13, exec_lo, s13
; %bb.1489:                             ;   in Loop: Header=BB6_130 Depth=2
	v_cmp_lt_u32_e32 vcc_lo, 0xffffff, v6
	v_sub_nc_u32_e32 v4, v4, v5
	v_cndmask_b32_e64 v5, 0, 1, vcc_lo
	v_add_co_ci_u32_e64 v7, null, 0, v4, vcc_lo
	v_lshrrev_b32_e32 v6, v5, v6
; %bb.1490:                             ;   in Loop: Header=BB6_130 Depth=2
	s_andn2_saveexec_b32 s13, s13
; %bb.1491:                             ;   in Loop: Header=BB6_130 Depth=2
	v_bfe_u32 v7, v6, 23, 1
; %bb.1492:                             ;   in Loop: Header=BB6_130 Depth=2
	s_or_b32 exec_lo, exec_lo, s13
	v_lshrrev_b32_e32 v4, 20, v6
	v_min_i32_e32 v5, 15, v7
	v_cmp_gt_i32_e32 vcc_lo, 16, v7
	v_and_b32_sdwa v1, v1, v114 dst_sel:DWORD dst_unused:UNUSED_PAD src0_sel:BYTE_3 src1_sel:DWORD
	v_lshlrev_b32_e32 v5, 3, v5
	v_cndmask_b32_e32 v4, 7, v4, vcc_lo
	v_and_b32_e32 v5, 0xf8, v5
	v_or_b32_e32 v6, v7, v4
	v_and_b32_e32 v4, 7, v4
	v_cmp_ne_u32_e32 vcc_lo, 0, v6
	v_or3_b32 v1, v5, v1, v4
	v_cndmask_b32_e32 v50, 0, v1, vcc_lo
.LBB6_1493:                             ;   in Loop: Header=BB6_130 Depth=2
	s_or_b32 exec_lo, exec_lo, s41
.LBB6_1494:                             ;   in Loop: Header=BB6_130 Depth=2
	s_or_b32 exec_lo, exec_lo, s40
	v_cmp_gt_i16_sdwa s40, v0, v113 src0_sel:BYTE_3 src1_sel:DWORD
	s_mov_b32 s13, 0
	s_and_saveexec_b32 s41, s40
	s_xor_b32 s40, exec_lo, s41
	s_cbranch_execz .LBB6_2532
; %bb.1495:                             ;   in Loop: Header=BB6_130 Depth=2
	v_cmp_eq_u16_sdwa s42, v0, v114 src0_sel:BYTE_3 src1_sel:DWORD
	s_mov_b32 s13, -1
	s_and_saveexec_b32 s41, s42
; %bb.1496:                             ;   in Loop: Header=BB6_130 Depth=2
	s_xor_b32 s13, exec_lo, -1
; %bb.1497:                             ;   in Loop: Header=BB6_130 Depth=2
	s_or_b32 exec_lo, exec_lo, s41
	s_and_b32 s13, s13, exec_lo
	s_or_saveexec_b32 s40, s40
	v_mov_b32_e32 v1, 0x7f800001
	s_xor_b32 exec_lo, exec_lo, s40
	s_cbranch_execnz .LBB6_2533
.LBB6_1498:                             ;   in Loop: Header=BB6_130 Depth=2
	s_or_b32 exec_lo, exec_lo, s40
	s_and_saveexec_b32 s40, s13
	s_cbranch_execz .LBB6_1500
.LBB6_1499:                             ;   in Loop: Header=BB6_130 Depth=2
	v_bfe_u32 v1, v0, 24, 3
	v_bfe_u32 v6, v0, 27, 4
	v_ffbh_u32_e32 v4, v1
	v_cmp_eq_u32_e32 vcc_lo, 0, v6
	v_min_u32_e32 v4, 32, v4
	v_subrev_nc_u32_e32 v5, 28, v4
	v_sub_nc_u32_e32 v4, 29, v4
	v_lshlrev_b32_sdwa v5, v5, v0 dst_sel:DWORD dst_unused:UNUSED_PAD src0_sel:DWORD src1_sel:BYTE_3
	v_cndmask_b32_e32 v4, v6, v4, vcc_lo
	v_and_b32_e32 v0, 0x80000000, v0
	v_and_b32_e32 v5, 7, v5
	v_lshl_add_u32 v4, v4, 23, 0x3b800000
	v_cndmask_b32_e32 v1, v1, v5, vcc_lo
	v_lshlrev_b32_e32 v1, 20, v1
	v_or3_b32 v1, v0, v4, v1
.LBB6_1500:                             ;   in Loop: Header=BB6_130 Depth=2
	s_or_b32 exec_lo, exec_lo, s40
	v_cmp_gt_i16_sdwa s40, v19, v113 src0_sel:BYTE_3 src1_sel:DWORD
	s_mov_b32 s13, 0
	s_and_saveexec_b32 s41, s40
	s_xor_b32 s40, exec_lo, s41
	s_cbranch_execz .LBB6_2534
; %bb.1501:                             ;   in Loop: Header=BB6_130 Depth=2
	v_cmp_eq_u16_sdwa s42, v19, v114 src0_sel:BYTE_3 src1_sel:DWORD
	s_mov_b32 s13, -1
	s_and_saveexec_b32 s41, s42
; %bb.1502:                             ;   in Loop: Header=BB6_130 Depth=2
	s_xor_b32 s13, exec_lo, -1
; %bb.1503:                             ;   in Loop: Header=BB6_130 Depth=2
	s_or_b32 exec_lo, exec_lo, s41
	s_and_b32 s13, s13, exec_lo
	s_or_saveexec_b32 s40, s40
	v_mov_b32_e32 v0, 0x7f800001
	s_xor_b32 exec_lo, exec_lo, s40
	s_cbranch_execnz .LBB6_2535
.LBB6_1504:                             ;   in Loop: Header=BB6_130 Depth=2
	s_or_b32 exec_lo, exec_lo, s40
	s_and_saveexec_b32 s40, s13
	s_cbranch_execz .LBB6_1506
.LBB6_1505:                             ;   in Loop: Header=BB6_130 Depth=2
	v_bfe_u32 v0, v19, 24, 3
	v_bfe_u32 v6, v19, 27, 4
	v_ffbh_u32_e32 v4, v0
	v_cmp_eq_u32_e32 vcc_lo, 0, v6
	v_min_u32_e32 v4, 32, v4
	v_subrev_nc_u32_e32 v5, 28, v4
	v_sub_nc_u32_e32 v4, 29, v4
	v_lshlrev_b32_sdwa v5, v5, v19 dst_sel:DWORD dst_unused:UNUSED_PAD src0_sel:DWORD src1_sel:BYTE_3
	v_cndmask_b32_e32 v4, v6, v4, vcc_lo
	v_and_b32_e32 v5, 7, v5
	v_lshl_add_u32 v4, v4, 23, 0x3b800000
	v_cndmask_b32_e32 v0, v0, v5, vcc_lo
	v_and_b32_e32 v5, 0x80000000, v19
	v_lshlrev_b32_e32 v0, 20, v0
	v_or3_b32 v0, v5, v4, v0
.LBB6_1506:                             ;   in Loop: Header=BB6_130 Depth=2
	s_or_b32 exec_lo, exec_lo, s40
	v_add_f32_e32 v0, v1, v0
	v_mov_b32_e32 v19, 0x8000
	s_mov_b32 s40, exec_lo
	v_and_b32_e32 v1, 0x7f800000, v0
	v_cmpx_ne_u32_e32 0x7f800000, v1
	s_cbranch_execz .LBB6_1514
; %bb.1507:                             ;   in Loop: Header=BB6_130 Depth=2
	v_mov_b32_e32 v19, 0
	s_mov_b32 s41, exec_lo
	v_cmpx_ne_u32_e32 0, v0
	s_cbranch_execz .LBB6_1513
; %bb.1508:                             ;   in Loop: Header=BB6_130 Depth=2
	v_bfe_u32 v4, v0, 23, 8
	v_and_b32_e32 v1, 0x7fffff, v0
	v_cmp_gt_u32_e64 s13, 0x79, v4
	v_sub_nc_u32_e32 v5, 0x78, v4
	v_cmp_eq_u32_e32 vcc_lo, 0, v4
	v_or_b32_e32 v6, 0x800000, v1
	v_cndmask_b32_e64 v5, 0, v5, s13
	v_cndmask_b32_e32 v1, v6, v1, vcc_lo
	v_cndmask_b32_e64 v5, v5, 0x77, vcc_lo
	v_lshl_add_u32 v6, 0x100000, v5, -1
	v_lshlrev_b32_e64 v7, v5, 0x80000
	v_and_b32_e32 v6, v6, v1
	v_cmp_eq_u32_e64 s13, v6, v7
	v_lshrrev_b32_e32 v6, v5, v1
	v_add_nc_u32_e32 v1, 0xffffff89, v4
	v_lshrrev_b32_e32 v4, 23, v6
	v_cndmask_b32_e64 v1, v1, 0xffffff8a, vcc_lo
	v_xor_b32_e32 v4, 1, v4
	v_add_nc_u32_e32 v1, v5, v1
	v_bfe_u32 v5, v6, 20, 1
	v_add_nc_u32_e32 v5, -1, v5
	v_cndmask_b32_e64 v5, 0, v5, s13
	s_mov_b32 s13, exec_lo
	v_add_nc_u32_e32 v5, v5, v6
	v_and_b32_e32 v5, 0xfffff, v5
	v_add_nc_u32_e32 v5, v5, v6
                                        ; implicit-def: $vgpr6
	v_cmpx_ne_u32_e64 v1, v4
	s_xor_b32 s13, exec_lo, s13
; %bb.1509:                             ;   in Loop: Header=BB6_130 Depth=2
	v_cmp_lt_u32_e32 vcc_lo, 0xffffff, v5
	v_sub_nc_u32_e32 v1, v1, v4
	v_cndmask_b32_e64 v4, 0, 1, vcc_lo
	v_add_co_ci_u32_e64 v6, null, 0, v1, vcc_lo
	v_lshrrev_b32_e32 v5, v4, v5
; %bb.1510:                             ;   in Loop: Header=BB6_130 Depth=2
	s_andn2_saveexec_b32 s13, s13
; %bb.1511:                             ;   in Loop: Header=BB6_130 Depth=2
	v_bfe_u32 v6, v5, 23, 1
; %bb.1512:                             ;   in Loop: Header=BB6_130 Depth=2
	s_or_b32 exec_lo, exec_lo, s13
	v_lshrrev_b32_e32 v1, 20, v5
	v_min_i32_e32 v4, 15, v6
	v_cmp_gt_i32_e32 vcc_lo, 16, v6
	v_and_b32_sdwa v0, v0, v114 dst_sel:DWORD dst_unused:UNUSED_PAD src0_sel:BYTE_3 src1_sel:DWORD
	v_lshlrev_b32_e32 v4, 3, v4
	v_cndmask_b32_e32 v1, 7, v1, vcc_lo
	v_and_b32_e32 v4, 0xf8, v4
	v_or_b32_e32 v5, v6, v1
	v_and_b32_e32 v1, 7, v1
	v_cmp_ne_u32_e32 vcc_lo, 0, v5
	v_or3_b32 v0, v0, v4, v1
	v_lshlrev_b32_e32 v0, 8, v0
	v_cndmask_b32_e32 v19, 0, v0, vcc_lo
.LBB6_1513:                             ;   in Loop: Header=BB6_130 Depth=2
	s_or_b32 exec_lo, exec_lo, s41
.LBB6_1514:                             ;   in Loop: Header=BB6_130 Depth=2
	s_or_b32 exec_lo, exec_lo, s40
	v_or_b32_e32 v1, v98, v96
	s_mov_b32 s40, 0
	v_cmp_gt_i16_sdwa s13, v1, v113 src0_sel:BYTE_0 src1_sel:DWORD
	s_and_saveexec_b32 s41, s13
	s_xor_b32 s13, exec_lo, s41
	s_cbranch_execz .LBB6_2536
; %bb.1515:                             ;   in Loop: Header=BB6_130 Depth=2
	v_cmp_eq_u16_sdwa s42, v1, v114 src0_sel:BYTE_0 src1_sel:DWORD
	s_mov_b32 s40, -1
	s_and_saveexec_b32 s41, s42
; %bb.1516:                             ;   in Loop: Header=BB6_130 Depth=2
	s_xor_b32 s40, exec_lo, -1
; %bb.1517:                             ;   in Loop: Header=BB6_130 Depth=2
	s_or_b32 exec_lo, exec_lo, s41
	s_and_b32 s40, s40, exec_lo
	s_or_saveexec_b32 s13, s13
	v_mov_b32_e32 v0, 0x7f800001
	s_xor_b32 exec_lo, exec_lo, s13
	s_cbranch_execnz .LBB6_2537
.LBB6_1518:                             ;   in Loop: Header=BB6_130 Depth=2
	s_or_b32 exec_lo, exec_lo, s13
	s_and_saveexec_b32 s13, s40
	s_cbranch_execz .LBB6_1520
.LBB6_1519:                             ;   in Loop: Header=BB6_130 Depth=2
	v_and_b32_e32 v0, 7, v1
	v_bfe_u32 v4, v1, 3, 4
	v_ffbh_u32_e32 v5, v0
	v_cmp_eq_u32_e32 vcc_lo, 0, v4
	v_min_u32_e32 v5, 32, v5
	v_subrev_nc_u32_e32 v6, 28, v5
	v_sub_nc_u32_e32 v5, 29, v5
	v_lshlrev_b32_e32 v6, v6, v1
	v_cndmask_b32_e32 v4, v4, v5, vcc_lo
	v_lshlrev_b32_e32 v5, 24, v1
	v_and_b32_e32 v6, 7, v6
	v_lshl_add_u32 v4, v4, 23, 0x3b800000
	v_and_b32_e32 v5, 0x80000000, v5
	v_cndmask_b32_e32 v0, v0, v6, vcc_lo
	v_lshlrev_b32_e32 v0, 20, v0
	v_or3_b32 v0, v5, v4, v0
.LBB6_1520:                             ;   in Loop: Header=BB6_130 Depth=2
	s_or_b32 exec_lo, exec_lo, s13
	v_cmp_gt_i16_sdwa s13, v20, v113 src0_sel:BYTE_0 src1_sel:DWORD
	s_mov_b32 s40, 0
	s_and_saveexec_b32 s41, s13
	s_xor_b32 s13, exec_lo, s41
	s_cbranch_execz .LBB6_2538
; %bb.1521:                             ;   in Loop: Header=BB6_130 Depth=2
	v_cmp_eq_u16_sdwa s42, v20, v114 src0_sel:BYTE_0 src1_sel:DWORD
	s_mov_b32 s40, -1
	s_and_saveexec_b32 s41, s42
; %bb.1522:                             ;   in Loop: Header=BB6_130 Depth=2
	s_xor_b32 s40, exec_lo, -1
; %bb.1523:                             ;   in Loop: Header=BB6_130 Depth=2
	s_or_b32 exec_lo, exec_lo, s41
	s_and_b32 s40, s40, exec_lo
	s_or_saveexec_b32 s13, s13
	v_mov_b32_e32 v4, 0x7f800001
	s_xor_b32 exec_lo, exec_lo, s13
	s_cbranch_execnz .LBB6_2539
.LBB6_1524:                             ;   in Loop: Header=BB6_130 Depth=2
	s_or_b32 exec_lo, exec_lo, s13
	s_and_saveexec_b32 s13, s40
	s_cbranch_execz .LBB6_1526
.LBB6_1525:                             ;   in Loop: Header=BB6_130 Depth=2
	v_and_b32_e32 v4, 7, v20
	v_bfe_u32 v5, v20, 3, 4
	v_ffbh_u32_e32 v6, v4
	v_cmp_eq_u32_e32 vcc_lo, 0, v5
	v_min_u32_e32 v6, 32, v6
	v_subrev_nc_u32_e32 v7, 28, v6
	v_sub_nc_u32_e32 v6, 29, v6
	v_lshlrev_b32_e32 v7, v7, v20
	v_cndmask_b32_e32 v5, v5, v6, vcc_lo
	v_lshlrev_b32_e32 v6, 24, v20
	v_and_b32_e32 v7, 7, v7
	v_lshl_add_u32 v5, v5, 23, 0x3b800000
	v_and_b32_e32 v6, 0x80000000, v6
	v_cndmask_b32_e32 v4, v4, v7, vcc_lo
	v_lshlrev_b32_e32 v4, 20, v4
	v_or3_b32 v4, v6, v5, v4
.LBB6_1526:                             ;   in Loop: Header=BB6_130 Depth=2
	s_or_b32 exec_lo, exec_lo, s13
	v_add_f32_e32 v0, v0, v4
	v_mov_b32_e32 v26, 0x80
	s_mov_b32 s40, exec_lo
	v_and_b32_e32 v4, 0x7f800000, v0
	v_cmpx_ne_u32_e32 0x7f800000, v4
	s_cbranch_execz .LBB6_1534
; %bb.1527:                             ;   in Loop: Header=BB6_130 Depth=2
	v_mov_b32_e32 v26, 0
	s_mov_b32 s41, exec_lo
	v_cmpx_ne_u32_e32 0, v0
	s_cbranch_execz .LBB6_1533
; %bb.1528:                             ;   in Loop: Header=BB6_130 Depth=2
	v_bfe_u32 v5, v0, 23, 8
	v_and_b32_e32 v4, 0x7fffff, v0
	v_cmp_gt_u32_e64 s13, 0x79, v5
	v_sub_nc_u32_e32 v6, 0x78, v5
	v_cmp_eq_u32_e32 vcc_lo, 0, v5
	v_or_b32_e32 v7, 0x800000, v4
	v_cndmask_b32_e64 v6, 0, v6, s13
	v_cndmask_b32_e32 v4, v7, v4, vcc_lo
	v_cndmask_b32_e64 v6, v6, 0x77, vcc_lo
	v_lshl_add_u32 v7, 0x100000, v6, -1
	v_lshlrev_b32_e64 v8, v6, 0x80000
	v_and_b32_e32 v7, v7, v4
	v_cmp_eq_u32_e64 s13, v7, v8
	v_lshrrev_b32_e32 v7, v6, v4
	v_add_nc_u32_e32 v4, 0xffffff89, v5
	v_lshrrev_b32_e32 v5, 23, v7
	v_cndmask_b32_e64 v4, v4, 0xffffff8a, vcc_lo
	v_xor_b32_e32 v5, 1, v5
	v_add_nc_u32_e32 v4, v6, v4
	v_bfe_u32 v6, v7, 20, 1
	v_add_nc_u32_e32 v6, -1, v6
	v_cndmask_b32_e64 v6, 0, v6, s13
	s_mov_b32 s13, exec_lo
	v_add_nc_u32_e32 v6, v6, v7
	v_and_b32_e32 v6, 0xfffff, v6
	v_add_nc_u32_e32 v6, v6, v7
                                        ; implicit-def: $vgpr7
	v_cmpx_ne_u32_e64 v4, v5
	s_xor_b32 s13, exec_lo, s13
; %bb.1529:                             ;   in Loop: Header=BB6_130 Depth=2
	v_cmp_lt_u32_e32 vcc_lo, 0xffffff, v6
	v_sub_nc_u32_e32 v4, v4, v5
	v_cndmask_b32_e64 v5, 0, 1, vcc_lo
	v_add_co_ci_u32_e64 v7, null, 0, v4, vcc_lo
	v_lshrrev_b32_e32 v6, v5, v6
; %bb.1530:                             ;   in Loop: Header=BB6_130 Depth=2
	s_andn2_saveexec_b32 s13, s13
; %bb.1531:                             ;   in Loop: Header=BB6_130 Depth=2
	v_bfe_u32 v7, v6, 23, 1
; %bb.1532:                             ;   in Loop: Header=BB6_130 Depth=2
	s_or_b32 exec_lo, exec_lo, s13
	v_lshrrev_b32_e32 v4, 20, v6
	v_min_i32_e32 v5, 15, v7
	v_cmp_gt_i32_e32 vcc_lo, 16, v7
	v_and_b32_sdwa v0, v0, v114 dst_sel:DWORD dst_unused:UNUSED_PAD src0_sel:BYTE_3 src1_sel:DWORD
	v_lshlrev_b32_e32 v5, 3, v5
	v_cndmask_b32_e32 v4, 7, v4, vcc_lo
	v_and_b32_e32 v5, 0xf8, v5
	v_or_b32_e32 v6, v7, v4
	v_and_b32_e32 v4, 7, v4
	v_cmp_ne_u32_e32 vcc_lo, 0, v6
	v_or3_b32 v0, v5, v0, v4
	v_cndmask_b32_e32 v26, 0, v0, vcc_lo
.LBB6_1533:                             ;   in Loop: Header=BB6_130 Depth=2
	s_or_b32 exec_lo, exec_lo, s41
.LBB6_1534:                             ;   in Loop: Header=BB6_130 Depth=2
	s_or_b32 exec_lo, exec_lo, s40
	v_cmp_gt_i16_sdwa s40, v1, v113 src0_sel:BYTE_1 src1_sel:DWORD
	s_mov_b32 s13, 0
	s_and_saveexec_b32 s41, s40
	s_xor_b32 s40, exec_lo, s41
	s_cbranch_execz .LBB6_2540
; %bb.1535:                             ;   in Loop: Header=BB6_130 Depth=2
	v_cmp_eq_u16_sdwa s42, v1, v114 src0_sel:BYTE_1 src1_sel:DWORD
	s_mov_b32 s13, -1
	s_and_saveexec_b32 s41, s42
; %bb.1536:                             ;   in Loop: Header=BB6_130 Depth=2
	s_xor_b32 s13, exec_lo, -1
; %bb.1537:                             ;   in Loop: Header=BB6_130 Depth=2
	s_or_b32 exec_lo, exec_lo, s41
	s_and_b32 s13, s13, exec_lo
	s_or_saveexec_b32 s40, s40
	v_mov_b32_e32 v0, 0x7f800001
	s_xor_b32 exec_lo, exec_lo, s40
	s_cbranch_execnz .LBB6_2541
.LBB6_1538:                             ;   in Loop: Header=BB6_130 Depth=2
	s_or_b32 exec_lo, exec_lo, s40
	s_and_saveexec_b32 s40, s13
	s_cbranch_execz .LBB6_1540
.LBB6_1539:                             ;   in Loop: Header=BB6_130 Depth=2
	v_and_b32_sdwa v0, v115, v1 dst_sel:DWORD dst_unused:UNUSED_PAD src0_sel:DWORD src1_sel:BYTE_1
	v_and_b32_e32 v4, 7, v0
	v_bfe_u32 v7, v0, 3, 4
	v_ffbh_u32_e32 v5, v4
	v_cmp_eq_u32_e32 vcc_lo, 0, v7
	v_min_u32_e32 v5, 32, v5
	v_subrev_nc_u32_e32 v6, 28, v5
	v_sub_nc_u32_e32 v5, 29, v5
	v_lshlrev_b32_e32 v0, v6, v0
	v_lshlrev_b32_sdwa v6, v116, v1 dst_sel:DWORD dst_unused:UNUSED_PAD src0_sel:DWORD src1_sel:BYTE_1
	v_cndmask_b32_e32 v5, v7, v5, vcc_lo
	v_and_b32_e32 v0, 7, v0
	v_lshl_add_u32 v5, v5, 23, 0x3b800000
	v_cndmask_b32_e32 v0, v4, v0, vcc_lo
	v_and_b32_e32 v4, 0x80000000, v6
	v_lshlrev_b32_e32 v0, 20, v0
	v_or3_b32 v0, v4, v5, v0
.LBB6_1540:                             ;   in Loop: Header=BB6_130 Depth=2
	s_or_b32 exec_lo, exec_lo, s40
	v_cmp_gt_i16_sdwa s40, v20, v113 src0_sel:BYTE_1 src1_sel:DWORD
	s_mov_b32 s13, 0
	s_and_saveexec_b32 s41, s40
	s_xor_b32 s40, exec_lo, s41
	s_cbranch_execz .LBB6_2542
; %bb.1541:                             ;   in Loop: Header=BB6_130 Depth=2
	v_cmp_eq_u16_sdwa s42, v20, v114 src0_sel:BYTE_1 src1_sel:DWORD
	s_mov_b32 s13, -1
	s_and_saveexec_b32 s41, s42
; %bb.1542:                             ;   in Loop: Header=BB6_130 Depth=2
	s_xor_b32 s13, exec_lo, -1
; %bb.1543:                             ;   in Loop: Header=BB6_130 Depth=2
	s_or_b32 exec_lo, exec_lo, s41
	s_and_b32 s13, s13, exec_lo
	s_or_saveexec_b32 s40, s40
	v_mov_b32_e32 v4, 0x7f800001
	s_xor_b32 exec_lo, exec_lo, s40
	s_cbranch_execnz .LBB6_2543
.LBB6_1544:                             ;   in Loop: Header=BB6_130 Depth=2
	s_or_b32 exec_lo, exec_lo, s40
	s_and_saveexec_b32 s40, s13
	s_cbranch_execz .LBB6_1546
.LBB6_1545:                             ;   in Loop: Header=BB6_130 Depth=2
	v_and_b32_sdwa v4, v115, v20 dst_sel:DWORD dst_unused:UNUSED_PAD src0_sel:DWORD src1_sel:BYTE_1
	v_and_b32_e32 v5, 7, v4
	v_bfe_u32 v8, v4, 3, 4
	v_ffbh_u32_e32 v6, v5
	v_cmp_eq_u32_e32 vcc_lo, 0, v8
	v_min_u32_e32 v6, 32, v6
	v_subrev_nc_u32_e32 v7, 28, v6
	v_sub_nc_u32_e32 v6, 29, v6
	v_lshlrev_b32_e32 v4, v7, v4
	v_lshlrev_b32_sdwa v7, v116, v20 dst_sel:DWORD dst_unused:UNUSED_PAD src0_sel:DWORD src1_sel:BYTE_1
	v_cndmask_b32_e32 v6, v8, v6, vcc_lo
	v_and_b32_e32 v4, 7, v4
	v_lshl_add_u32 v6, v6, 23, 0x3b800000
	v_cndmask_b32_e32 v4, v5, v4, vcc_lo
	v_and_b32_e32 v5, 0x80000000, v7
	v_lshlrev_b32_e32 v4, 20, v4
	v_or3_b32 v4, v5, v6, v4
.LBB6_1546:                             ;   in Loop: Header=BB6_130 Depth=2
	s_or_b32 exec_lo, exec_lo, s40
	v_add_f32_e32 v4, v0, v4
	v_and_b32_e32 v0, 0x7f800000, v4
	v_cmp_ne_u32_e32 vcc_lo, 0x7f800000, v0
	v_mov_b32_e32 v0, 0x8000
	s_and_saveexec_b32 s40, vcc_lo
	s_cbranch_execz .LBB6_1554
; %bb.1547:                             ;   in Loop: Header=BB6_130 Depth=2
	v_mov_b32_e32 v0, 0
	s_mov_b32 s41, exec_lo
	v_cmpx_ne_u32_e32 0, v4
	s_cbranch_execz .LBB6_1553
; %bb.1548:                             ;   in Loop: Header=BB6_130 Depth=2
	v_bfe_u32 v5, v4, 23, 8
	v_and_b32_e32 v0, 0x7fffff, v4
	v_cmp_gt_u32_e64 s13, 0x79, v5
	v_sub_nc_u32_e32 v6, 0x78, v5
	v_cmp_eq_u32_e32 vcc_lo, 0, v5
	v_or_b32_e32 v7, 0x800000, v0
	v_cndmask_b32_e64 v6, 0, v6, s13
	v_cndmask_b32_e32 v0, v7, v0, vcc_lo
	v_cndmask_b32_e64 v6, v6, 0x77, vcc_lo
	v_lshl_add_u32 v7, 0x100000, v6, -1
	v_lshlrev_b32_e64 v8, v6, 0x80000
	v_and_b32_e32 v7, v7, v0
	v_cmp_eq_u32_e64 s13, v7, v8
	v_lshrrev_b32_e32 v7, v6, v0
	v_add_nc_u32_e32 v0, 0xffffff89, v5
	v_lshrrev_b32_e32 v5, 23, v7
	v_cndmask_b32_e64 v0, v0, 0xffffff8a, vcc_lo
	v_xor_b32_e32 v5, 1, v5
	v_add_nc_u32_e32 v0, v6, v0
	v_bfe_u32 v6, v7, 20, 1
	v_add_nc_u32_e32 v6, -1, v6
	v_cndmask_b32_e64 v6, 0, v6, s13
	s_mov_b32 s13, exec_lo
	v_add_nc_u32_e32 v6, v6, v7
	v_and_b32_e32 v6, 0xfffff, v6
	v_add_nc_u32_e32 v6, v6, v7
                                        ; implicit-def: $vgpr7
	v_cmpx_ne_u32_e64 v0, v5
	s_xor_b32 s13, exec_lo, s13
; %bb.1549:                             ;   in Loop: Header=BB6_130 Depth=2
	v_cmp_lt_u32_e32 vcc_lo, 0xffffff, v6
	v_sub_nc_u32_e32 v0, v0, v5
	v_cndmask_b32_e64 v5, 0, 1, vcc_lo
	v_add_co_ci_u32_e64 v7, null, 0, v0, vcc_lo
	v_lshrrev_b32_e32 v6, v5, v6
; %bb.1550:                             ;   in Loop: Header=BB6_130 Depth=2
	s_andn2_saveexec_b32 s13, s13
; %bb.1551:                             ;   in Loop: Header=BB6_130 Depth=2
	v_bfe_u32 v7, v6, 23, 1
; %bb.1552:                             ;   in Loop: Header=BB6_130 Depth=2
	s_or_b32 exec_lo, exec_lo, s13
	v_and_b32_sdwa v0, v4, v114 dst_sel:DWORD dst_unused:UNUSED_PAD src0_sel:BYTE_3 src1_sel:DWORD
	v_lshrrev_b32_e32 v4, 20, v6
	v_min_i32_e32 v5, 15, v7
	v_cmp_gt_i32_e32 vcc_lo, 16, v7
	v_lshlrev_b32_e32 v5, 3, v5
	v_cndmask_b32_e32 v4, 7, v4, vcc_lo
	v_and_b32_e32 v5, 0xf8, v5
	v_or_b32_e32 v6, v7, v4
	v_and_b32_e32 v4, 7, v4
	v_cmp_ne_u32_e32 vcc_lo, 0, v6
	v_or3_b32 v0, v0, v5, v4
	v_lshlrev_b32_e32 v0, 8, v0
	v_cndmask_b32_e32 v0, 0, v0, vcc_lo
.LBB6_1553:                             ;   in Loop: Header=BB6_130 Depth=2
	s_or_b32 exec_lo, exec_lo, s41
.LBB6_1554:                             ;   in Loop: Header=BB6_130 Depth=2
	s_or_b32 exec_lo, exec_lo, s40
	v_or_b32_e32 v4, v87, v126
	s_mov_b32 s40, 0
	v_cmp_gt_i16_sdwa s13, v4, v113 src0_sel:BYTE_0 src1_sel:DWORD
	s_and_saveexec_b32 s41, s13
	s_xor_b32 s13, exec_lo, s41
	s_cbranch_execz .LBB6_2544
; %bb.1555:                             ;   in Loop: Header=BB6_130 Depth=2
	v_cmp_eq_u16_sdwa s42, v4, v114 src0_sel:BYTE_0 src1_sel:DWORD
	s_mov_b32 s40, -1
	s_and_saveexec_b32 s41, s42
; %bb.1556:                             ;   in Loop: Header=BB6_130 Depth=2
	s_xor_b32 s40, exec_lo, -1
; %bb.1557:                             ;   in Loop: Header=BB6_130 Depth=2
	s_or_b32 exec_lo, exec_lo, s41
	s_and_b32 s40, s40, exec_lo
	s_or_saveexec_b32 s13, s13
	v_mov_b32_e32 v5, 0x7f800001
	s_xor_b32 exec_lo, exec_lo, s13
	s_cbranch_execnz .LBB6_2545
.LBB6_1558:                             ;   in Loop: Header=BB6_130 Depth=2
	s_or_b32 exec_lo, exec_lo, s13
	v_lshl_or_b32 v4, v4, 16, v1
	s_and_saveexec_b32 s13, s40
	s_cbranch_execz .LBB6_1560
.LBB6_1559:                             ;   in Loop: Header=BB6_130 Depth=2
	v_bfe_u32 v1, v4, 16, 3
	v_bfe_u32 v5, v4, 19, 4
	v_ffbh_u32_e32 v6, v1
	v_cmp_eq_u32_e32 vcc_lo, 0, v5
	v_min_u32_e32 v6, 32, v6
	v_subrev_nc_u32_e32 v7, 28, v6
	v_sub_nc_u32_e32 v6, 29, v6
	v_lshlrev_b32_sdwa v7, v7, v4 dst_sel:DWORD dst_unused:UNUSED_PAD src0_sel:DWORD src1_sel:WORD_1
	v_cndmask_b32_e32 v5, v5, v6, vcc_lo
	v_lshlrev_b32_e32 v6, 8, v4
	v_and_b32_e32 v7, 7, v7
	v_lshl_add_u32 v5, v5, 23, 0x3b800000
	v_and_b32_e32 v6, 0x80000000, v6
	v_cndmask_b32_e32 v1, v1, v7, vcc_lo
	v_lshlrev_b32_e32 v1, 20, v1
	v_or3_b32 v5, v6, v5, v1
.LBB6_1560:                             ;   in Loop: Header=BB6_130 Depth=2
	s_or_b32 exec_lo, exec_lo, s13
	v_and_b32_sdwa v6, v20, v117 dst_sel:DWORD dst_unused:UNUSED_PAD src0_sel:WORD_1 src1_sel:DWORD
	s_mov_b32 s40, 0
	s_mov_b32 s13, exec_lo
	v_cmpx_lt_i16_e32 0x7f, v6
	s_xor_b32 s13, exec_lo, s13
	s_cbranch_execz .LBB6_2546
; %bb.1561:                             ;   in Loop: Header=BB6_130 Depth=2
	s_mov_b32 s40, -1
	s_mov_b32 s41, exec_lo
	v_cmpx_eq_u16_e32 0x80, v6
; %bb.1562:                             ;   in Loop: Header=BB6_130 Depth=2
	s_xor_b32 s40, exec_lo, -1
; %bb.1563:                             ;   in Loop: Header=BB6_130 Depth=2
	s_or_b32 exec_lo, exec_lo, s41
	s_and_b32 s40, s40, exec_lo
                                        ; implicit-def: $vgpr6
	s_or_saveexec_b32 s13, s13
	v_mov_b32_e32 v1, 0x7f800001
	s_xor_b32 exec_lo, exec_lo, s13
	s_cbranch_execnz .LBB6_2547
.LBB6_1564:                             ;   in Loop: Header=BB6_130 Depth=2
	s_or_b32 exec_lo, exec_lo, s13
	s_and_saveexec_b32 s13, s40
	s_cbranch_execz .LBB6_1566
.LBB6_1565:                             ;   in Loop: Header=BB6_130 Depth=2
	v_bfe_u32 v1, v20, 16, 3
	v_bfe_u32 v6, v20, 19, 4
	v_ffbh_u32_e32 v7, v1
	v_cmp_eq_u32_e32 vcc_lo, 0, v6
	v_min_u32_e32 v7, 32, v7
	v_subrev_nc_u32_e32 v8, 28, v7
	v_sub_nc_u32_e32 v7, 29, v7
	v_lshlrev_b32_sdwa v8, v8, v20 dst_sel:DWORD dst_unused:UNUSED_PAD src0_sel:DWORD src1_sel:WORD_1
	v_cndmask_b32_e32 v6, v6, v7, vcc_lo
	v_lshlrev_b32_e32 v7, 8, v20
	v_and_b32_e32 v8, 7, v8
	v_lshl_add_u32 v6, v6, 23, 0x3b800000
	v_and_b32_e32 v7, 0x80000000, v7
	v_cndmask_b32_e32 v1, v1, v8, vcc_lo
	v_lshlrev_b32_e32 v1, 20, v1
	v_or3_b32 v1, v7, v6, v1
.LBB6_1566:                             ;   in Loop: Header=BB6_130 Depth=2
	s_or_b32 exec_lo, exec_lo, s13
	v_add_f32_e32 v5, v5, v1
	v_and_b32_e32 v1, 0x7f800000, v5
	v_cmp_ne_u32_e32 vcc_lo, 0x7f800000, v1
	v_mov_b32_e32 v1, 0x80
	s_and_saveexec_b32 s40, vcc_lo
	s_cbranch_execz .LBB6_1574
; %bb.1567:                             ;   in Loop: Header=BB6_130 Depth=2
	v_mov_b32_e32 v1, 0
	s_mov_b32 s41, exec_lo
	v_cmpx_ne_u32_e32 0, v5
	s_cbranch_execz .LBB6_1573
; %bb.1568:                             ;   in Loop: Header=BB6_130 Depth=2
	v_bfe_u32 v6, v5, 23, 8
	v_and_b32_e32 v1, 0x7fffff, v5
	v_cmp_gt_u32_e64 s13, 0x79, v6
	v_sub_nc_u32_e32 v7, 0x78, v6
	v_cmp_eq_u32_e32 vcc_lo, 0, v6
	v_or_b32_e32 v8, 0x800000, v1
	v_cndmask_b32_e64 v7, 0, v7, s13
	v_cndmask_b32_e32 v1, v8, v1, vcc_lo
	v_cndmask_b32_e64 v7, v7, 0x77, vcc_lo
	v_lshl_add_u32 v8, 0x100000, v7, -1
	v_lshlrev_b32_e64 v9, v7, 0x80000
	v_and_b32_e32 v8, v8, v1
	v_cmp_eq_u32_e64 s13, v8, v9
	v_lshrrev_b32_e32 v8, v7, v1
	v_add_nc_u32_e32 v1, 0xffffff89, v6
	v_lshrrev_b32_e32 v6, 23, v8
	v_cndmask_b32_e64 v1, v1, 0xffffff8a, vcc_lo
	v_xor_b32_e32 v6, 1, v6
	v_add_nc_u32_e32 v1, v7, v1
	v_bfe_u32 v7, v8, 20, 1
	v_add_nc_u32_e32 v7, -1, v7
	v_cndmask_b32_e64 v7, 0, v7, s13
	s_mov_b32 s13, exec_lo
	v_add_nc_u32_e32 v7, v7, v8
	v_and_b32_e32 v7, 0xfffff, v7
	v_add_nc_u32_e32 v7, v7, v8
                                        ; implicit-def: $vgpr8
	v_cmpx_ne_u32_e64 v1, v6
	s_xor_b32 s13, exec_lo, s13
; %bb.1569:                             ;   in Loop: Header=BB6_130 Depth=2
	v_cmp_lt_u32_e32 vcc_lo, 0xffffff, v7
	v_sub_nc_u32_e32 v1, v1, v6
	v_cndmask_b32_e64 v6, 0, 1, vcc_lo
	v_add_co_ci_u32_e64 v8, null, 0, v1, vcc_lo
	v_lshrrev_b32_e32 v7, v6, v7
; %bb.1570:                             ;   in Loop: Header=BB6_130 Depth=2
	s_andn2_saveexec_b32 s13, s13
; %bb.1571:                             ;   in Loop: Header=BB6_130 Depth=2
	v_bfe_u32 v8, v7, 23, 1
; %bb.1572:                             ;   in Loop: Header=BB6_130 Depth=2
	s_or_b32 exec_lo, exec_lo, s13
	v_and_b32_sdwa v1, v5, v114 dst_sel:DWORD dst_unused:UNUSED_PAD src0_sel:BYTE_3 src1_sel:DWORD
	v_lshrrev_b32_e32 v5, 20, v7
	v_min_i32_e32 v6, 15, v8
	v_cmp_gt_i32_e32 vcc_lo, 16, v8
	v_lshlrev_b32_e32 v6, 3, v6
	v_cndmask_b32_e32 v5, 7, v5, vcc_lo
	v_and_b32_e32 v6, 0xf8, v6
	v_or_b32_e32 v7, v8, v5
	v_and_b32_e32 v5, 7, v5
	v_cmp_ne_u32_e32 vcc_lo, 0, v7
	v_or3_b32 v1, v6, v1, v5
	v_cndmask_b32_e32 v1, 0, v1, vcc_lo
.LBB6_1573:                             ;   in Loop: Header=BB6_130 Depth=2
	s_or_b32 exec_lo, exec_lo, s41
.LBB6_1574:                             ;   in Loop: Header=BB6_130 Depth=2
	s_or_b32 exec_lo, exec_lo, s40
	v_cmp_gt_i16_sdwa s40, v4, v113 src0_sel:BYTE_3 src1_sel:DWORD
	s_mov_b32 s13, 0
	s_and_saveexec_b32 s41, s40
	s_xor_b32 s40, exec_lo, s41
	s_cbranch_execz .LBB6_2548
; %bb.1575:                             ;   in Loop: Header=BB6_130 Depth=2
	v_cmp_eq_u16_sdwa s42, v4, v114 src0_sel:BYTE_3 src1_sel:DWORD
	s_mov_b32 s13, -1
	s_and_saveexec_b32 s41, s42
; %bb.1576:                             ;   in Loop: Header=BB6_130 Depth=2
	s_xor_b32 s13, exec_lo, -1
; %bb.1577:                             ;   in Loop: Header=BB6_130 Depth=2
	s_or_b32 exec_lo, exec_lo, s41
	s_and_b32 s13, s13, exec_lo
	s_or_saveexec_b32 s40, s40
	v_mov_b32_e32 v5, 0x7f800001
	s_xor_b32 exec_lo, exec_lo, s40
	s_cbranch_execnz .LBB6_2549
.LBB6_1578:                             ;   in Loop: Header=BB6_130 Depth=2
	s_or_b32 exec_lo, exec_lo, s40
	s_and_saveexec_b32 s40, s13
	s_cbranch_execz .LBB6_1580
.LBB6_1579:                             ;   in Loop: Header=BB6_130 Depth=2
	v_bfe_u32 v5, v4, 24, 3
	v_bfe_u32 v8, v4, 27, 4
	v_ffbh_u32_e32 v6, v5
	v_cmp_eq_u32_e32 vcc_lo, 0, v8
	v_min_u32_e32 v6, 32, v6
	v_subrev_nc_u32_e32 v7, 28, v6
	v_sub_nc_u32_e32 v6, 29, v6
	v_lshlrev_b32_sdwa v7, v7, v4 dst_sel:DWORD dst_unused:UNUSED_PAD src0_sel:DWORD src1_sel:BYTE_3
	v_cndmask_b32_e32 v6, v8, v6, vcc_lo
	v_and_b32_e32 v4, 0x80000000, v4
	v_and_b32_e32 v7, 7, v7
	v_lshl_add_u32 v6, v6, 23, 0x3b800000
	v_cndmask_b32_e32 v5, v5, v7, vcc_lo
	v_lshlrev_b32_e32 v5, 20, v5
	v_or3_b32 v5, v4, v6, v5
.LBB6_1580:                             ;   in Loop: Header=BB6_130 Depth=2
	s_or_b32 exec_lo, exec_lo, s40
	v_cmp_gt_i16_sdwa s40, v20, v113 src0_sel:BYTE_3 src1_sel:DWORD
	s_mov_b32 s13, 0
	s_and_saveexec_b32 s41, s40
	s_xor_b32 s40, exec_lo, s41
	s_cbranch_execz .LBB6_2550
; %bb.1581:                             ;   in Loop: Header=BB6_130 Depth=2
	v_cmp_eq_u16_sdwa s42, v20, v114 src0_sel:BYTE_3 src1_sel:DWORD
	s_mov_b32 s13, -1
	s_and_saveexec_b32 s41, s42
; %bb.1582:                             ;   in Loop: Header=BB6_130 Depth=2
	s_xor_b32 s13, exec_lo, -1
; %bb.1583:                             ;   in Loop: Header=BB6_130 Depth=2
	s_or_b32 exec_lo, exec_lo, s41
	s_and_b32 s13, s13, exec_lo
	s_or_saveexec_b32 s40, s40
	v_mov_b32_e32 v4, 0x7f800001
	s_xor_b32 exec_lo, exec_lo, s40
	s_cbranch_execnz .LBB6_2551
.LBB6_1584:                             ;   in Loop: Header=BB6_130 Depth=2
	s_or_b32 exec_lo, exec_lo, s40
	s_and_saveexec_b32 s40, s13
	s_cbranch_execz .LBB6_1586
.LBB6_1585:                             ;   in Loop: Header=BB6_130 Depth=2
	v_bfe_u32 v4, v20, 24, 3
	v_bfe_u32 v8, v20, 27, 4
	v_ffbh_u32_e32 v6, v4
	v_cmp_eq_u32_e32 vcc_lo, 0, v8
	v_min_u32_e32 v6, 32, v6
	v_subrev_nc_u32_e32 v7, 28, v6
	v_sub_nc_u32_e32 v6, 29, v6
	v_lshlrev_b32_sdwa v7, v7, v20 dst_sel:DWORD dst_unused:UNUSED_PAD src0_sel:DWORD src1_sel:BYTE_3
	v_cndmask_b32_e32 v6, v8, v6, vcc_lo
	v_and_b32_e32 v7, 7, v7
	v_lshl_add_u32 v6, v6, 23, 0x3b800000
	v_cndmask_b32_e32 v4, v4, v7, vcc_lo
	v_and_b32_e32 v7, 0x80000000, v20
	v_lshlrev_b32_e32 v4, 20, v4
	v_or3_b32 v4, v7, v6, v4
.LBB6_1586:                             ;   in Loop: Header=BB6_130 Depth=2
	s_or_b32 exec_lo, exec_lo, s40
	v_add_f32_e32 v4, v5, v4
	v_mov_b32_e32 v20, 0x8000
	s_mov_b32 s40, exec_lo
	v_and_b32_e32 v5, 0x7f800000, v4
	v_cmpx_ne_u32_e32 0x7f800000, v5
	s_cbranch_execz .LBB6_1594
; %bb.1587:                             ;   in Loop: Header=BB6_130 Depth=2
	v_mov_b32_e32 v20, 0
	s_mov_b32 s41, exec_lo
	v_cmpx_ne_u32_e32 0, v4
	s_cbranch_execz .LBB6_1593
; %bb.1588:                             ;   in Loop: Header=BB6_130 Depth=2
	v_bfe_u32 v6, v4, 23, 8
	v_and_b32_e32 v5, 0x7fffff, v4
	v_cmp_gt_u32_e64 s13, 0x79, v6
	v_sub_nc_u32_e32 v7, 0x78, v6
	v_cmp_eq_u32_e32 vcc_lo, 0, v6
	v_or_b32_e32 v8, 0x800000, v5
	v_cndmask_b32_e64 v7, 0, v7, s13
	v_cndmask_b32_e32 v5, v8, v5, vcc_lo
	v_cndmask_b32_e64 v7, v7, 0x77, vcc_lo
	v_lshl_add_u32 v8, 0x100000, v7, -1
	v_lshlrev_b32_e64 v9, v7, 0x80000
	v_and_b32_e32 v8, v8, v5
	v_cmp_eq_u32_e64 s13, v8, v9
	v_lshrrev_b32_e32 v8, v7, v5
	v_add_nc_u32_e32 v5, 0xffffff89, v6
	v_lshrrev_b32_e32 v6, 23, v8
	v_cndmask_b32_e64 v5, v5, 0xffffff8a, vcc_lo
	v_xor_b32_e32 v6, 1, v6
	v_add_nc_u32_e32 v5, v7, v5
	v_bfe_u32 v7, v8, 20, 1
	v_add_nc_u32_e32 v7, -1, v7
	v_cndmask_b32_e64 v7, 0, v7, s13
	s_mov_b32 s13, exec_lo
	v_add_nc_u32_e32 v7, v7, v8
	v_and_b32_e32 v7, 0xfffff, v7
	v_add_nc_u32_e32 v7, v7, v8
                                        ; implicit-def: $vgpr8
	v_cmpx_ne_u32_e64 v5, v6
	s_xor_b32 s13, exec_lo, s13
; %bb.1589:                             ;   in Loop: Header=BB6_130 Depth=2
	v_cmp_lt_u32_e32 vcc_lo, 0xffffff, v7
	v_sub_nc_u32_e32 v5, v5, v6
	v_cndmask_b32_e64 v6, 0, 1, vcc_lo
	v_add_co_ci_u32_e64 v8, null, 0, v5, vcc_lo
	v_lshrrev_b32_e32 v7, v6, v7
; %bb.1590:                             ;   in Loop: Header=BB6_130 Depth=2
	s_andn2_saveexec_b32 s13, s13
; %bb.1591:                             ;   in Loop: Header=BB6_130 Depth=2
	v_bfe_u32 v8, v7, 23, 1
; %bb.1592:                             ;   in Loop: Header=BB6_130 Depth=2
	s_or_b32 exec_lo, exec_lo, s13
	v_lshrrev_b32_e32 v5, 20, v7
	v_min_i32_e32 v6, 15, v8
	v_cmp_gt_i32_e32 vcc_lo, 16, v8
	v_and_b32_sdwa v4, v4, v114 dst_sel:DWORD dst_unused:UNUSED_PAD src0_sel:BYTE_3 src1_sel:DWORD
	v_lshlrev_b32_e32 v6, 3, v6
	v_cndmask_b32_e32 v5, 7, v5, vcc_lo
	v_and_b32_e32 v6, 0xf8, v6
	v_or_b32_e32 v7, v8, v5
	v_and_b32_e32 v5, 7, v5
	v_cmp_ne_u32_e32 vcc_lo, 0, v7
	v_or3_b32 v4, v4, v6, v5
	v_lshlrev_b32_e32 v4, 8, v4
	v_cndmask_b32_e32 v20, 0, v4, vcc_lo
.LBB6_1593:                             ;   in Loop: Header=BB6_130 Depth=2
	s_or_b32 exec_lo, exec_lo, s41
.LBB6_1594:                             ;   in Loop: Header=BB6_130 Depth=2
	s_or_b32 exec_lo, exec_lo, s40
	v_or_b32_e32 v4, v125, v3
	s_mov_b32 s40, 0
	v_cmp_gt_i16_sdwa s13, v4, v113 src0_sel:BYTE_0 src1_sel:DWORD
	s_and_saveexec_b32 s41, s13
	s_xor_b32 s13, exec_lo, s41
	s_cbranch_execz .LBB6_2552
; %bb.1595:                             ;   in Loop: Header=BB6_130 Depth=2
	v_cmp_eq_u16_sdwa s42, v4, v114 src0_sel:BYTE_0 src1_sel:DWORD
	s_mov_b32 s40, -1
	s_and_saveexec_b32 s41, s42
; %bb.1596:                             ;   in Loop: Header=BB6_130 Depth=2
	s_xor_b32 s40, exec_lo, -1
; %bb.1597:                             ;   in Loop: Header=BB6_130 Depth=2
	s_or_b32 exec_lo, exec_lo, s41
	s_and_b32 s40, s40, exec_lo
	s_or_saveexec_b32 s13, s13
	v_mov_b32_e32 v3, 0x7f800001
	s_xor_b32 exec_lo, exec_lo, s13
	s_cbranch_execnz .LBB6_2553
.LBB6_1598:                             ;   in Loop: Header=BB6_130 Depth=2
	s_or_b32 exec_lo, exec_lo, s13
	s_and_saveexec_b32 s13, s40
	s_cbranch_execz .LBB6_1600
.LBB6_1599:                             ;   in Loop: Header=BB6_130 Depth=2
	v_and_b32_e32 v3, 7, v4
	v_bfe_u32 v5, v4, 3, 4
	v_ffbh_u32_e32 v6, v3
	v_cmp_eq_u32_e32 vcc_lo, 0, v5
	v_min_u32_e32 v6, 32, v6
	v_subrev_nc_u32_e32 v7, 28, v6
	v_sub_nc_u32_e32 v6, 29, v6
	v_lshlrev_b32_e32 v7, v7, v4
	v_cndmask_b32_e32 v5, v5, v6, vcc_lo
	v_lshlrev_b32_e32 v6, 24, v4
	v_and_b32_e32 v7, 7, v7
	v_lshl_add_u32 v5, v5, 23, 0x3b800000
	v_and_b32_e32 v6, 0x80000000, v6
	v_cndmask_b32_e32 v3, v3, v7, vcc_lo
	v_lshlrev_b32_e32 v3, 20, v3
	v_or3_b32 v3, v6, v5, v3
.LBB6_1600:                             ;   in Loop: Header=BB6_130 Depth=2
	s_or_b32 exec_lo, exec_lo, s13
	v_cmp_gt_i16_sdwa s13, v21, v113 src0_sel:BYTE_0 src1_sel:DWORD
	s_mov_b32 s40, 0
	s_and_saveexec_b32 s41, s13
	s_xor_b32 s13, exec_lo, s41
	s_cbranch_execz .LBB6_2554
; %bb.1601:                             ;   in Loop: Header=BB6_130 Depth=2
	v_cmp_eq_u16_sdwa s42, v21, v114 src0_sel:BYTE_0 src1_sel:DWORD
	s_mov_b32 s40, -1
	s_and_saveexec_b32 s41, s42
; %bb.1602:                             ;   in Loop: Header=BB6_130 Depth=2
	s_xor_b32 s40, exec_lo, -1
; %bb.1603:                             ;   in Loop: Header=BB6_130 Depth=2
	s_or_b32 exec_lo, exec_lo, s41
	s_and_b32 s40, s40, exec_lo
	s_or_saveexec_b32 s13, s13
	v_mov_b32_e32 v5, 0x7f800001
	s_xor_b32 exec_lo, exec_lo, s13
	s_cbranch_execnz .LBB6_2555
.LBB6_1604:                             ;   in Loop: Header=BB6_130 Depth=2
	s_or_b32 exec_lo, exec_lo, s13
	s_and_saveexec_b32 s13, s40
	s_cbranch_execz .LBB6_1606
.LBB6_1605:                             ;   in Loop: Header=BB6_130 Depth=2
	v_and_b32_e32 v5, 7, v21
	v_bfe_u32 v6, v21, 3, 4
	v_ffbh_u32_e32 v7, v5
	v_cmp_eq_u32_e32 vcc_lo, 0, v6
	v_min_u32_e32 v7, 32, v7
	v_subrev_nc_u32_e32 v8, 28, v7
	v_sub_nc_u32_e32 v7, 29, v7
	v_lshlrev_b32_e32 v8, v8, v21
	v_cndmask_b32_e32 v6, v6, v7, vcc_lo
	v_lshlrev_b32_e32 v7, 24, v21
	v_and_b32_e32 v8, 7, v8
	v_lshl_add_u32 v6, v6, 23, 0x3b800000
	v_and_b32_e32 v7, 0x80000000, v7
	v_cndmask_b32_e32 v5, v5, v8, vcc_lo
	v_lshlrev_b32_e32 v5, 20, v5
	v_or3_b32 v5, v7, v6, v5
.LBB6_1606:                             ;   in Loop: Header=BB6_130 Depth=2
	s_or_b32 exec_lo, exec_lo, s13
	v_add_f32_e32 v5, v3, v5
	v_and_b32_e32 v3, 0x7f800000, v5
	v_cmp_ne_u32_e32 vcc_lo, 0x7f800000, v3
	v_mov_b32_e32 v3, 0x80
	s_and_saveexec_b32 s40, vcc_lo
	s_cbranch_execz .LBB6_1614
; %bb.1607:                             ;   in Loop: Header=BB6_130 Depth=2
	v_mov_b32_e32 v3, 0
	s_mov_b32 s41, exec_lo
	v_cmpx_ne_u32_e32 0, v5
	s_cbranch_execz .LBB6_1613
; %bb.1608:                             ;   in Loop: Header=BB6_130 Depth=2
	v_bfe_u32 v6, v5, 23, 8
	v_and_b32_e32 v3, 0x7fffff, v5
	v_cmp_gt_u32_e64 s13, 0x79, v6
	v_sub_nc_u32_e32 v7, 0x78, v6
	v_cmp_eq_u32_e32 vcc_lo, 0, v6
	v_or_b32_e32 v8, 0x800000, v3
	v_cndmask_b32_e64 v7, 0, v7, s13
	v_cndmask_b32_e32 v3, v8, v3, vcc_lo
	v_cndmask_b32_e64 v7, v7, 0x77, vcc_lo
	v_lshl_add_u32 v8, 0x100000, v7, -1
	v_lshlrev_b32_e64 v9, v7, 0x80000
	v_and_b32_e32 v8, v8, v3
	v_cmp_eq_u32_e64 s13, v8, v9
	v_lshrrev_b32_e32 v8, v7, v3
	v_add_nc_u32_e32 v3, 0xffffff89, v6
	v_lshrrev_b32_e32 v6, 23, v8
	v_cndmask_b32_e64 v3, v3, 0xffffff8a, vcc_lo
	v_xor_b32_e32 v6, 1, v6
	v_add_nc_u32_e32 v3, v7, v3
	v_bfe_u32 v7, v8, 20, 1
	v_add_nc_u32_e32 v7, -1, v7
	v_cndmask_b32_e64 v7, 0, v7, s13
	s_mov_b32 s13, exec_lo
	v_add_nc_u32_e32 v7, v7, v8
	v_and_b32_e32 v7, 0xfffff, v7
	v_add_nc_u32_e32 v7, v7, v8
                                        ; implicit-def: $vgpr8
	v_cmpx_ne_u32_e64 v3, v6
	s_xor_b32 s13, exec_lo, s13
; %bb.1609:                             ;   in Loop: Header=BB6_130 Depth=2
	v_cmp_lt_u32_e32 vcc_lo, 0xffffff, v7
	v_sub_nc_u32_e32 v3, v3, v6
	v_cndmask_b32_e64 v6, 0, 1, vcc_lo
	v_add_co_ci_u32_e64 v8, null, 0, v3, vcc_lo
	v_lshrrev_b32_e32 v7, v6, v7
; %bb.1610:                             ;   in Loop: Header=BB6_130 Depth=2
	s_andn2_saveexec_b32 s13, s13
; %bb.1611:                             ;   in Loop: Header=BB6_130 Depth=2
	v_bfe_u32 v8, v7, 23, 1
; %bb.1612:                             ;   in Loop: Header=BB6_130 Depth=2
	s_or_b32 exec_lo, exec_lo, s13
	v_and_b32_sdwa v3, v5, v114 dst_sel:DWORD dst_unused:UNUSED_PAD src0_sel:BYTE_3 src1_sel:DWORD
	v_lshrrev_b32_e32 v5, 20, v7
	v_min_i32_e32 v6, 15, v8
	v_cmp_gt_i32_e32 vcc_lo, 16, v8
	v_lshlrev_b32_e32 v6, 3, v6
	v_cndmask_b32_e32 v5, 7, v5, vcc_lo
	v_and_b32_e32 v6, 0xf8, v6
	v_or_b32_e32 v7, v8, v5
	v_and_b32_e32 v5, 7, v5
	v_cmp_ne_u32_e32 vcc_lo, 0, v7
	v_or3_b32 v3, v6, v3, v5
	v_cndmask_b32_e32 v3, 0, v3, vcc_lo
.LBB6_1613:                             ;   in Loop: Header=BB6_130 Depth=2
	s_or_b32 exec_lo, exec_lo, s41
.LBB6_1614:                             ;   in Loop: Header=BB6_130 Depth=2
	s_or_b32 exec_lo, exec_lo, s40
	v_cmp_gt_i16_sdwa s40, v4, v113 src0_sel:BYTE_1 src1_sel:DWORD
	s_mov_b32 s13, 0
	s_and_saveexec_b32 s41, s40
	s_xor_b32 s40, exec_lo, s41
	s_cbranch_execz .LBB6_2556
; %bb.1615:                             ;   in Loop: Header=BB6_130 Depth=2
	v_cmp_eq_u16_sdwa s42, v4, v114 src0_sel:BYTE_1 src1_sel:DWORD
	s_mov_b32 s13, -1
	s_and_saveexec_b32 s41, s42
; %bb.1616:                             ;   in Loop: Header=BB6_130 Depth=2
	s_xor_b32 s13, exec_lo, -1
; %bb.1617:                             ;   in Loop: Header=BB6_130 Depth=2
	s_or_b32 exec_lo, exec_lo, s41
	s_and_b32 s13, s13, exec_lo
	s_or_saveexec_b32 s40, s40
	v_mov_b32_e32 v5, 0x7f800001
	s_xor_b32 exec_lo, exec_lo, s40
	s_cbranch_execnz .LBB6_2557
.LBB6_1618:                             ;   in Loop: Header=BB6_130 Depth=2
	s_or_b32 exec_lo, exec_lo, s40
	s_and_saveexec_b32 s40, s13
	s_cbranch_execz .LBB6_1620
.LBB6_1619:                             ;   in Loop: Header=BB6_130 Depth=2
	v_and_b32_sdwa v5, v115, v4 dst_sel:DWORD dst_unused:UNUSED_PAD src0_sel:DWORD src1_sel:BYTE_1
	v_and_b32_e32 v6, 7, v5
	v_bfe_u32 v9, v5, 3, 4
	v_ffbh_u32_e32 v7, v6
	v_cmp_eq_u32_e32 vcc_lo, 0, v9
	v_min_u32_e32 v7, 32, v7
	v_subrev_nc_u32_e32 v8, 28, v7
	v_sub_nc_u32_e32 v7, 29, v7
	v_lshlrev_b32_e32 v5, v8, v5
	v_lshlrev_b32_sdwa v8, v116, v4 dst_sel:DWORD dst_unused:UNUSED_PAD src0_sel:DWORD src1_sel:BYTE_1
	v_cndmask_b32_e32 v7, v9, v7, vcc_lo
	v_and_b32_e32 v5, 7, v5
	v_lshl_add_u32 v7, v7, 23, 0x3b800000
	v_cndmask_b32_e32 v5, v6, v5, vcc_lo
	v_and_b32_e32 v6, 0x80000000, v8
	v_lshlrev_b32_e32 v5, 20, v5
	v_or3_b32 v5, v6, v7, v5
.LBB6_1620:                             ;   in Loop: Header=BB6_130 Depth=2
	s_or_b32 exec_lo, exec_lo, s40
	v_cmp_gt_i16_sdwa s40, v21, v113 src0_sel:BYTE_1 src1_sel:DWORD
	s_mov_b32 s13, 0
	s_and_saveexec_b32 s41, s40
	s_xor_b32 s40, exec_lo, s41
	s_cbranch_execz .LBB6_2558
; %bb.1621:                             ;   in Loop: Header=BB6_130 Depth=2
	v_cmp_eq_u16_sdwa s42, v21, v114 src0_sel:BYTE_1 src1_sel:DWORD
	s_mov_b32 s13, -1
	s_and_saveexec_b32 s41, s42
; %bb.1622:                             ;   in Loop: Header=BB6_130 Depth=2
	s_xor_b32 s13, exec_lo, -1
; %bb.1623:                             ;   in Loop: Header=BB6_130 Depth=2
	s_or_b32 exec_lo, exec_lo, s41
	s_and_b32 s13, s13, exec_lo
	s_or_saveexec_b32 s40, s40
	v_mov_b32_e32 v6, 0x7f800001
	s_xor_b32 exec_lo, exec_lo, s40
	s_cbranch_execnz .LBB6_2559
.LBB6_1624:                             ;   in Loop: Header=BB6_130 Depth=2
	s_or_b32 exec_lo, exec_lo, s40
	s_and_saveexec_b32 s40, s13
	s_cbranch_execz .LBB6_1626
.LBB6_1625:                             ;   in Loop: Header=BB6_130 Depth=2
	v_and_b32_sdwa v6, v115, v21 dst_sel:DWORD dst_unused:UNUSED_PAD src0_sel:DWORD src1_sel:BYTE_1
	v_and_b32_e32 v7, 7, v6
	v_bfe_u32 v27, v6, 3, 4
	v_ffbh_u32_e32 v8, v7
	v_cmp_eq_u32_e32 vcc_lo, 0, v27
	v_min_u32_e32 v8, 32, v8
	v_subrev_nc_u32_e32 v9, 28, v8
	v_sub_nc_u32_e32 v8, 29, v8
	v_lshlrev_b32_e32 v6, v9, v6
	v_lshlrev_b32_sdwa v9, v116, v21 dst_sel:DWORD dst_unused:UNUSED_PAD src0_sel:DWORD src1_sel:BYTE_1
	v_cndmask_b32_e32 v8, v27, v8, vcc_lo
	v_and_b32_e32 v6, 7, v6
	v_lshl_add_u32 v8, v8, 23, 0x3b800000
	v_cndmask_b32_e32 v6, v7, v6, vcc_lo
	v_and_b32_e32 v7, 0x80000000, v9
	v_lshlrev_b32_e32 v6, 20, v6
	v_or3_b32 v6, v7, v8, v6
.LBB6_1626:                             ;   in Loop: Header=BB6_130 Depth=2
	s_or_b32 exec_lo, exec_lo, s40
	v_add_f32_e32 v5, v5, v6
	v_mov_b32_e32 v27, 0x8000
	s_mov_b32 s40, exec_lo
	v_and_b32_e32 v6, 0x7f800000, v5
	v_cmpx_ne_u32_e32 0x7f800000, v6
	s_cbranch_execz .LBB6_1634
; %bb.1627:                             ;   in Loop: Header=BB6_130 Depth=2
	v_mov_b32_e32 v27, 0
	s_mov_b32 s41, exec_lo
	v_cmpx_ne_u32_e32 0, v5
	s_cbranch_execz .LBB6_1633
; %bb.1628:                             ;   in Loop: Header=BB6_130 Depth=2
	v_bfe_u32 v7, v5, 23, 8
	v_and_b32_e32 v6, 0x7fffff, v5
	v_cmp_gt_u32_e64 s13, 0x79, v7
	v_sub_nc_u32_e32 v8, 0x78, v7
	v_cmp_eq_u32_e32 vcc_lo, 0, v7
	v_or_b32_e32 v9, 0x800000, v6
	v_cndmask_b32_e64 v8, 0, v8, s13
	v_cndmask_b32_e32 v6, v9, v6, vcc_lo
	v_cndmask_b32_e64 v8, v8, 0x77, vcc_lo
	v_lshl_add_u32 v9, 0x100000, v8, -1
	v_lshlrev_b32_e64 v27, v8, 0x80000
	v_and_b32_e32 v9, v9, v6
	v_cmp_eq_u32_e64 s13, v9, v27
	v_lshrrev_b32_e32 v9, v8, v6
	v_add_nc_u32_e32 v6, 0xffffff89, v7
	v_lshrrev_b32_e32 v7, 23, v9
	v_cndmask_b32_e64 v6, v6, 0xffffff8a, vcc_lo
	v_xor_b32_e32 v7, 1, v7
	v_add_nc_u32_e32 v6, v8, v6
	v_bfe_u32 v8, v9, 20, 1
	v_add_nc_u32_e32 v8, -1, v8
	v_cndmask_b32_e64 v8, 0, v8, s13
	s_mov_b32 s13, exec_lo
	v_add_nc_u32_e32 v8, v8, v9
	v_and_b32_e32 v8, 0xfffff, v8
	v_add_nc_u32_e32 v8, v8, v9
                                        ; implicit-def: $vgpr9
	v_cmpx_ne_u32_e64 v6, v7
	s_xor_b32 s13, exec_lo, s13
; %bb.1629:                             ;   in Loop: Header=BB6_130 Depth=2
	v_cmp_lt_u32_e32 vcc_lo, 0xffffff, v8
	v_sub_nc_u32_e32 v6, v6, v7
	v_cndmask_b32_e64 v7, 0, 1, vcc_lo
	v_add_co_ci_u32_e64 v9, null, 0, v6, vcc_lo
	v_lshrrev_b32_e32 v8, v7, v8
; %bb.1630:                             ;   in Loop: Header=BB6_130 Depth=2
	s_andn2_saveexec_b32 s13, s13
; %bb.1631:                             ;   in Loop: Header=BB6_130 Depth=2
	v_bfe_u32 v9, v8, 23, 1
; %bb.1632:                             ;   in Loop: Header=BB6_130 Depth=2
	s_or_b32 exec_lo, exec_lo, s13
	v_lshrrev_b32_e32 v6, 20, v8
	v_min_i32_e32 v7, 15, v9
	v_cmp_gt_i32_e32 vcc_lo, 16, v9
	v_and_b32_sdwa v5, v5, v114 dst_sel:DWORD dst_unused:UNUSED_PAD src0_sel:BYTE_3 src1_sel:DWORD
	v_lshlrev_b32_e32 v7, 3, v7
	v_cndmask_b32_e32 v6, 7, v6, vcc_lo
	v_and_b32_e32 v7, 0xf8, v7
	v_or_b32_e32 v8, v9, v6
	v_and_b32_e32 v6, 7, v6
	v_cmp_ne_u32_e32 vcc_lo, 0, v8
	v_or3_b32 v5, v5, v7, v6
	v_lshlrev_b32_e32 v5, 8, v5
	v_cndmask_b32_e32 v27, 0, v5, vcc_lo
.LBB6_1633:                             ;   in Loop: Header=BB6_130 Depth=2
	s_or_b32 exec_lo, exec_lo, s41
.LBB6_1634:                             ;   in Loop: Header=BB6_130 Depth=2
	s_or_b32 exec_lo, exec_lo, s40
	v_or_b32_e32 v5, v2, v123
	s_mov_b32 s40, 0
	v_cmp_gt_i16_sdwa s13, v5, v113 src0_sel:BYTE_0 src1_sel:DWORD
	s_and_saveexec_b32 s41, s13
	s_xor_b32 s13, exec_lo, s41
	s_cbranch_execz .LBB6_2560
; %bb.1635:                             ;   in Loop: Header=BB6_130 Depth=2
	v_cmp_eq_u16_sdwa s42, v5, v114 src0_sel:BYTE_0 src1_sel:DWORD
	s_mov_b32 s40, -1
	s_and_saveexec_b32 s41, s42
; %bb.1636:                             ;   in Loop: Header=BB6_130 Depth=2
	s_xor_b32 s40, exec_lo, -1
; %bb.1637:                             ;   in Loop: Header=BB6_130 Depth=2
	s_or_b32 exec_lo, exec_lo, s41
	s_and_b32 s40, s40, exec_lo
	s_or_saveexec_b32 s13, s13
	v_mov_b32_e32 v2, 0x7f800001
	s_xor_b32 exec_lo, exec_lo, s13
	s_cbranch_execnz .LBB6_2561
.LBB6_1638:                             ;   in Loop: Header=BB6_130 Depth=2
	s_or_b32 exec_lo, exec_lo, s13
	v_lshl_or_b32 v4, v5, 16, v4
	s_and_saveexec_b32 s13, s40
	s_cbranch_execz .LBB6_1640
.LBB6_1639:                             ;   in Loop: Header=BB6_130 Depth=2
	v_bfe_u32 v2, v4, 16, 3
	v_bfe_u32 v5, v4, 19, 4
	v_ffbh_u32_e32 v6, v2
	v_cmp_eq_u32_e32 vcc_lo, 0, v5
	v_min_u32_e32 v6, 32, v6
	v_subrev_nc_u32_e32 v7, 28, v6
	v_sub_nc_u32_e32 v6, 29, v6
	v_lshlrev_b32_sdwa v7, v7, v4 dst_sel:DWORD dst_unused:UNUSED_PAD src0_sel:DWORD src1_sel:WORD_1
	v_cndmask_b32_e32 v5, v5, v6, vcc_lo
	v_lshlrev_b32_e32 v6, 8, v4
	v_and_b32_e32 v7, 7, v7
	v_lshl_add_u32 v5, v5, 23, 0x3b800000
	v_and_b32_e32 v6, 0x80000000, v6
	v_cndmask_b32_e32 v2, v2, v7, vcc_lo
	v_lshlrev_b32_e32 v2, 20, v2
	v_or3_b32 v2, v6, v5, v2
.LBB6_1640:                             ;   in Loop: Header=BB6_130 Depth=2
	s_or_b32 exec_lo, exec_lo, s13
	v_and_b32_sdwa v6, v21, v117 dst_sel:DWORD dst_unused:UNUSED_PAD src0_sel:WORD_1 src1_sel:DWORD
	s_mov_b32 s40, 0
	s_mov_b32 s13, exec_lo
	v_cmpx_lt_i16_e32 0x7f, v6
	s_xor_b32 s13, exec_lo, s13
	s_cbranch_execz .LBB6_2562
; %bb.1641:                             ;   in Loop: Header=BB6_130 Depth=2
	s_mov_b32 s40, -1
	s_mov_b32 s41, exec_lo
	v_cmpx_eq_u16_e32 0x80, v6
; %bb.1642:                             ;   in Loop: Header=BB6_130 Depth=2
	s_xor_b32 s40, exec_lo, -1
; %bb.1643:                             ;   in Loop: Header=BB6_130 Depth=2
	s_or_b32 exec_lo, exec_lo, s41
	s_and_b32 s40, s40, exec_lo
                                        ; implicit-def: $vgpr6
	s_or_saveexec_b32 s13, s13
	v_mov_b32_e32 v5, 0x7f800001
	s_xor_b32 exec_lo, exec_lo, s13
	s_cbranch_execnz .LBB6_2563
.LBB6_1644:                             ;   in Loop: Header=BB6_130 Depth=2
	s_or_b32 exec_lo, exec_lo, s13
	s_and_saveexec_b32 s13, s40
	s_cbranch_execz .LBB6_1646
.LBB6_1645:                             ;   in Loop: Header=BB6_130 Depth=2
	v_bfe_u32 v5, v21, 16, 3
	v_bfe_u32 v6, v21, 19, 4
	v_ffbh_u32_e32 v7, v5
	v_cmp_eq_u32_e32 vcc_lo, 0, v6
	v_min_u32_e32 v7, 32, v7
	v_subrev_nc_u32_e32 v8, 28, v7
	v_sub_nc_u32_e32 v7, 29, v7
	v_lshlrev_b32_sdwa v8, v8, v21 dst_sel:DWORD dst_unused:UNUSED_PAD src0_sel:DWORD src1_sel:WORD_1
	v_cndmask_b32_e32 v6, v6, v7, vcc_lo
	v_lshlrev_b32_e32 v7, 8, v21
	v_and_b32_e32 v8, 7, v8
	v_lshl_add_u32 v6, v6, 23, 0x3b800000
	v_and_b32_e32 v7, 0x80000000, v7
	v_cndmask_b32_e32 v5, v5, v8, vcc_lo
	v_lshlrev_b32_e32 v5, 20, v5
	v_or3_b32 v5, v7, v6, v5
.LBB6_1646:                             ;   in Loop: Header=BB6_130 Depth=2
	s_or_b32 exec_lo, exec_lo, s13
	v_add_f32_e32 v5, v2, v5
	v_and_b32_e32 v2, 0x7f800000, v5
	v_cmp_ne_u32_e32 vcc_lo, 0x7f800000, v2
	v_mov_b32_e32 v2, 0x80
	s_and_saveexec_b32 s40, vcc_lo
	s_cbranch_execz .LBB6_1654
; %bb.1647:                             ;   in Loop: Header=BB6_130 Depth=2
	v_mov_b32_e32 v2, 0
	s_mov_b32 s41, exec_lo
	v_cmpx_ne_u32_e32 0, v5
	s_cbranch_execz .LBB6_1653
; %bb.1648:                             ;   in Loop: Header=BB6_130 Depth=2
	v_bfe_u32 v6, v5, 23, 8
	v_and_b32_e32 v2, 0x7fffff, v5
	v_cmp_gt_u32_e64 s13, 0x79, v6
	v_sub_nc_u32_e32 v7, 0x78, v6
	v_cmp_eq_u32_e32 vcc_lo, 0, v6
	v_or_b32_e32 v8, 0x800000, v2
	v_cndmask_b32_e64 v7, 0, v7, s13
	v_cndmask_b32_e32 v2, v8, v2, vcc_lo
	v_cndmask_b32_e64 v7, v7, 0x77, vcc_lo
	v_lshl_add_u32 v8, 0x100000, v7, -1
	v_lshlrev_b32_e64 v9, v7, 0x80000
	v_and_b32_e32 v8, v8, v2
	v_cmp_eq_u32_e64 s13, v8, v9
	v_lshrrev_b32_e32 v8, v7, v2
	v_add_nc_u32_e32 v2, 0xffffff89, v6
	v_lshrrev_b32_e32 v6, 23, v8
	v_cndmask_b32_e64 v2, v2, 0xffffff8a, vcc_lo
	v_xor_b32_e32 v6, 1, v6
	v_add_nc_u32_e32 v2, v7, v2
	v_bfe_u32 v7, v8, 20, 1
	v_add_nc_u32_e32 v7, -1, v7
	v_cndmask_b32_e64 v7, 0, v7, s13
	s_mov_b32 s13, exec_lo
	v_add_nc_u32_e32 v7, v7, v8
	v_and_b32_e32 v7, 0xfffff, v7
	v_add_nc_u32_e32 v7, v7, v8
                                        ; implicit-def: $vgpr8
	v_cmpx_ne_u32_e64 v2, v6
	s_xor_b32 s13, exec_lo, s13
; %bb.1649:                             ;   in Loop: Header=BB6_130 Depth=2
	v_cmp_lt_u32_e32 vcc_lo, 0xffffff, v7
	v_sub_nc_u32_e32 v2, v2, v6
	v_cndmask_b32_e64 v6, 0, 1, vcc_lo
	v_add_co_ci_u32_e64 v8, null, 0, v2, vcc_lo
	v_lshrrev_b32_e32 v7, v6, v7
; %bb.1650:                             ;   in Loop: Header=BB6_130 Depth=2
	s_andn2_saveexec_b32 s13, s13
; %bb.1651:                             ;   in Loop: Header=BB6_130 Depth=2
	v_bfe_u32 v8, v7, 23, 1
; %bb.1652:                             ;   in Loop: Header=BB6_130 Depth=2
	s_or_b32 exec_lo, exec_lo, s13
	v_and_b32_sdwa v2, v5, v114 dst_sel:DWORD dst_unused:UNUSED_PAD src0_sel:BYTE_3 src1_sel:DWORD
	v_lshrrev_b32_e32 v5, 20, v7
	v_min_i32_e32 v6, 15, v8
	v_cmp_gt_i32_e32 vcc_lo, 16, v8
	v_lshlrev_b32_e32 v6, 3, v6
	v_cndmask_b32_e32 v5, 7, v5, vcc_lo
	v_and_b32_e32 v6, 0xf8, v6
	v_or_b32_e32 v7, v8, v5
	v_and_b32_e32 v5, 7, v5
	v_cmp_ne_u32_e32 vcc_lo, 0, v7
	v_or3_b32 v2, v6, v2, v5
	v_cndmask_b32_e32 v2, 0, v2, vcc_lo
.LBB6_1653:                             ;   in Loop: Header=BB6_130 Depth=2
	s_or_b32 exec_lo, exec_lo, s41
.LBB6_1654:                             ;   in Loop: Header=BB6_130 Depth=2
	s_or_b32 exec_lo, exec_lo, s40
	v_cmp_gt_i16_sdwa s40, v4, v113 src0_sel:BYTE_3 src1_sel:DWORD
	s_mov_b32 s13, 0
	s_and_saveexec_b32 s41, s40
	s_xor_b32 s40, exec_lo, s41
	s_cbranch_execz .LBB6_2564
; %bb.1655:                             ;   in Loop: Header=BB6_130 Depth=2
	v_cmp_eq_u16_sdwa s42, v4, v114 src0_sel:BYTE_3 src1_sel:DWORD
	s_mov_b32 s13, -1
	s_and_saveexec_b32 s41, s42
; %bb.1656:                             ;   in Loop: Header=BB6_130 Depth=2
	s_xor_b32 s13, exec_lo, -1
; %bb.1657:                             ;   in Loop: Header=BB6_130 Depth=2
	s_or_b32 exec_lo, exec_lo, s41
	s_and_b32 s13, s13, exec_lo
	s_or_saveexec_b32 s40, s40
	v_mov_b32_e32 v5, 0x7f800001
	s_xor_b32 exec_lo, exec_lo, s40
	s_cbranch_execnz .LBB6_2565
.LBB6_1658:                             ;   in Loop: Header=BB6_130 Depth=2
	s_or_b32 exec_lo, exec_lo, s40
	s_and_saveexec_b32 s40, s13
	s_cbranch_execz .LBB6_1660
.LBB6_1659:                             ;   in Loop: Header=BB6_130 Depth=2
	v_bfe_u32 v5, v4, 24, 3
	v_bfe_u32 v8, v4, 27, 4
	v_ffbh_u32_e32 v6, v5
	v_cmp_eq_u32_e32 vcc_lo, 0, v8
	v_min_u32_e32 v6, 32, v6
	v_subrev_nc_u32_e32 v7, 28, v6
	v_sub_nc_u32_e32 v6, 29, v6
	v_lshlrev_b32_sdwa v7, v7, v4 dst_sel:DWORD dst_unused:UNUSED_PAD src0_sel:DWORD src1_sel:BYTE_3
	v_cndmask_b32_e32 v6, v8, v6, vcc_lo
	v_and_b32_e32 v4, 0x80000000, v4
	v_and_b32_e32 v7, 7, v7
	v_lshl_add_u32 v6, v6, 23, 0x3b800000
	v_cndmask_b32_e32 v5, v5, v7, vcc_lo
	v_lshlrev_b32_e32 v5, 20, v5
	v_or3_b32 v5, v4, v6, v5
.LBB6_1660:                             ;   in Loop: Header=BB6_130 Depth=2
	s_or_b32 exec_lo, exec_lo, s40
	v_cmp_gt_i16_sdwa s40, v21, v113 src0_sel:BYTE_3 src1_sel:DWORD
	s_mov_b32 s13, 0
	s_and_saveexec_b32 s41, s40
	s_xor_b32 s40, exec_lo, s41
	s_cbranch_execz .LBB6_2566
; %bb.1661:                             ;   in Loop: Header=BB6_130 Depth=2
	v_cmp_eq_u16_sdwa s42, v21, v114 src0_sel:BYTE_3 src1_sel:DWORD
	s_mov_b32 s13, -1
	s_and_saveexec_b32 s41, s42
; %bb.1662:                             ;   in Loop: Header=BB6_130 Depth=2
	s_xor_b32 s13, exec_lo, -1
; %bb.1663:                             ;   in Loop: Header=BB6_130 Depth=2
	s_or_b32 exec_lo, exec_lo, s41
	s_and_b32 s13, s13, exec_lo
	s_or_saveexec_b32 s40, s40
	v_mov_b32_e32 v4, 0x7f800001
	s_xor_b32 exec_lo, exec_lo, s40
	s_cbranch_execnz .LBB6_2567
.LBB6_1664:                             ;   in Loop: Header=BB6_130 Depth=2
	s_or_b32 exec_lo, exec_lo, s40
	s_and_saveexec_b32 s40, s13
	s_cbranch_execz .LBB6_1666
.LBB6_1665:                             ;   in Loop: Header=BB6_130 Depth=2
	v_bfe_u32 v4, v21, 24, 3
	v_bfe_u32 v8, v21, 27, 4
	v_ffbh_u32_e32 v6, v4
	v_cmp_eq_u32_e32 vcc_lo, 0, v8
	v_min_u32_e32 v6, 32, v6
	v_subrev_nc_u32_e32 v7, 28, v6
	v_sub_nc_u32_e32 v6, 29, v6
	v_lshlrev_b32_sdwa v7, v7, v21 dst_sel:DWORD dst_unused:UNUSED_PAD src0_sel:DWORD src1_sel:BYTE_3
	v_cndmask_b32_e32 v6, v8, v6, vcc_lo
	v_and_b32_e32 v7, 7, v7
	v_lshl_add_u32 v6, v6, 23, 0x3b800000
	v_cndmask_b32_e32 v4, v4, v7, vcc_lo
	v_and_b32_e32 v7, 0x80000000, v21
	v_lshlrev_b32_e32 v4, 20, v4
	v_or3_b32 v4, v7, v6, v4
.LBB6_1666:                             ;   in Loop: Header=BB6_130 Depth=2
	s_or_b32 exec_lo, exec_lo, s40
	v_add_f32_e32 v4, v5, v4
	v_mov_b32_e32 v21, 0x8000
	s_mov_b32 s40, exec_lo
	v_and_b32_e32 v5, 0x7f800000, v4
	v_cmpx_ne_u32_e32 0x7f800000, v5
	s_cbranch_execz .LBB6_1674
; %bb.1667:                             ;   in Loop: Header=BB6_130 Depth=2
	v_mov_b32_e32 v21, 0
	s_mov_b32 s41, exec_lo
	v_cmpx_ne_u32_e32 0, v4
	s_cbranch_execz .LBB6_1673
; %bb.1668:                             ;   in Loop: Header=BB6_130 Depth=2
	v_bfe_u32 v6, v4, 23, 8
	v_and_b32_e32 v5, 0x7fffff, v4
	v_cmp_gt_u32_e64 s13, 0x79, v6
	v_sub_nc_u32_e32 v7, 0x78, v6
	v_cmp_eq_u32_e32 vcc_lo, 0, v6
	v_or_b32_e32 v8, 0x800000, v5
	v_cndmask_b32_e64 v7, 0, v7, s13
	v_cndmask_b32_e32 v5, v8, v5, vcc_lo
	v_cndmask_b32_e64 v7, v7, 0x77, vcc_lo
	v_lshl_add_u32 v8, 0x100000, v7, -1
	v_lshlrev_b32_e64 v9, v7, 0x80000
	v_and_b32_e32 v8, v8, v5
	v_cmp_eq_u32_e64 s13, v8, v9
	v_lshrrev_b32_e32 v8, v7, v5
	v_add_nc_u32_e32 v5, 0xffffff89, v6
	v_lshrrev_b32_e32 v6, 23, v8
	v_cndmask_b32_e64 v5, v5, 0xffffff8a, vcc_lo
	v_xor_b32_e32 v6, 1, v6
	v_add_nc_u32_e32 v5, v7, v5
	v_bfe_u32 v7, v8, 20, 1
	v_add_nc_u32_e32 v7, -1, v7
	v_cndmask_b32_e64 v7, 0, v7, s13
	s_mov_b32 s13, exec_lo
	v_add_nc_u32_e32 v7, v7, v8
	v_and_b32_e32 v7, 0xfffff, v7
	v_add_nc_u32_e32 v7, v7, v8
                                        ; implicit-def: $vgpr8
	v_cmpx_ne_u32_e64 v5, v6
	s_xor_b32 s13, exec_lo, s13
; %bb.1669:                             ;   in Loop: Header=BB6_130 Depth=2
	v_cmp_lt_u32_e32 vcc_lo, 0xffffff, v7
	v_sub_nc_u32_e32 v5, v5, v6
	v_cndmask_b32_e64 v6, 0, 1, vcc_lo
	v_add_co_ci_u32_e64 v8, null, 0, v5, vcc_lo
	v_lshrrev_b32_e32 v7, v6, v7
; %bb.1670:                             ;   in Loop: Header=BB6_130 Depth=2
	s_andn2_saveexec_b32 s13, s13
; %bb.1671:                             ;   in Loop: Header=BB6_130 Depth=2
	v_bfe_u32 v8, v7, 23, 1
; %bb.1672:                             ;   in Loop: Header=BB6_130 Depth=2
	s_or_b32 exec_lo, exec_lo, s13
	v_lshrrev_b32_e32 v5, 20, v7
	v_min_i32_e32 v6, 15, v8
	v_cmp_gt_i32_e32 vcc_lo, 16, v8
	v_and_b32_sdwa v4, v4, v114 dst_sel:DWORD dst_unused:UNUSED_PAD src0_sel:BYTE_3 src1_sel:DWORD
	v_lshlrev_b32_e32 v6, 3, v6
	v_cndmask_b32_e32 v5, 7, v5, vcc_lo
	v_and_b32_e32 v6, 0xf8, v6
	v_or_b32_e32 v7, v8, v5
	v_and_b32_e32 v5, 7, v5
	v_cmp_ne_u32_e32 vcc_lo, 0, v7
	v_or3_b32 v4, v4, v6, v5
	v_lshlrev_b32_e32 v4, 8, v4
	v_cndmask_b32_e32 v21, 0, v4, vcc_lo
.LBB6_1673:                             ;   in Loop: Header=BB6_130 Depth=2
	s_or_b32 exec_lo, exec_lo, s41
.LBB6_1674:                             ;   in Loop: Header=BB6_130 Depth=2
	s_or_b32 exec_lo, exec_lo, s40
	v_or_b32_e32 v4, v122, v120
	s_mov_b32 s40, 0
	v_cmp_gt_i16_sdwa s13, v4, v113 src0_sel:BYTE_0 src1_sel:DWORD
	s_and_saveexec_b32 s41, s13
	s_xor_b32 s13, exec_lo, s41
	s_cbranch_execz .LBB6_2568
; %bb.1675:                             ;   in Loop: Header=BB6_130 Depth=2
	v_cmp_eq_u16_sdwa s42, v4, v114 src0_sel:BYTE_0 src1_sel:DWORD
	s_mov_b32 s40, -1
	s_and_saveexec_b32 s41, s42
; %bb.1676:                             ;   in Loop: Header=BB6_130 Depth=2
	s_xor_b32 s40, exec_lo, -1
; %bb.1677:                             ;   in Loop: Header=BB6_130 Depth=2
	s_or_b32 exec_lo, exec_lo, s41
	s_and_b32 s40, s40, exec_lo
	s_or_saveexec_b32 s13, s13
	v_mov_b32_e32 v5, 0x7f800001
	s_xor_b32 exec_lo, exec_lo, s13
	s_cbranch_execnz .LBB6_2569
.LBB6_1678:                             ;   in Loop: Header=BB6_130 Depth=2
	s_or_b32 exec_lo, exec_lo, s13
	s_and_saveexec_b32 s13, s40
	s_cbranch_execz .LBB6_1680
.LBB6_1679:                             ;   in Loop: Header=BB6_130 Depth=2
	v_and_b32_e32 v5, 7, v4
	v_bfe_u32 v6, v4, 3, 4
	v_ffbh_u32_e32 v7, v5
	v_cmp_eq_u32_e32 vcc_lo, 0, v6
	v_min_u32_e32 v7, 32, v7
	v_subrev_nc_u32_e32 v8, 28, v7
	v_sub_nc_u32_e32 v7, 29, v7
	v_lshlrev_b32_e32 v8, v8, v4
	v_cndmask_b32_e32 v6, v6, v7, vcc_lo
	v_lshlrev_b32_e32 v7, 24, v4
	v_and_b32_e32 v8, 7, v8
	v_lshl_add_u32 v6, v6, 23, 0x3b800000
	v_and_b32_e32 v7, 0x80000000, v7
	v_cndmask_b32_e32 v5, v5, v8, vcc_lo
	v_lshlrev_b32_e32 v5, 20, v5
	v_or3_b32 v5, v7, v6, v5
.LBB6_1680:                             ;   in Loop: Header=BB6_130 Depth=2
	s_or_b32 exec_lo, exec_lo, s13
	s_waitcnt vmcnt(1)
	v_cmp_gt_i16_sdwa s13, v14, v113 src0_sel:BYTE_0 src1_sel:DWORD
	s_mov_b32 s40, 0
	s_and_saveexec_b32 s41, s13
	s_xor_b32 s13, exec_lo, s41
	s_cbranch_execz .LBB6_2570
; %bb.1681:                             ;   in Loop: Header=BB6_130 Depth=2
	v_cmp_eq_u16_sdwa s42, v14, v114 src0_sel:BYTE_0 src1_sel:DWORD
	s_mov_b32 s40, -1
	s_and_saveexec_b32 s41, s42
; %bb.1682:                             ;   in Loop: Header=BB6_130 Depth=2
	s_xor_b32 s40, exec_lo, -1
; %bb.1683:                             ;   in Loop: Header=BB6_130 Depth=2
	s_or_b32 exec_lo, exec_lo, s41
	s_and_b32 s40, s40, exec_lo
	s_or_saveexec_b32 s13, s13
	v_mov_b32_e32 v6, 0x7f800001
	s_xor_b32 exec_lo, exec_lo, s13
	s_cbranch_execnz .LBB6_2571
.LBB6_1684:                             ;   in Loop: Header=BB6_130 Depth=2
	s_or_b32 exec_lo, exec_lo, s13
	s_and_saveexec_b32 s13, s40
	s_cbranch_execz .LBB6_1686
.LBB6_1685:                             ;   in Loop: Header=BB6_130 Depth=2
	v_and_b32_e32 v6, 7, v14
	v_bfe_u32 v7, v14, 3, 4
	v_ffbh_u32_e32 v8, v6
	v_cmp_eq_u32_e32 vcc_lo, 0, v7
	v_min_u32_e32 v8, 32, v8
	v_subrev_nc_u32_e32 v9, 28, v8
	v_sub_nc_u32_e32 v8, 29, v8
	v_lshlrev_b32_e32 v9, v9, v14
	v_cndmask_b32_e32 v7, v7, v8, vcc_lo
	v_lshlrev_b32_e32 v8, 24, v14
	v_and_b32_e32 v9, 7, v9
	v_lshl_add_u32 v7, v7, 23, 0x3b800000
	v_and_b32_e32 v8, 0x80000000, v8
	v_cndmask_b32_e32 v6, v6, v9, vcc_lo
	v_lshlrev_b32_e32 v6, 20, v6
	v_or3_b32 v6, v8, v7, v6
.LBB6_1686:                             ;   in Loop: Header=BB6_130 Depth=2
	s_or_b32 exec_lo, exec_lo, s13
	v_add_f32_e32 v5, v5, v6
	v_mov_b32_e32 v34, 0x80
	s_mov_b32 s40, exec_lo
	v_and_b32_e32 v6, 0x7f800000, v5
	v_cmpx_ne_u32_e32 0x7f800000, v6
	s_cbranch_execz .LBB6_1694
; %bb.1687:                             ;   in Loop: Header=BB6_130 Depth=2
	v_mov_b32_e32 v34, 0
	s_mov_b32 s41, exec_lo
	v_cmpx_ne_u32_e32 0, v5
	s_cbranch_execz .LBB6_1693
; %bb.1688:                             ;   in Loop: Header=BB6_130 Depth=2
	v_bfe_u32 v7, v5, 23, 8
	v_and_b32_e32 v6, 0x7fffff, v5
	v_cmp_gt_u32_e64 s13, 0x79, v7
	v_sub_nc_u32_e32 v8, 0x78, v7
	v_cmp_eq_u32_e32 vcc_lo, 0, v7
	v_or_b32_e32 v9, 0x800000, v6
	v_cndmask_b32_e64 v8, 0, v8, s13
	v_cndmask_b32_e32 v6, v9, v6, vcc_lo
	v_cndmask_b32_e64 v8, v8, 0x77, vcc_lo
	v_lshl_add_u32 v9, 0x100000, v8, -1
	v_lshlrev_b32_e64 v32, v8, 0x80000
	v_and_b32_e32 v9, v9, v6
	v_cmp_eq_u32_e64 s13, v9, v32
	v_lshrrev_b32_e32 v9, v8, v6
	v_add_nc_u32_e32 v6, 0xffffff89, v7
	v_lshrrev_b32_e32 v7, 23, v9
	v_cndmask_b32_e64 v6, v6, 0xffffff8a, vcc_lo
	v_xor_b32_e32 v7, 1, v7
	v_add_nc_u32_e32 v6, v8, v6
	v_bfe_u32 v8, v9, 20, 1
	v_add_nc_u32_e32 v8, -1, v8
	v_cndmask_b32_e64 v8, 0, v8, s13
	s_mov_b32 s13, exec_lo
	v_add_nc_u32_e32 v8, v8, v9
	v_and_b32_e32 v8, 0xfffff, v8
	v_add_nc_u32_e32 v8, v8, v9
                                        ; implicit-def: $vgpr9
	v_cmpx_ne_u32_e64 v6, v7
	s_xor_b32 s13, exec_lo, s13
; %bb.1689:                             ;   in Loop: Header=BB6_130 Depth=2
	v_cmp_lt_u32_e32 vcc_lo, 0xffffff, v8
	v_sub_nc_u32_e32 v6, v6, v7
	v_cndmask_b32_e64 v7, 0, 1, vcc_lo
	v_add_co_ci_u32_e64 v9, null, 0, v6, vcc_lo
	v_lshrrev_b32_e32 v8, v7, v8
; %bb.1690:                             ;   in Loop: Header=BB6_130 Depth=2
	s_andn2_saveexec_b32 s13, s13
; %bb.1691:                             ;   in Loop: Header=BB6_130 Depth=2
	v_bfe_u32 v9, v8, 23, 1
; %bb.1692:                             ;   in Loop: Header=BB6_130 Depth=2
	s_or_b32 exec_lo, exec_lo, s13
	v_lshrrev_b32_e32 v6, 20, v8
	v_min_i32_e32 v7, 15, v9
	v_cmp_gt_i32_e32 vcc_lo, 16, v9
	v_and_b32_sdwa v5, v5, v114 dst_sel:DWORD dst_unused:UNUSED_PAD src0_sel:BYTE_3 src1_sel:DWORD
	v_lshlrev_b32_e32 v7, 3, v7
	v_cndmask_b32_e32 v6, 7, v6, vcc_lo
	v_and_b32_e32 v7, 0xf8, v7
	v_or_b32_e32 v8, v9, v6
	v_and_b32_e32 v6, 7, v6
	v_cmp_ne_u32_e32 vcc_lo, 0, v8
	v_or3_b32 v5, v7, v5, v6
	v_cndmask_b32_e32 v34, 0, v5, vcc_lo
.LBB6_1693:                             ;   in Loop: Header=BB6_130 Depth=2
	s_or_b32 exec_lo, exec_lo, s41
.LBB6_1694:                             ;   in Loop: Header=BB6_130 Depth=2
	s_or_b32 exec_lo, exec_lo, s40
	v_cmp_gt_i16_sdwa s40, v4, v113 src0_sel:BYTE_1 src1_sel:DWORD
	s_mov_b32 s13, 0
	s_and_saveexec_b32 s41, s40
	s_xor_b32 s40, exec_lo, s41
	s_cbranch_execz .LBB6_2572
; %bb.1695:                             ;   in Loop: Header=BB6_130 Depth=2
	v_cmp_eq_u16_sdwa s42, v4, v114 src0_sel:BYTE_1 src1_sel:DWORD
	s_mov_b32 s13, -1
	s_and_saveexec_b32 s41, s42
; %bb.1696:                             ;   in Loop: Header=BB6_130 Depth=2
	s_xor_b32 s13, exec_lo, -1
; %bb.1697:                             ;   in Loop: Header=BB6_130 Depth=2
	s_or_b32 exec_lo, exec_lo, s41
	s_and_b32 s13, s13, exec_lo
	s_or_saveexec_b32 s40, s40
	v_mov_b32_e32 v5, 0x7f800001
	s_xor_b32 exec_lo, exec_lo, s40
	s_cbranch_execnz .LBB6_2573
.LBB6_1698:                             ;   in Loop: Header=BB6_130 Depth=2
	s_or_b32 exec_lo, exec_lo, s40
	s_and_saveexec_b32 s40, s13
	s_cbranch_execz .LBB6_1700
.LBB6_1699:                             ;   in Loop: Header=BB6_130 Depth=2
	v_and_b32_sdwa v5, v115, v4 dst_sel:DWORD dst_unused:UNUSED_PAD src0_sel:DWORD src1_sel:BYTE_1
	v_and_b32_e32 v6, 7, v5
	v_bfe_u32 v9, v5, 3, 4
	v_ffbh_u32_e32 v7, v6
	v_cmp_eq_u32_e32 vcc_lo, 0, v9
	v_min_u32_e32 v7, 32, v7
	v_subrev_nc_u32_e32 v8, 28, v7
	v_sub_nc_u32_e32 v7, 29, v7
	v_lshlrev_b32_e32 v5, v8, v5
	v_lshlrev_b32_sdwa v8, v116, v4 dst_sel:DWORD dst_unused:UNUSED_PAD src0_sel:DWORD src1_sel:BYTE_1
	v_cndmask_b32_e32 v7, v9, v7, vcc_lo
	v_and_b32_e32 v5, 7, v5
	v_lshl_add_u32 v7, v7, 23, 0x3b800000
	v_cndmask_b32_e32 v5, v6, v5, vcc_lo
	v_and_b32_e32 v6, 0x80000000, v8
	v_lshlrev_b32_e32 v5, 20, v5
	v_or3_b32 v5, v6, v7, v5
.LBB6_1700:                             ;   in Loop: Header=BB6_130 Depth=2
	s_or_b32 exec_lo, exec_lo, s40
	v_cmp_gt_i16_sdwa s40, v14, v113 src0_sel:BYTE_1 src1_sel:DWORD
	s_mov_b32 s13, 0
	s_and_saveexec_b32 s41, s40
	s_xor_b32 s40, exec_lo, s41
	s_cbranch_execz .LBB6_2574
; %bb.1701:                             ;   in Loop: Header=BB6_130 Depth=2
	v_cmp_eq_u16_sdwa s42, v14, v114 src0_sel:BYTE_1 src1_sel:DWORD
	s_mov_b32 s13, -1
	s_and_saveexec_b32 s41, s42
; %bb.1702:                             ;   in Loop: Header=BB6_130 Depth=2
	s_xor_b32 s13, exec_lo, -1
; %bb.1703:                             ;   in Loop: Header=BB6_130 Depth=2
	s_or_b32 exec_lo, exec_lo, s41
	s_and_b32 s13, s13, exec_lo
	s_or_saveexec_b32 s40, s40
	v_mov_b32_e32 v6, 0x7f800001
	s_xor_b32 exec_lo, exec_lo, s40
	s_cbranch_execnz .LBB6_2575
.LBB6_1704:                             ;   in Loop: Header=BB6_130 Depth=2
	s_or_b32 exec_lo, exec_lo, s40
	s_and_saveexec_b32 s40, s13
	s_cbranch_execz .LBB6_1706
.LBB6_1705:                             ;   in Loop: Header=BB6_130 Depth=2
	v_and_b32_sdwa v6, v115, v14 dst_sel:DWORD dst_unused:UNUSED_PAD src0_sel:DWORD src1_sel:BYTE_1
	v_and_b32_e32 v7, 7, v6
	v_bfe_u32 v32, v6, 3, 4
	v_ffbh_u32_e32 v8, v7
	v_cmp_eq_u32_e32 vcc_lo, 0, v32
	v_min_u32_e32 v8, 32, v8
	v_subrev_nc_u32_e32 v9, 28, v8
	v_sub_nc_u32_e32 v8, 29, v8
	v_lshlrev_b32_e32 v6, v9, v6
	v_lshlrev_b32_sdwa v9, v116, v14 dst_sel:DWORD dst_unused:UNUSED_PAD src0_sel:DWORD src1_sel:BYTE_1
	v_cndmask_b32_e32 v8, v32, v8, vcc_lo
	v_and_b32_e32 v6, 7, v6
	v_lshl_add_u32 v8, v8, 23, 0x3b800000
	v_cndmask_b32_e32 v6, v7, v6, vcc_lo
	v_and_b32_e32 v7, 0x80000000, v9
	v_lshlrev_b32_e32 v6, 20, v6
	v_or3_b32 v6, v7, v8, v6
.LBB6_1706:                             ;   in Loop: Header=BB6_130 Depth=2
	s_or_b32 exec_lo, exec_lo, s40
	v_add_f32_e32 v5, v5, v6
	v_mov_b32_e32 v35, 0x8000
	s_mov_b32 s40, exec_lo
	v_and_b32_e32 v6, 0x7f800000, v5
	v_cmpx_ne_u32_e32 0x7f800000, v6
	s_cbranch_execz .LBB6_1714
; %bb.1707:                             ;   in Loop: Header=BB6_130 Depth=2
	v_mov_b32_e32 v35, 0
	s_mov_b32 s41, exec_lo
	v_cmpx_ne_u32_e32 0, v5
	s_cbranch_execz .LBB6_1713
; %bb.1708:                             ;   in Loop: Header=BB6_130 Depth=2
	v_bfe_u32 v7, v5, 23, 8
	v_and_b32_e32 v6, 0x7fffff, v5
	v_cmp_gt_u32_e64 s13, 0x79, v7
	v_sub_nc_u32_e32 v8, 0x78, v7
	v_cmp_eq_u32_e32 vcc_lo, 0, v7
	v_or_b32_e32 v9, 0x800000, v6
	v_cndmask_b32_e64 v8, 0, v8, s13
	v_cndmask_b32_e32 v6, v9, v6, vcc_lo
	v_cndmask_b32_e64 v8, v8, 0x77, vcc_lo
	v_lshl_add_u32 v9, 0x100000, v8, -1
	v_lshlrev_b32_e64 v32, v8, 0x80000
	v_and_b32_e32 v9, v9, v6
	v_cmp_eq_u32_e64 s13, v9, v32
	v_lshrrev_b32_e32 v9, v8, v6
	v_add_nc_u32_e32 v6, 0xffffff89, v7
	v_lshrrev_b32_e32 v7, 23, v9
	v_cndmask_b32_e64 v6, v6, 0xffffff8a, vcc_lo
	v_xor_b32_e32 v7, 1, v7
	v_add_nc_u32_e32 v6, v8, v6
	v_bfe_u32 v8, v9, 20, 1
	v_add_nc_u32_e32 v8, -1, v8
	v_cndmask_b32_e64 v8, 0, v8, s13
	s_mov_b32 s13, exec_lo
	v_add_nc_u32_e32 v8, v8, v9
	v_and_b32_e32 v8, 0xfffff, v8
	v_add_nc_u32_e32 v8, v8, v9
                                        ; implicit-def: $vgpr9
	v_cmpx_ne_u32_e64 v6, v7
	s_xor_b32 s13, exec_lo, s13
; %bb.1709:                             ;   in Loop: Header=BB6_130 Depth=2
	v_cmp_lt_u32_e32 vcc_lo, 0xffffff, v8
	v_sub_nc_u32_e32 v6, v6, v7
	v_cndmask_b32_e64 v7, 0, 1, vcc_lo
	v_add_co_ci_u32_e64 v9, null, 0, v6, vcc_lo
	v_lshrrev_b32_e32 v8, v7, v8
; %bb.1710:                             ;   in Loop: Header=BB6_130 Depth=2
	s_andn2_saveexec_b32 s13, s13
; %bb.1711:                             ;   in Loop: Header=BB6_130 Depth=2
	v_bfe_u32 v9, v8, 23, 1
; %bb.1712:                             ;   in Loop: Header=BB6_130 Depth=2
	s_or_b32 exec_lo, exec_lo, s13
	v_lshrrev_b32_e32 v6, 20, v8
	v_min_i32_e32 v7, 15, v9
	v_cmp_gt_i32_e32 vcc_lo, 16, v9
	v_and_b32_sdwa v5, v5, v114 dst_sel:DWORD dst_unused:UNUSED_PAD src0_sel:BYTE_3 src1_sel:DWORD
	v_lshlrev_b32_e32 v7, 3, v7
	v_cndmask_b32_e32 v6, 7, v6, vcc_lo
	v_and_b32_e32 v7, 0xf8, v7
	v_or_b32_e32 v8, v9, v6
	v_and_b32_e32 v6, 7, v6
	v_cmp_ne_u32_e32 vcc_lo, 0, v8
	v_or3_b32 v5, v5, v7, v6
	v_lshlrev_b32_e32 v5, 8, v5
	v_cndmask_b32_e32 v35, 0, v5, vcc_lo
.LBB6_1713:                             ;   in Loop: Header=BB6_130 Depth=2
	s_or_b32 exec_lo, exec_lo, s41
.LBB6_1714:                             ;   in Loop: Header=BB6_130 Depth=2
	s_or_b32 exec_lo, exec_lo, s40
	v_or_b32_e32 v5, v111, v109
	s_mov_b32 s40, 0
	v_cmp_gt_i16_sdwa s13, v5, v113 src0_sel:BYTE_0 src1_sel:DWORD
	s_and_saveexec_b32 s41, s13
	s_xor_b32 s13, exec_lo, s41
	s_cbranch_execz .LBB6_2576
; %bb.1715:                             ;   in Loop: Header=BB6_130 Depth=2
	v_cmp_eq_u16_sdwa s42, v5, v114 src0_sel:BYTE_0 src1_sel:DWORD
	s_mov_b32 s40, -1
	s_and_saveexec_b32 s41, s42
; %bb.1716:                             ;   in Loop: Header=BB6_130 Depth=2
	s_xor_b32 s40, exec_lo, -1
; %bb.1717:                             ;   in Loop: Header=BB6_130 Depth=2
	s_or_b32 exec_lo, exec_lo, s41
	s_and_b32 s40, s40, exec_lo
	s_or_saveexec_b32 s13, s13
	v_mov_b32_e32 v6, 0x7f800001
	s_xor_b32 exec_lo, exec_lo, s13
	s_cbranch_execnz .LBB6_2577
.LBB6_1718:                             ;   in Loop: Header=BB6_130 Depth=2
	s_or_b32 exec_lo, exec_lo, s13
	v_lshl_or_b32 v5, v5, 16, v4
	s_and_saveexec_b32 s13, s40
	s_cbranch_execz .LBB6_1720
.LBB6_1719:                             ;   in Loop: Header=BB6_130 Depth=2
	v_bfe_u32 v4, v5, 16, 3
	v_bfe_u32 v6, v5, 19, 4
	v_ffbh_u32_e32 v7, v4
	v_cmp_eq_u32_e32 vcc_lo, 0, v6
	v_min_u32_e32 v7, 32, v7
	v_subrev_nc_u32_e32 v8, 28, v7
	v_sub_nc_u32_e32 v7, 29, v7
	v_lshlrev_b32_sdwa v8, v8, v5 dst_sel:DWORD dst_unused:UNUSED_PAD src0_sel:DWORD src1_sel:WORD_1
	v_cndmask_b32_e32 v6, v6, v7, vcc_lo
	v_lshlrev_b32_e32 v7, 8, v5
	v_and_b32_e32 v8, 7, v8
	v_lshl_add_u32 v6, v6, 23, 0x3b800000
	v_and_b32_e32 v7, 0x80000000, v7
	v_cndmask_b32_e32 v4, v4, v8, vcc_lo
	v_lshlrev_b32_e32 v4, 20, v4
	v_or3_b32 v6, v7, v6, v4
.LBB6_1720:                             ;   in Loop: Header=BB6_130 Depth=2
	s_or_b32 exec_lo, exec_lo, s13
	v_and_b32_sdwa v7, v14, v117 dst_sel:DWORD dst_unused:UNUSED_PAD src0_sel:WORD_1 src1_sel:DWORD
	s_mov_b32 s40, 0
	s_mov_b32 s13, exec_lo
	v_cmpx_lt_i16_e32 0x7f, v7
	s_xor_b32 s13, exec_lo, s13
	s_cbranch_execz .LBB6_2578
; %bb.1721:                             ;   in Loop: Header=BB6_130 Depth=2
	s_mov_b32 s40, -1
	s_mov_b32 s41, exec_lo
	v_cmpx_eq_u16_e32 0x80, v7
; %bb.1722:                             ;   in Loop: Header=BB6_130 Depth=2
	s_xor_b32 s40, exec_lo, -1
; %bb.1723:                             ;   in Loop: Header=BB6_130 Depth=2
	s_or_b32 exec_lo, exec_lo, s41
	s_and_b32 s40, s40, exec_lo
                                        ; implicit-def: $vgpr7
	s_or_saveexec_b32 s13, s13
	v_mov_b32_e32 v4, 0x7f800001
	s_xor_b32 exec_lo, exec_lo, s13
	s_cbranch_execnz .LBB6_2579
.LBB6_1724:                             ;   in Loop: Header=BB6_130 Depth=2
	s_or_b32 exec_lo, exec_lo, s13
	s_and_saveexec_b32 s13, s40
	s_cbranch_execz .LBB6_1726
.LBB6_1725:                             ;   in Loop: Header=BB6_130 Depth=2
	v_bfe_u32 v4, v14, 16, 3
	v_bfe_u32 v7, v14, 19, 4
	v_ffbh_u32_e32 v8, v4
	v_cmp_eq_u32_e32 vcc_lo, 0, v7
	v_min_u32_e32 v8, 32, v8
	v_subrev_nc_u32_e32 v9, 28, v8
	v_sub_nc_u32_e32 v8, 29, v8
	v_lshlrev_b32_sdwa v9, v9, v14 dst_sel:DWORD dst_unused:UNUSED_PAD src0_sel:DWORD src1_sel:WORD_1
	v_cndmask_b32_e32 v7, v7, v8, vcc_lo
	v_lshlrev_b32_e32 v8, 8, v14
	v_and_b32_e32 v9, 7, v9
	v_lshl_add_u32 v7, v7, 23, 0x3b800000
	v_and_b32_e32 v8, 0x80000000, v8
	v_cndmask_b32_e32 v4, v4, v9, vcc_lo
	v_lshlrev_b32_e32 v4, 20, v4
	v_or3_b32 v4, v8, v7, v4
.LBB6_1726:                             ;   in Loop: Header=BB6_130 Depth=2
	s_or_b32 exec_lo, exec_lo, s13
	v_add_f32_e32 v6, v6, v4
	v_and_b32_e32 v4, 0x7f800000, v6
	v_cmp_ne_u32_e32 vcc_lo, 0x7f800000, v4
	v_mov_b32_e32 v4, 0x80
	s_and_saveexec_b32 s40, vcc_lo
	s_cbranch_execz .LBB6_1734
; %bb.1727:                             ;   in Loop: Header=BB6_130 Depth=2
	v_mov_b32_e32 v4, 0
	s_mov_b32 s41, exec_lo
	v_cmpx_ne_u32_e32 0, v6
	s_cbranch_execz .LBB6_1733
; %bb.1728:                             ;   in Loop: Header=BB6_130 Depth=2
	v_bfe_u32 v7, v6, 23, 8
	v_and_b32_e32 v4, 0x7fffff, v6
	v_cmp_gt_u32_e64 s13, 0x79, v7
	v_sub_nc_u32_e32 v8, 0x78, v7
	v_cmp_eq_u32_e32 vcc_lo, 0, v7
	v_or_b32_e32 v9, 0x800000, v4
	v_cndmask_b32_e64 v8, 0, v8, s13
	v_cndmask_b32_e32 v4, v9, v4, vcc_lo
	v_cndmask_b32_e64 v8, v8, 0x77, vcc_lo
	v_lshl_add_u32 v9, 0x100000, v8, -1
	v_lshlrev_b32_e64 v32, v8, 0x80000
	v_and_b32_e32 v9, v9, v4
	v_cmp_eq_u32_e64 s13, v9, v32
	v_lshrrev_b32_e32 v9, v8, v4
	v_add_nc_u32_e32 v4, 0xffffff89, v7
	v_lshrrev_b32_e32 v7, 23, v9
	v_cndmask_b32_e64 v4, v4, 0xffffff8a, vcc_lo
	v_xor_b32_e32 v7, 1, v7
	v_add_nc_u32_e32 v4, v8, v4
	v_bfe_u32 v8, v9, 20, 1
	v_add_nc_u32_e32 v8, -1, v8
	v_cndmask_b32_e64 v8, 0, v8, s13
	s_mov_b32 s13, exec_lo
	v_add_nc_u32_e32 v8, v8, v9
	v_and_b32_e32 v8, 0xfffff, v8
	v_add_nc_u32_e32 v8, v8, v9
                                        ; implicit-def: $vgpr9
	v_cmpx_ne_u32_e64 v4, v7
	s_xor_b32 s13, exec_lo, s13
; %bb.1729:                             ;   in Loop: Header=BB6_130 Depth=2
	v_cmp_lt_u32_e32 vcc_lo, 0xffffff, v8
	v_sub_nc_u32_e32 v4, v4, v7
	v_cndmask_b32_e64 v7, 0, 1, vcc_lo
	v_add_co_ci_u32_e64 v9, null, 0, v4, vcc_lo
	v_lshrrev_b32_e32 v8, v7, v8
; %bb.1730:                             ;   in Loop: Header=BB6_130 Depth=2
	s_andn2_saveexec_b32 s13, s13
; %bb.1731:                             ;   in Loop: Header=BB6_130 Depth=2
	v_bfe_u32 v9, v8, 23, 1
; %bb.1732:                             ;   in Loop: Header=BB6_130 Depth=2
	s_or_b32 exec_lo, exec_lo, s13
	v_and_b32_sdwa v4, v6, v114 dst_sel:DWORD dst_unused:UNUSED_PAD src0_sel:BYTE_3 src1_sel:DWORD
	v_lshrrev_b32_e32 v6, 20, v8
	v_min_i32_e32 v7, 15, v9
	v_cmp_gt_i32_e32 vcc_lo, 16, v9
	v_lshlrev_b32_e32 v7, 3, v7
	v_cndmask_b32_e32 v6, 7, v6, vcc_lo
	v_and_b32_e32 v7, 0xf8, v7
	v_or_b32_e32 v8, v9, v6
	v_and_b32_e32 v6, 7, v6
	v_cmp_ne_u32_e32 vcc_lo, 0, v8
	v_or3_b32 v4, v7, v4, v6
	v_cndmask_b32_e32 v4, 0, v4, vcc_lo
.LBB6_1733:                             ;   in Loop: Header=BB6_130 Depth=2
	s_or_b32 exec_lo, exec_lo, s41
.LBB6_1734:                             ;   in Loop: Header=BB6_130 Depth=2
	s_or_b32 exec_lo, exec_lo, s40
	v_cmp_gt_i16_sdwa s40, v5, v113 src0_sel:BYTE_3 src1_sel:DWORD
	s_mov_b32 s13, 0
	s_and_saveexec_b32 s41, s40
	s_xor_b32 s40, exec_lo, s41
	s_cbranch_execz .LBB6_2580
; %bb.1735:                             ;   in Loop: Header=BB6_130 Depth=2
	v_cmp_eq_u16_sdwa s42, v5, v114 src0_sel:BYTE_3 src1_sel:DWORD
	s_mov_b32 s13, -1
	s_and_saveexec_b32 s41, s42
; %bb.1736:                             ;   in Loop: Header=BB6_130 Depth=2
	s_xor_b32 s13, exec_lo, -1
; %bb.1737:                             ;   in Loop: Header=BB6_130 Depth=2
	s_or_b32 exec_lo, exec_lo, s41
	s_and_b32 s13, s13, exec_lo
	s_or_saveexec_b32 s40, s40
	v_mov_b32_e32 v6, 0x7f800001
	s_xor_b32 exec_lo, exec_lo, s40
	s_cbranch_execnz .LBB6_2581
.LBB6_1738:                             ;   in Loop: Header=BB6_130 Depth=2
	s_or_b32 exec_lo, exec_lo, s40
	s_and_saveexec_b32 s40, s13
	s_cbranch_execz .LBB6_1740
.LBB6_1739:                             ;   in Loop: Header=BB6_130 Depth=2
	v_bfe_u32 v6, v5, 24, 3
	v_bfe_u32 v9, v5, 27, 4
	v_ffbh_u32_e32 v7, v6
	v_cmp_eq_u32_e32 vcc_lo, 0, v9
	v_min_u32_e32 v7, 32, v7
	v_subrev_nc_u32_e32 v8, 28, v7
	v_sub_nc_u32_e32 v7, 29, v7
	v_lshlrev_b32_sdwa v8, v8, v5 dst_sel:DWORD dst_unused:UNUSED_PAD src0_sel:DWORD src1_sel:BYTE_3
	v_cndmask_b32_e32 v7, v9, v7, vcc_lo
	v_and_b32_e32 v5, 0x80000000, v5
	v_and_b32_e32 v8, 7, v8
	v_lshl_add_u32 v7, v7, 23, 0x3b800000
	v_cndmask_b32_e32 v6, v6, v8, vcc_lo
	v_lshlrev_b32_e32 v6, 20, v6
	v_or3_b32 v6, v5, v7, v6
.LBB6_1740:                             ;   in Loop: Header=BB6_130 Depth=2
	s_or_b32 exec_lo, exec_lo, s40
	v_cmp_gt_i16_sdwa s40, v14, v113 src0_sel:BYTE_3 src1_sel:DWORD
	s_mov_b32 s13, 0
	s_and_saveexec_b32 s41, s40
	s_xor_b32 s40, exec_lo, s41
	s_cbranch_execz .LBB6_2582
; %bb.1741:                             ;   in Loop: Header=BB6_130 Depth=2
	v_cmp_eq_u16_sdwa s42, v14, v114 src0_sel:BYTE_3 src1_sel:DWORD
	s_mov_b32 s13, -1
	s_and_saveexec_b32 s41, s42
; %bb.1742:                             ;   in Loop: Header=BB6_130 Depth=2
	s_xor_b32 s13, exec_lo, -1
; %bb.1743:                             ;   in Loop: Header=BB6_130 Depth=2
	s_or_b32 exec_lo, exec_lo, s41
	s_and_b32 s13, s13, exec_lo
	s_or_saveexec_b32 s40, s40
	v_mov_b32_e32 v5, 0x7f800001
	s_xor_b32 exec_lo, exec_lo, s40
	s_cbranch_execnz .LBB6_2583
.LBB6_1744:                             ;   in Loop: Header=BB6_130 Depth=2
	s_or_b32 exec_lo, exec_lo, s40
	s_and_saveexec_b32 s40, s13
	s_cbranch_execz .LBB6_1746
.LBB6_1745:                             ;   in Loop: Header=BB6_130 Depth=2
	v_bfe_u32 v5, v14, 24, 3
	v_bfe_u32 v9, v14, 27, 4
	v_ffbh_u32_e32 v7, v5
	v_cmp_eq_u32_e32 vcc_lo, 0, v9
	v_min_u32_e32 v7, 32, v7
	v_subrev_nc_u32_e32 v8, 28, v7
	v_sub_nc_u32_e32 v7, 29, v7
	v_lshlrev_b32_sdwa v8, v8, v14 dst_sel:DWORD dst_unused:UNUSED_PAD src0_sel:DWORD src1_sel:BYTE_3
	v_cndmask_b32_e32 v7, v9, v7, vcc_lo
	v_and_b32_e32 v8, 7, v8
	v_lshl_add_u32 v7, v7, 23, 0x3b800000
	v_cndmask_b32_e32 v5, v5, v8, vcc_lo
	v_and_b32_e32 v8, 0x80000000, v14
	v_lshlrev_b32_e32 v5, 20, v5
	v_or3_b32 v5, v8, v7, v5
.LBB6_1746:                             ;   in Loop: Header=BB6_130 Depth=2
	s_or_b32 exec_lo, exec_lo, s40
	v_add_f32_e32 v6, v6, v5
	v_and_b32_e32 v5, 0x7f800000, v6
	v_cmp_ne_u32_e32 vcc_lo, 0x7f800000, v5
	v_mov_b32_e32 v5, 0x8000
	s_and_saveexec_b32 s40, vcc_lo
	s_cbranch_execz .LBB6_1754
; %bb.1747:                             ;   in Loop: Header=BB6_130 Depth=2
	v_mov_b32_e32 v5, 0
	s_mov_b32 s41, exec_lo
	v_cmpx_ne_u32_e32 0, v6
	s_cbranch_execz .LBB6_1753
; %bb.1748:                             ;   in Loop: Header=BB6_130 Depth=2
	v_bfe_u32 v7, v6, 23, 8
	v_and_b32_e32 v5, 0x7fffff, v6
	v_cmp_gt_u32_e64 s13, 0x79, v7
	v_sub_nc_u32_e32 v8, 0x78, v7
	v_cmp_eq_u32_e32 vcc_lo, 0, v7
	v_or_b32_e32 v9, 0x800000, v5
	v_cndmask_b32_e64 v8, 0, v8, s13
	v_cndmask_b32_e32 v5, v9, v5, vcc_lo
	v_cndmask_b32_e64 v8, v8, 0x77, vcc_lo
	v_lshl_add_u32 v9, 0x100000, v8, -1
	v_lshlrev_b32_e64 v14, v8, 0x80000
	v_and_b32_e32 v9, v9, v5
	v_cmp_eq_u32_e64 s13, v9, v14
	v_lshrrev_b32_e32 v9, v8, v5
	v_add_nc_u32_e32 v5, 0xffffff89, v7
	v_lshrrev_b32_e32 v7, 23, v9
	v_cndmask_b32_e64 v5, v5, 0xffffff8a, vcc_lo
	v_xor_b32_e32 v7, 1, v7
	v_add_nc_u32_e32 v5, v8, v5
	v_bfe_u32 v8, v9, 20, 1
	v_add_nc_u32_e32 v8, -1, v8
	v_cndmask_b32_e64 v8, 0, v8, s13
	s_mov_b32 s13, exec_lo
	v_add_nc_u32_e32 v8, v8, v9
	v_and_b32_e32 v8, 0xfffff, v8
	v_add_nc_u32_e32 v8, v8, v9
                                        ; implicit-def: $vgpr9
	v_cmpx_ne_u32_e64 v5, v7
	s_xor_b32 s13, exec_lo, s13
; %bb.1749:                             ;   in Loop: Header=BB6_130 Depth=2
	v_cmp_lt_u32_e32 vcc_lo, 0xffffff, v8
	v_sub_nc_u32_e32 v5, v5, v7
	v_cndmask_b32_e64 v7, 0, 1, vcc_lo
	v_add_co_ci_u32_e64 v9, null, 0, v5, vcc_lo
	v_lshrrev_b32_e32 v8, v7, v8
; %bb.1750:                             ;   in Loop: Header=BB6_130 Depth=2
	s_andn2_saveexec_b32 s13, s13
; %bb.1751:                             ;   in Loop: Header=BB6_130 Depth=2
	v_bfe_u32 v9, v8, 23, 1
; %bb.1752:                             ;   in Loop: Header=BB6_130 Depth=2
	s_or_b32 exec_lo, exec_lo, s13
	v_and_b32_sdwa v5, v6, v114 dst_sel:DWORD dst_unused:UNUSED_PAD src0_sel:BYTE_3 src1_sel:DWORD
	v_lshrrev_b32_e32 v6, 20, v8
	v_min_i32_e32 v7, 15, v9
	v_cmp_gt_i32_e32 vcc_lo, 16, v9
	v_lshlrev_b32_e32 v7, 3, v7
	v_cndmask_b32_e32 v6, 7, v6, vcc_lo
	v_and_b32_e32 v7, 0xf8, v7
	v_or_b32_e32 v8, v9, v6
	v_and_b32_e32 v6, 7, v6
	v_cmp_ne_u32_e32 vcc_lo, 0, v8
	v_or3_b32 v5, v5, v7, v6
	v_lshlrev_b32_e32 v5, 8, v5
	v_cndmask_b32_e32 v5, 0, v5, vcc_lo
.LBB6_1753:                             ;   in Loop: Header=BB6_130 Depth=2
	s_or_b32 exec_lo, exec_lo, s41
.LBB6_1754:                             ;   in Loop: Header=BB6_130 Depth=2
	s_or_b32 exec_lo, exec_lo, s40
	v_or_b32_e32 v6, v108, v107
	s_mov_b32 s40, 0
	v_cmp_gt_i16_sdwa s13, v6, v113 src0_sel:BYTE_0 src1_sel:DWORD
	s_and_saveexec_b32 s41, s13
	s_xor_b32 s13, exec_lo, s41
	s_cbranch_execz .LBB6_2584
; %bb.1755:                             ;   in Loop: Header=BB6_130 Depth=2
	v_cmp_eq_u16_sdwa s42, v6, v114 src0_sel:BYTE_0 src1_sel:DWORD
	s_mov_b32 s40, -1
	s_and_saveexec_b32 s41, s42
; %bb.1756:                             ;   in Loop: Header=BB6_130 Depth=2
	s_xor_b32 s40, exec_lo, -1
; %bb.1757:                             ;   in Loop: Header=BB6_130 Depth=2
	s_or_b32 exec_lo, exec_lo, s41
	s_and_b32 s40, s40, exec_lo
	s_or_saveexec_b32 s13, s13
	v_mov_b32_e32 v7, 0x7f800001
	s_xor_b32 exec_lo, exec_lo, s13
	s_cbranch_execnz .LBB6_2585
.LBB6_1758:                             ;   in Loop: Header=BB6_130 Depth=2
	s_or_b32 exec_lo, exec_lo, s13
	s_and_saveexec_b32 s13, s40
	s_cbranch_execz .LBB6_1760
.LBB6_1759:                             ;   in Loop: Header=BB6_130 Depth=2
	v_and_b32_e32 v7, 7, v6
	v_bfe_u32 v8, v6, 3, 4
	v_ffbh_u32_e32 v9, v7
	v_cmp_eq_u32_e32 vcc_lo, 0, v8
	v_min_u32_e32 v9, 32, v9
	v_subrev_nc_u32_e32 v14, 28, v9
	v_sub_nc_u32_e32 v9, 29, v9
	v_lshlrev_b32_e32 v14, v14, v6
	v_cndmask_b32_e32 v8, v8, v9, vcc_lo
	v_lshlrev_b32_e32 v9, 24, v6
	v_and_b32_e32 v14, 7, v14
	v_lshl_add_u32 v8, v8, 23, 0x3b800000
	v_and_b32_e32 v9, 0x80000000, v9
	v_cndmask_b32_e32 v7, v7, v14, vcc_lo
	v_lshlrev_b32_e32 v7, 20, v7
	v_or3_b32 v7, v9, v8, v7
.LBB6_1760:                             ;   in Loop: Header=BB6_130 Depth=2
	s_or_b32 exec_lo, exec_lo, s13
	v_cmp_gt_i16_sdwa s13, v15, v113 src0_sel:BYTE_0 src1_sel:DWORD
	s_mov_b32 s40, 0
	s_and_saveexec_b32 s41, s13
	s_xor_b32 s13, exec_lo, s41
	s_cbranch_execz .LBB6_2586
; %bb.1761:                             ;   in Loop: Header=BB6_130 Depth=2
	v_cmp_eq_u16_sdwa s42, v15, v114 src0_sel:BYTE_0 src1_sel:DWORD
	s_mov_b32 s40, -1
	s_and_saveexec_b32 s41, s42
; %bb.1762:                             ;   in Loop: Header=BB6_130 Depth=2
	s_xor_b32 s40, exec_lo, -1
; %bb.1763:                             ;   in Loop: Header=BB6_130 Depth=2
	s_or_b32 exec_lo, exec_lo, s41
	s_and_b32 s40, s40, exec_lo
	s_or_saveexec_b32 s13, s13
	v_mov_b32_e32 v8, 0x7f800001
	s_xor_b32 exec_lo, exec_lo, s13
	s_cbranch_execnz .LBB6_2587
.LBB6_1764:                             ;   in Loop: Header=BB6_130 Depth=2
	s_or_b32 exec_lo, exec_lo, s13
	s_and_saveexec_b32 s13, s40
	s_cbranch_execz .LBB6_1766
.LBB6_1765:                             ;   in Loop: Header=BB6_130 Depth=2
	v_and_b32_e32 v8, 7, v15
	v_bfe_u32 v9, v15, 3, 4
	v_ffbh_u32_e32 v14, v8
	v_cmp_eq_u32_e32 vcc_lo, 0, v9
	v_min_u32_e32 v14, 32, v14
	v_subrev_nc_u32_e32 v32, 28, v14
	v_sub_nc_u32_e32 v14, 29, v14
	v_lshlrev_b32_e32 v32, v32, v15
	v_cndmask_b32_e32 v9, v9, v14, vcc_lo
	v_lshlrev_b32_e32 v14, 24, v15
	v_and_b32_e32 v32, 7, v32
	v_lshl_add_u32 v9, v9, 23, 0x3b800000
	v_and_b32_e32 v14, 0x80000000, v14
	v_cndmask_b32_e32 v8, v8, v32, vcc_lo
	v_lshlrev_b32_e32 v8, 20, v8
	v_or3_b32 v8, v14, v9, v8
.LBB6_1766:                             ;   in Loop: Header=BB6_130 Depth=2
	s_or_b32 exec_lo, exec_lo, s13
	v_add_f32_e32 v7, v7, v8
	v_mov_b32_e32 v14, 0x80
	s_mov_b32 s40, exec_lo
	v_and_b32_e32 v8, 0x7f800000, v7
	v_cmpx_ne_u32_e32 0x7f800000, v8
	s_cbranch_execz .LBB6_1774
; %bb.1767:                             ;   in Loop: Header=BB6_130 Depth=2
	v_mov_b32_e32 v14, 0
	s_mov_b32 s41, exec_lo
	v_cmpx_ne_u32_e32 0, v7
	s_cbranch_execz .LBB6_1773
; %bb.1768:                             ;   in Loop: Header=BB6_130 Depth=2
	v_bfe_u32 v9, v7, 23, 8
	v_and_b32_e32 v8, 0x7fffff, v7
	v_cmp_gt_u32_e64 s13, 0x79, v9
	v_sub_nc_u32_e32 v14, 0x78, v9
	v_cmp_eq_u32_e32 vcc_lo, 0, v9
	v_or_b32_e32 v32, 0x800000, v8
	v_cndmask_b32_e64 v14, 0, v14, s13
	v_cndmask_b32_e32 v8, v32, v8, vcc_lo
	v_cndmask_b32_e64 v14, v14, 0x77, vcc_lo
	v_lshl_add_u32 v32, 0x100000, v14, -1
	v_lshlrev_b32_e64 v33, v14, 0x80000
	v_and_b32_e32 v32, v32, v8
	v_cmp_eq_u32_e64 s13, v32, v33
	v_lshrrev_b32_e32 v32, v14, v8
	v_add_nc_u32_e32 v8, 0xffffff89, v9
	v_lshrrev_b32_e32 v9, 23, v32
	v_cndmask_b32_e64 v8, v8, 0xffffff8a, vcc_lo
	v_xor_b32_e32 v9, 1, v9
	v_add_nc_u32_e32 v8, v14, v8
	v_bfe_u32 v14, v32, 20, 1
	v_add_nc_u32_e32 v14, -1, v14
	v_cndmask_b32_e64 v14, 0, v14, s13
	s_mov_b32 s13, exec_lo
	v_add_nc_u32_e32 v14, v14, v32
	v_and_b32_e32 v14, 0xfffff, v14
	v_add_nc_u32_e32 v14, v14, v32
                                        ; implicit-def: $vgpr32
	v_cmpx_ne_u32_e64 v8, v9
	s_xor_b32 s13, exec_lo, s13
; %bb.1769:                             ;   in Loop: Header=BB6_130 Depth=2
	v_cmp_lt_u32_e32 vcc_lo, 0xffffff, v14
	v_sub_nc_u32_e32 v8, v8, v9
	v_cndmask_b32_e64 v9, 0, 1, vcc_lo
	v_add_co_ci_u32_e64 v32, null, 0, v8, vcc_lo
	v_lshrrev_b32_e32 v14, v9, v14
; %bb.1770:                             ;   in Loop: Header=BB6_130 Depth=2
	s_andn2_saveexec_b32 s13, s13
; %bb.1771:                             ;   in Loop: Header=BB6_130 Depth=2
	v_bfe_u32 v32, v14, 23, 1
; %bb.1772:                             ;   in Loop: Header=BB6_130 Depth=2
	s_or_b32 exec_lo, exec_lo, s13
	v_lshrrev_b32_e32 v8, 20, v14
	v_min_i32_e32 v9, 15, v32
	v_cmp_gt_i32_e32 vcc_lo, 16, v32
	v_and_b32_sdwa v7, v7, v114 dst_sel:DWORD dst_unused:UNUSED_PAD src0_sel:BYTE_3 src1_sel:DWORD
	v_lshlrev_b32_e32 v9, 3, v9
	v_cndmask_b32_e32 v8, 7, v8, vcc_lo
	v_and_b32_e32 v9, 0xf8, v9
	v_or_b32_e32 v14, v32, v8
	v_and_b32_e32 v8, 7, v8
	v_cmp_ne_u32_e32 vcc_lo, 0, v14
	v_or3_b32 v7, v9, v7, v8
	v_cndmask_b32_e32 v14, 0, v7, vcc_lo
.LBB6_1773:                             ;   in Loop: Header=BB6_130 Depth=2
	s_or_b32 exec_lo, exec_lo, s41
.LBB6_1774:                             ;   in Loop: Header=BB6_130 Depth=2
	s_or_b32 exec_lo, exec_lo, s40
	v_cmp_gt_i16_sdwa s40, v6, v113 src0_sel:BYTE_1 src1_sel:DWORD
	s_mov_b32 s13, 0
	s_and_saveexec_b32 s41, s40
	s_xor_b32 s40, exec_lo, s41
	s_cbranch_execz .LBB6_2588
; %bb.1775:                             ;   in Loop: Header=BB6_130 Depth=2
	v_cmp_eq_u16_sdwa s42, v6, v114 src0_sel:BYTE_1 src1_sel:DWORD
	s_mov_b32 s13, -1
	s_and_saveexec_b32 s41, s42
; %bb.1776:                             ;   in Loop: Header=BB6_130 Depth=2
	s_xor_b32 s13, exec_lo, -1
; %bb.1777:                             ;   in Loop: Header=BB6_130 Depth=2
	s_or_b32 exec_lo, exec_lo, s41
	s_and_b32 s13, s13, exec_lo
	s_or_saveexec_b32 s40, s40
	v_mov_b32_e32 v7, 0x7f800001
	s_xor_b32 exec_lo, exec_lo, s40
	s_cbranch_execnz .LBB6_2589
.LBB6_1778:                             ;   in Loop: Header=BB6_130 Depth=2
	s_or_b32 exec_lo, exec_lo, s40
	s_and_saveexec_b32 s40, s13
	s_cbranch_execz .LBB6_1780
.LBB6_1779:                             ;   in Loop: Header=BB6_130 Depth=2
	v_and_b32_sdwa v7, v115, v6 dst_sel:DWORD dst_unused:UNUSED_PAD src0_sel:DWORD src1_sel:BYTE_1
	v_and_b32_e32 v8, 7, v7
	v_bfe_u32 v33, v7, 3, 4
	v_ffbh_u32_e32 v9, v8
	v_cmp_eq_u32_e32 vcc_lo, 0, v33
	v_min_u32_e32 v9, 32, v9
	v_subrev_nc_u32_e32 v32, 28, v9
	v_sub_nc_u32_e32 v9, 29, v9
	v_lshlrev_b32_e32 v7, v32, v7
	v_lshlrev_b32_sdwa v32, v116, v6 dst_sel:DWORD dst_unused:UNUSED_PAD src0_sel:DWORD src1_sel:BYTE_1
	v_cndmask_b32_e32 v9, v33, v9, vcc_lo
	v_and_b32_e32 v7, 7, v7
	v_lshl_add_u32 v9, v9, 23, 0x3b800000
	v_cndmask_b32_e32 v7, v8, v7, vcc_lo
	v_and_b32_e32 v8, 0x80000000, v32
	v_lshlrev_b32_e32 v7, 20, v7
	v_or3_b32 v7, v8, v9, v7
.LBB6_1780:                             ;   in Loop: Header=BB6_130 Depth=2
	s_or_b32 exec_lo, exec_lo, s40
	v_cmp_gt_i16_sdwa s40, v15, v113 src0_sel:BYTE_1 src1_sel:DWORD
	s_mov_b32 s13, 0
	s_and_saveexec_b32 s41, s40
	s_xor_b32 s40, exec_lo, s41
	s_cbranch_execz .LBB6_2590
; %bb.1781:                             ;   in Loop: Header=BB6_130 Depth=2
	v_cmp_eq_u16_sdwa s42, v15, v114 src0_sel:BYTE_1 src1_sel:DWORD
	s_mov_b32 s13, -1
	s_and_saveexec_b32 s41, s42
; %bb.1782:                             ;   in Loop: Header=BB6_130 Depth=2
	s_xor_b32 s13, exec_lo, -1
; %bb.1783:                             ;   in Loop: Header=BB6_130 Depth=2
	s_or_b32 exec_lo, exec_lo, s41
	s_and_b32 s13, s13, exec_lo
	s_or_saveexec_b32 s40, s40
	v_mov_b32_e32 v8, 0x7f800001
	s_xor_b32 exec_lo, exec_lo, s40
	s_cbranch_execnz .LBB6_2591
.LBB6_1784:                             ;   in Loop: Header=BB6_130 Depth=2
	s_or_b32 exec_lo, exec_lo, s40
	s_and_saveexec_b32 s40, s13
	s_cbranch_execz .LBB6_1786
.LBB6_1785:                             ;   in Loop: Header=BB6_130 Depth=2
	v_and_b32_sdwa v8, v115, v15 dst_sel:DWORD dst_unused:UNUSED_PAD src0_sel:DWORD src1_sel:BYTE_1
	v_and_b32_e32 v9, 7, v8
	v_bfe_u32 v36, v8, 3, 4
	v_ffbh_u32_e32 v32, v9
	v_cmp_eq_u32_e32 vcc_lo, 0, v36
	v_min_u32_e32 v32, 32, v32
	v_subrev_nc_u32_e32 v33, 28, v32
	v_sub_nc_u32_e32 v32, 29, v32
	v_lshlrev_b32_e32 v8, v33, v8
	v_lshlrev_b32_sdwa v33, v116, v15 dst_sel:DWORD dst_unused:UNUSED_PAD src0_sel:DWORD src1_sel:BYTE_1
	v_cndmask_b32_e32 v32, v36, v32, vcc_lo
	v_and_b32_e32 v8, 7, v8
	v_lshl_add_u32 v32, v32, 23, 0x3b800000
	v_cndmask_b32_e32 v8, v9, v8, vcc_lo
	v_and_b32_e32 v9, 0x80000000, v33
	v_lshlrev_b32_e32 v8, 20, v8
	v_or3_b32 v8, v9, v32, v8
.LBB6_1786:                             ;   in Loop: Header=BB6_130 Depth=2
	s_or_b32 exec_lo, exec_lo, s40
	v_add_f32_e32 v7, v7, v8
	v_mov_b32_e32 v36, 0x8000
	s_mov_b32 s40, exec_lo
	v_and_b32_e32 v8, 0x7f800000, v7
	v_cmpx_ne_u32_e32 0x7f800000, v8
	s_cbranch_execz .LBB6_1794
; %bb.1787:                             ;   in Loop: Header=BB6_130 Depth=2
	v_mov_b32_e32 v36, 0
	s_mov_b32 s41, exec_lo
	v_cmpx_ne_u32_e32 0, v7
	s_cbranch_execz .LBB6_1793
; %bb.1788:                             ;   in Loop: Header=BB6_130 Depth=2
	v_bfe_u32 v9, v7, 23, 8
	v_and_b32_e32 v8, 0x7fffff, v7
	v_cmp_gt_u32_e64 s13, 0x79, v9
	v_sub_nc_u32_e32 v32, 0x78, v9
	v_cmp_eq_u32_e32 vcc_lo, 0, v9
	v_or_b32_e32 v33, 0x800000, v8
	v_cndmask_b32_e64 v32, 0, v32, s13
	v_cndmask_b32_e32 v8, v33, v8, vcc_lo
	v_cndmask_b32_e64 v32, v32, 0x77, vcc_lo
	v_lshl_add_u32 v33, 0x100000, v32, -1
	v_lshlrev_b32_e64 v36, v32, 0x80000
	v_and_b32_e32 v33, v33, v8
	v_cmp_eq_u32_e64 s13, v33, v36
	v_lshrrev_b32_e32 v33, v32, v8
	v_add_nc_u32_e32 v8, 0xffffff89, v9
	v_lshrrev_b32_e32 v9, 23, v33
	v_cndmask_b32_e64 v8, v8, 0xffffff8a, vcc_lo
	v_xor_b32_e32 v9, 1, v9
	v_add_nc_u32_e32 v8, v32, v8
	v_bfe_u32 v32, v33, 20, 1
	v_add_nc_u32_e32 v32, -1, v32
	v_cndmask_b32_e64 v32, 0, v32, s13
	s_mov_b32 s13, exec_lo
	v_add_nc_u32_e32 v32, v32, v33
	v_and_b32_e32 v32, 0xfffff, v32
	v_add_nc_u32_e32 v32, v32, v33
                                        ; implicit-def: $vgpr33
	v_cmpx_ne_u32_e64 v8, v9
	s_xor_b32 s13, exec_lo, s13
; %bb.1789:                             ;   in Loop: Header=BB6_130 Depth=2
	v_cmp_lt_u32_e32 vcc_lo, 0xffffff, v32
	v_sub_nc_u32_e32 v8, v8, v9
	v_cndmask_b32_e64 v9, 0, 1, vcc_lo
	v_add_co_ci_u32_e64 v33, null, 0, v8, vcc_lo
	v_lshrrev_b32_e32 v32, v9, v32
; %bb.1790:                             ;   in Loop: Header=BB6_130 Depth=2
	s_andn2_saveexec_b32 s13, s13
; %bb.1791:                             ;   in Loop: Header=BB6_130 Depth=2
	v_bfe_u32 v33, v32, 23, 1
; %bb.1792:                             ;   in Loop: Header=BB6_130 Depth=2
	s_or_b32 exec_lo, exec_lo, s13
	v_lshrrev_b32_e32 v8, 20, v32
	v_min_i32_e32 v9, 15, v33
	v_cmp_gt_i32_e32 vcc_lo, 16, v33
	v_and_b32_sdwa v7, v7, v114 dst_sel:DWORD dst_unused:UNUSED_PAD src0_sel:BYTE_3 src1_sel:DWORD
	v_lshlrev_b32_e32 v9, 3, v9
	v_cndmask_b32_e32 v8, 7, v8, vcc_lo
	v_and_b32_e32 v9, 0xf8, v9
	v_or_b32_e32 v32, v33, v8
	v_and_b32_e32 v8, 7, v8
	v_cmp_ne_u32_e32 vcc_lo, 0, v32
	v_or3_b32 v7, v7, v9, v8
	v_lshlrev_b32_e32 v7, 8, v7
	v_cndmask_b32_e32 v36, 0, v7, vcc_lo
.LBB6_1793:                             ;   in Loop: Header=BB6_130 Depth=2
	s_or_b32 exec_lo, exec_lo, s41
.LBB6_1794:                             ;   in Loop: Header=BB6_130 Depth=2
	s_or_b32 exec_lo, exec_lo, s40
	v_or_b32_e32 v8, v106, v104
	s_mov_b32 s40, 0
	v_cmp_gt_i16_sdwa s13, v8, v113 src0_sel:BYTE_0 src1_sel:DWORD
	s_and_saveexec_b32 s41, s13
	s_xor_b32 s13, exec_lo, s41
	s_cbranch_execz .LBB6_2592
; %bb.1795:                             ;   in Loop: Header=BB6_130 Depth=2
	v_cmp_eq_u16_sdwa s42, v8, v114 src0_sel:BYTE_0 src1_sel:DWORD
	s_mov_b32 s40, -1
	s_and_saveexec_b32 s41, s42
; %bb.1796:                             ;   in Loop: Header=BB6_130 Depth=2
	s_xor_b32 s40, exec_lo, -1
; %bb.1797:                             ;   in Loop: Header=BB6_130 Depth=2
	s_or_b32 exec_lo, exec_lo, s41
	s_and_b32 s40, s40, exec_lo
	s_or_saveexec_b32 s13, s13
	v_mov_b32_e32 v7, 0x7f800001
	s_xor_b32 exec_lo, exec_lo, s13
	s_cbranch_execnz .LBB6_2593
.LBB6_1798:                             ;   in Loop: Header=BB6_130 Depth=2
	s_or_b32 exec_lo, exec_lo, s13
	v_lshl_or_b32 v6, v8, 16, v6
	s_and_saveexec_b32 s13, s40
	s_cbranch_execz .LBB6_1800
.LBB6_1799:                             ;   in Loop: Header=BB6_130 Depth=2
	v_bfe_u32 v7, v6, 16, 3
	v_bfe_u32 v8, v6, 19, 4
	v_ffbh_u32_e32 v9, v7
	v_cmp_eq_u32_e32 vcc_lo, 0, v8
	v_min_u32_e32 v9, 32, v9
	v_subrev_nc_u32_e32 v32, 28, v9
	v_sub_nc_u32_e32 v9, 29, v9
	v_lshlrev_b32_sdwa v32, v32, v6 dst_sel:DWORD dst_unused:UNUSED_PAD src0_sel:DWORD src1_sel:WORD_1
	v_cndmask_b32_e32 v8, v8, v9, vcc_lo
	v_lshlrev_b32_e32 v9, 8, v6
	v_and_b32_e32 v32, 7, v32
	v_lshl_add_u32 v8, v8, 23, 0x3b800000
	v_and_b32_e32 v9, 0x80000000, v9
	v_cndmask_b32_e32 v7, v7, v32, vcc_lo
	v_lshlrev_b32_e32 v7, 20, v7
	v_or3_b32 v7, v9, v8, v7
.LBB6_1800:                             ;   in Loop: Header=BB6_130 Depth=2
	s_or_b32 exec_lo, exec_lo, s13
	v_and_b32_sdwa v9, v15, v117 dst_sel:DWORD dst_unused:UNUSED_PAD src0_sel:WORD_1 src1_sel:DWORD
	s_mov_b32 s40, 0
	s_mov_b32 s13, exec_lo
	v_cmpx_lt_i16_e32 0x7f, v9
	s_xor_b32 s13, exec_lo, s13
	s_cbranch_execz .LBB6_2594
; %bb.1801:                             ;   in Loop: Header=BB6_130 Depth=2
	s_mov_b32 s40, -1
	s_mov_b32 s41, exec_lo
	v_cmpx_eq_u16_e32 0x80, v9
; %bb.1802:                             ;   in Loop: Header=BB6_130 Depth=2
	s_xor_b32 s40, exec_lo, -1
; %bb.1803:                             ;   in Loop: Header=BB6_130 Depth=2
	s_or_b32 exec_lo, exec_lo, s41
	s_and_b32 s40, s40, exec_lo
                                        ; implicit-def: $vgpr9
	s_or_saveexec_b32 s13, s13
	v_mov_b32_e32 v8, 0x7f800001
	s_xor_b32 exec_lo, exec_lo, s13
	s_cbranch_execnz .LBB6_2595
.LBB6_1804:                             ;   in Loop: Header=BB6_130 Depth=2
	s_or_b32 exec_lo, exec_lo, s13
	s_and_saveexec_b32 s13, s40
	s_cbranch_execz .LBB6_1806
.LBB6_1805:                             ;   in Loop: Header=BB6_130 Depth=2
	v_bfe_u32 v8, v15, 16, 3
	v_bfe_u32 v9, v15, 19, 4
	v_ffbh_u32_e32 v32, v8
	v_cmp_eq_u32_e32 vcc_lo, 0, v9
	v_min_u32_e32 v32, 32, v32
	v_subrev_nc_u32_e32 v33, 28, v32
	v_sub_nc_u32_e32 v32, 29, v32
	v_lshlrev_b32_sdwa v33, v33, v15 dst_sel:DWORD dst_unused:UNUSED_PAD src0_sel:DWORD src1_sel:WORD_1
	v_cndmask_b32_e32 v9, v9, v32, vcc_lo
	v_lshlrev_b32_e32 v32, 8, v15
	v_and_b32_e32 v33, 7, v33
	v_lshl_add_u32 v9, v9, 23, 0x3b800000
	v_and_b32_e32 v32, 0x80000000, v32
	v_cndmask_b32_e32 v8, v8, v33, vcc_lo
	v_lshlrev_b32_e32 v8, 20, v8
	v_or3_b32 v8, v32, v9, v8
.LBB6_1806:                             ;   in Loop: Header=BB6_130 Depth=2
	s_or_b32 exec_lo, exec_lo, s13
	v_add_f32_e32 v7, v7, v8
	v_mov_b32_e32 v37, 0x80
	s_mov_b32 s40, exec_lo
	v_and_b32_e32 v8, 0x7f800000, v7
	v_cmpx_ne_u32_e32 0x7f800000, v8
	s_cbranch_execz .LBB6_1814
; %bb.1807:                             ;   in Loop: Header=BB6_130 Depth=2
	v_mov_b32_e32 v37, 0
	s_mov_b32 s41, exec_lo
	v_cmpx_ne_u32_e32 0, v7
	s_cbranch_execz .LBB6_1813
; %bb.1808:                             ;   in Loop: Header=BB6_130 Depth=2
	v_bfe_u32 v9, v7, 23, 8
	v_and_b32_e32 v8, 0x7fffff, v7
	v_cmp_gt_u32_e64 s13, 0x79, v9
	v_sub_nc_u32_e32 v32, 0x78, v9
	v_cmp_eq_u32_e32 vcc_lo, 0, v9
	v_or_b32_e32 v33, 0x800000, v8
	v_cndmask_b32_e64 v32, 0, v32, s13
	v_cndmask_b32_e32 v8, v33, v8, vcc_lo
	v_cndmask_b32_e64 v32, v32, 0x77, vcc_lo
	v_lshl_add_u32 v33, 0x100000, v32, -1
	v_lshlrev_b32_e64 v37, v32, 0x80000
	v_and_b32_e32 v33, v33, v8
	v_cmp_eq_u32_e64 s13, v33, v37
	v_lshrrev_b32_e32 v33, v32, v8
	v_add_nc_u32_e32 v8, 0xffffff89, v9
	v_lshrrev_b32_e32 v9, 23, v33
	v_cndmask_b32_e64 v8, v8, 0xffffff8a, vcc_lo
	v_xor_b32_e32 v9, 1, v9
	v_add_nc_u32_e32 v8, v32, v8
	v_bfe_u32 v32, v33, 20, 1
	v_add_nc_u32_e32 v32, -1, v32
	v_cndmask_b32_e64 v32, 0, v32, s13
	s_mov_b32 s13, exec_lo
	v_add_nc_u32_e32 v32, v32, v33
	v_and_b32_e32 v32, 0xfffff, v32
	v_add_nc_u32_e32 v32, v32, v33
                                        ; implicit-def: $vgpr33
	v_cmpx_ne_u32_e64 v8, v9
	s_xor_b32 s13, exec_lo, s13
; %bb.1809:                             ;   in Loop: Header=BB6_130 Depth=2
	v_cmp_lt_u32_e32 vcc_lo, 0xffffff, v32
	v_sub_nc_u32_e32 v8, v8, v9
	v_cndmask_b32_e64 v9, 0, 1, vcc_lo
	v_add_co_ci_u32_e64 v33, null, 0, v8, vcc_lo
	v_lshrrev_b32_e32 v32, v9, v32
; %bb.1810:                             ;   in Loop: Header=BB6_130 Depth=2
	s_andn2_saveexec_b32 s13, s13
; %bb.1811:                             ;   in Loop: Header=BB6_130 Depth=2
	v_bfe_u32 v33, v32, 23, 1
; %bb.1812:                             ;   in Loop: Header=BB6_130 Depth=2
	s_or_b32 exec_lo, exec_lo, s13
	v_lshrrev_b32_e32 v8, 20, v32
	v_min_i32_e32 v9, 15, v33
	v_cmp_gt_i32_e32 vcc_lo, 16, v33
	v_and_b32_sdwa v7, v7, v114 dst_sel:DWORD dst_unused:UNUSED_PAD src0_sel:BYTE_3 src1_sel:DWORD
	v_lshlrev_b32_e32 v9, 3, v9
	v_cndmask_b32_e32 v8, 7, v8, vcc_lo
	v_and_b32_e32 v9, 0xf8, v9
	v_or_b32_e32 v32, v33, v8
	v_and_b32_e32 v8, 7, v8
	v_cmp_ne_u32_e32 vcc_lo, 0, v32
	v_or3_b32 v7, v9, v7, v8
	v_cndmask_b32_e32 v37, 0, v7, vcc_lo
.LBB6_1813:                             ;   in Loop: Header=BB6_130 Depth=2
	s_or_b32 exec_lo, exec_lo, s41
.LBB6_1814:                             ;   in Loop: Header=BB6_130 Depth=2
	s_or_b32 exec_lo, exec_lo, s40
	v_cmp_gt_i16_sdwa s40, v6, v113 src0_sel:BYTE_3 src1_sel:DWORD
	s_mov_b32 s13, 0
	s_and_saveexec_b32 s41, s40
	s_xor_b32 s40, exec_lo, s41
	s_cbranch_execz .LBB6_2596
; %bb.1815:                             ;   in Loop: Header=BB6_130 Depth=2
	v_cmp_eq_u16_sdwa s42, v6, v114 src0_sel:BYTE_3 src1_sel:DWORD
	s_mov_b32 s13, -1
	s_and_saveexec_b32 s41, s42
; %bb.1816:                             ;   in Loop: Header=BB6_130 Depth=2
	s_xor_b32 s13, exec_lo, -1
; %bb.1817:                             ;   in Loop: Header=BB6_130 Depth=2
	s_or_b32 exec_lo, exec_lo, s41
	s_and_b32 s13, s13, exec_lo
	s_or_saveexec_b32 s40, s40
	v_mov_b32_e32 v7, 0x7f800001
	s_xor_b32 exec_lo, exec_lo, s40
	s_cbranch_execnz .LBB6_2597
.LBB6_1818:                             ;   in Loop: Header=BB6_130 Depth=2
	s_or_b32 exec_lo, exec_lo, s40
	s_and_saveexec_b32 s40, s13
	s_cbranch_execz .LBB6_1820
.LBB6_1819:                             ;   in Loop: Header=BB6_130 Depth=2
	v_bfe_u32 v7, v6, 24, 3
	v_bfe_u32 v32, v6, 27, 4
	v_ffbh_u32_e32 v8, v7
	v_cmp_eq_u32_e32 vcc_lo, 0, v32
	v_min_u32_e32 v8, 32, v8
	v_subrev_nc_u32_e32 v9, 28, v8
	v_sub_nc_u32_e32 v8, 29, v8
	v_lshlrev_b32_sdwa v9, v9, v6 dst_sel:DWORD dst_unused:UNUSED_PAD src0_sel:DWORD src1_sel:BYTE_3
	v_cndmask_b32_e32 v8, v32, v8, vcc_lo
	v_and_b32_e32 v6, 0x80000000, v6
	v_and_b32_e32 v9, 7, v9
	v_lshl_add_u32 v8, v8, 23, 0x3b800000
	v_cndmask_b32_e32 v7, v7, v9, vcc_lo
	v_lshlrev_b32_e32 v7, 20, v7
	v_or3_b32 v7, v6, v8, v7
.LBB6_1820:                             ;   in Loop: Header=BB6_130 Depth=2
	s_or_b32 exec_lo, exec_lo, s40
	v_cmp_gt_i16_sdwa s40, v15, v113 src0_sel:BYTE_3 src1_sel:DWORD
	s_mov_b32 s13, 0
	s_and_saveexec_b32 s41, s40
	s_xor_b32 s40, exec_lo, s41
	s_cbranch_execz .LBB6_2598
; %bb.1821:                             ;   in Loop: Header=BB6_130 Depth=2
	v_cmp_eq_u16_sdwa s42, v15, v114 src0_sel:BYTE_3 src1_sel:DWORD
	s_mov_b32 s13, -1
	s_and_saveexec_b32 s41, s42
; %bb.1822:                             ;   in Loop: Header=BB6_130 Depth=2
	s_xor_b32 s13, exec_lo, -1
; %bb.1823:                             ;   in Loop: Header=BB6_130 Depth=2
	s_or_b32 exec_lo, exec_lo, s41
	s_and_b32 s13, s13, exec_lo
	s_or_saveexec_b32 s40, s40
	v_mov_b32_e32 v6, 0x7f800001
	s_xor_b32 exec_lo, exec_lo, s40
	s_cbranch_execnz .LBB6_2599
.LBB6_1824:                             ;   in Loop: Header=BB6_130 Depth=2
	s_or_b32 exec_lo, exec_lo, s40
	s_and_saveexec_b32 s40, s13
	s_cbranch_execz .LBB6_1826
.LBB6_1825:                             ;   in Loop: Header=BB6_130 Depth=2
	v_bfe_u32 v6, v15, 24, 3
	v_bfe_u32 v32, v15, 27, 4
	v_ffbh_u32_e32 v8, v6
	v_cmp_eq_u32_e32 vcc_lo, 0, v32
	v_min_u32_e32 v8, 32, v8
	v_subrev_nc_u32_e32 v9, 28, v8
	v_sub_nc_u32_e32 v8, 29, v8
	v_lshlrev_b32_sdwa v9, v9, v15 dst_sel:DWORD dst_unused:UNUSED_PAD src0_sel:DWORD src1_sel:BYTE_3
	v_cndmask_b32_e32 v8, v32, v8, vcc_lo
	v_and_b32_e32 v9, 7, v9
	v_lshl_add_u32 v8, v8, 23, 0x3b800000
	v_cndmask_b32_e32 v6, v6, v9, vcc_lo
	v_and_b32_e32 v9, 0x80000000, v15
	v_lshlrev_b32_e32 v6, 20, v6
	v_or3_b32 v6, v9, v8, v6
.LBB6_1826:                             ;   in Loop: Header=BB6_130 Depth=2
	s_or_b32 exec_lo, exec_lo, s40
	v_add_f32_e32 v7, v7, v6
	v_and_b32_e32 v6, 0x7f800000, v7
	v_cmp_ne_u32_e32 vcc_lo, 0x7f800000, v6
	v_mov_b32_e32 v6, 0x8000
	s_and_saveexec_b32 s40, vcc_lo
	s_cbranch_execz .LBB6_1834
; %bb.1827:                             ;   in Loop: Header=BB6_130 Depth=2
	v_mov_b32_e32 v6, 0
	s_mov_b32 s41, exec_lo
	v_cmpx_ne_u32_e32 0, v7
	s_cbranch_execz .LBB6_1833
; %bb.1828:                             ;   in Loop: Header=BB6_130 Depth=2
	v_bfe_u32 v8, v7, 23, 8
	v_and_b32_e32 v6, 0x7fffff, v7
	v_cmp_gt_u32_e64 s13, 0x79, v8
	v_sub_nc_u32_e32 v9, 0x78, v8
	v_cmp_eq_u32_e32 vcc_lo, 0, v8
	v_or_b32_e32 v15, 0x800000, v6
	v_cndmask_b32_e64 v9, 0, v9, s13
	v_cndmask_b32_e32 v6, v15, v6, vcc_lo
	v_cndmask_b32_e64 v9, v9, 0x77, vcc_lo
	v_lshl_add_u32 v15, 0x100000, v9, -1
	v_lshlrev_b32_e64 v32, v9, 0x80000
	v_and_b32_e32 v15, v15, v6
	v_cmp_eq_u32_e64 s13, v15, v32
	v_lshrrev_b32_e32 v15, v9, v6
	v_add_nc_u32_e32 v6, 0xffffff89, v8
	v_lshrrev_b32_e32 v8, 23, v15
	v_cndmask_b32_e64 v6, v6, 0xffffff8a, vcc_lo
	v_xor_b32_e32 v8, 1, v8
	v_add_nc_u32_e32 v6, v9, v6
	v_bfe_u32 v9, v15, 20, 1
	v_add_nc_u32_e32 v9, -1, v9
	v_cndmask_b32_e64 v9, 0, v9, s13
	s_mov_b32 s13, exec_lo
	v_add_nc_u32_e32 v9, v9, v15
	v_and_b32_e32 v9, 0xfffff, v9
	v_add_nc_u32_e32 v9, v9, v15
                                        ; implicit-def: $vgpr15
	v_cmpx_ne_u32_e64 v6, v8
	s_xor_b32 s13, exec_lo, s13
; %bb.1829:                             ;   in Loop: Header=BB6_130 Depth=2
	v_cmp_lt_u32_e32 vcc_lo, 0xffffff, v9
	v_sub_nc_u32_e32 v6, v6, v8
	v_cndmask_b32_e64 v8, 0, 1, vcc_lo
	v_add_co_ci_u32_e64 v15, null, 0, v6, vcc_lo
	v_lshrrev_b32_e32 v9, v8, v9
; %bb.1830:                             ;   in Loop: Header=BB6_130 Depth=2
	s_andn2_saveexec_b32 s13, s13
; %bb.1831:                             ;   in Loop: Header=BB6_130 Depth=2
	v_bfe_u32 v15, v9, 23, 1
; %bb.1832:                             ;   in Loop: Header=BB6_130 Depth=2
	s_or_b32 exec_lo, exec_lo, s13
	v_and_b32_sdwa v6, v7, v114 dst_sel:DWORD dst_unused:UNUSED_PAD src0_sel:BYTE_3 src1_sel:DWORD
	v_lshrrev_b32_e32 v7, 20, v9
	v_min_i32_e32 v8, 15, v15
	v_cmp_gt_i32_e32 vcc_lo, 16, v15
	v_lshlrev_b32_e32 v8, 3, v8
	v_cndmask_b32_e32 v7, 7, v7, vcc_lo
	v_and_b32_e32 v8, 0xf8, v8
	v_or_b32_e32 v9, v15, v7
	v_and_b32_e32 v7, 7, v7
	v_cmp_ne_u32_e32 vcc_lo, 0, v9
	v_or3_b32 v6, v6, v8, v7
	v_lshlrev_b32_e32 v6, 8, v6
	v_cndmask_b32_e32 v6, 0, v6, vcc_lo
.LBB6_1833:                             ;   in Loop: Header=BB6_130 Depth=2
	s_or_b32 exec_lo, exec_lo, s41
.LBB6_1834:                             ;   in Loop: Header=BB6_130 Depth=2
	s_or_b32 exec_lo, exec_lo, s40
	v_or_b32_e32 v9, v95, v94
	s_mov_b32 s40, 0
	v_cmp_gt_i16_sdwa s13, v9, v113 src0_sel:BYTE_0 src1_sel:DWORD
	s_and_saveexec_b32 s41, s13
	s_xor_b32 s13, exec_lo, s41
	s_cbranch_execz .LBB6_2600
; %bb.1835:                             ;   in Loop: Header=BB6_130 Depth=2
	v_cmp_eq_u16_sdwa s42, v9, v114 src0_sel:BYTE_0 src1_sel:DWORD
	s_mov_b32 s40, -1
	s_and_saveexec_b32 s41, s42
; %bb.1836:                             ;   in Loop: Header=BB6_130 Depth=2
	s_xor_b32 s40, exec_lo, -1
; %bb.1837:                             ;   in Loop: Header=BB6_130 Depth=2
	s_or_b32 exec_lo, exec_lo, s41
	s_and_b32 s40, s40, exec_lo
	s_or_saveexec_b32 s13, s13
	v_mov_b32_e32 v7, 0x7f800001
	s_xor_b32 exec_lo, exec_lo, s13
	s_cbranch_execnz .LBB6_2601
.LBB6_1838:                             ;   in Loop: Header=BB6_130 Depth=2
	s_or_b32 exec_lo, exec_lo, s13
	s_and_saveexec_b32 s13, s40
	s_cbranch_execz .LBB6_1840
.LBB6_1839:                             ;   in Loop: Header=BB6_130 Depth=2
	v_and_b32_e32 v7, 7, v9
	v_bfe_u32 v8, v9, 3, 4
	v_ffbh_u32_e32 v15, v7
	v_cmp_eq_u32_e32 vcc_lo, 0, v8
	v_min_u32_e32 v15, 32, v15
	v_subrev_nc_u32_e32 v32, 28, v15
	v_sub_nc_u32_e32 v15, 29, v15
	v_lshlrev_b32_e32 v32, v32, v9
	v_cndmask_b32_e32 v8, v8, v15, vcc_lo
	v_lshlrev_b32_e32 v15, 24, v9
	v_and_b32_e32 v32, 7, v32
	v_lshl_add_u32 v8, v8, 23, 0x3b800000
	v_and_b32_e32 v15, 0x80000000, v15
	v_cndmask_b32_e32 v7, v7, v32, vcc_lo
	v_lshlrev_b32_e32 v7, 20, v7
	v_or3_b32 v7, v15, v8, v7
.LBB6_1840:                             ;   in Loop: Header=BB6_130 Depth=2
	s_or_b32 exec_lo, exec_lo, s13
	v_cmp_gt_i16_sdwa s13, v16, v113 src0_sel:BYTE_0 src1_sel:DWORD
	s_mov_b32 s40, 0
	s_and_saveexec_b32 s41, s13
	s_xor_b32 s13, exec_lo, s41
	s_cbranch_execz .LBB6_2602
; %bb.1841:                             ;   in Loop: Header=BB6_130 Depth=2
	v_cmp_eq_u16_sdwa s42, v16, v114 src0_sel:BYTE_0 src1_sel:DWORD
	s_mov_b32 s40, -1
	s_and_saveexec_b32 s41, s42
; %bb.1842:                             ;   in Loop: Header=BB6_130 Depth=2
	s_xor_b32 s40, exec_lo, -1
; %bb.1843:                             ;   in Loop: Header=BB6_130 Depth=2
	s_or_b32 exec_lo, exec_lo, s41
	s_and_b32 s40, s40, exec_lo
	s_or_saveexec_b32 s13, s13
	v_mov_b32_e32 v8, 0x7f800001
	s_xor_b32 exec_lo, exec_lo, s13
	s_cbranch_execnz .LBB6_2603
.LBB6_1844:                             ;   in Loop: Header=BB6_130 Depth=2
	s_or_b32 exec_lo, exec_lo, s13
	s_and_saveexec_b32 s13, s40
	s_cbranch_execz .LBB6_1846
.LBB6_1845:                             ;   in Loop: Header=BB6_130 Depth=2
	v_and_b32_e32 v8, 7, v16
	v_bfe_u32 v15, v16, 3, 4
	v_ffbh_u32_e32 v32, v8
	v_cmp_eq_u32_e32 vcc_lo, 0, v15
	v_min_u32_e32 v32, 32, v32
	v_subrev_nc_u32_e32 v33, 28, v32
	v_sub_nc_u32_e32 v32, 29, v32
	v_lshlrev_b32_e32 v33, v33, v16
	v_cndmask_b32_e32 v15, v15, v32, vcc_lo
	v_lshlrev_b32_e32 v32, 24, v16
	v_and_b32_e32 v33, 7, v33
	v_lshl_add_u32 v15, v15, 23, 0x3b800000
	v_and_b32_e32 v32, 0x80000000, v32
	v_cndmask_b32_e32 v8, v8, v33, vcc_lo
	v_lshlrev_b32_e32 v8, 20, v8
	v_or3_b32 v8, v32, v15, v8
.LBB6_1846:                             ;   in Loop: Header=BB6_130 Depth=2
	s_or_b32 exec_lo, exec_lo, s13
	v_add_f32_e32 v8, v7, v8
	v_and_b32_e32 v7, 0x7f800000, v8
	v_cmp_ne_u32_e32 vcc_lo, 0x7f800000, v7
	v_mov_b32_e32 v7, 0x80
	s_and_saveexec_b32 s40, vcc_lo
	s_cbranch_execz .LBB6_1854
; %bb.1847:                             ;   in Loop: Header=BB6_130 Depth=2
	v_mov_b32_e32 v7, 0
	s_mov_b32 s41, exec_lo
	v_cmpx_ne_u32_e32 0, v8
	s_cbranch_execz .LBB6_1853
; %bb.1848:                             ;   in Loop: Header=BB6_130 Depth=2
	v_bfe_u32 v15, v8, 23, 8
	v_and_b32_e32 v7, 0x7fffff, v8
	v_cmp_gt_u32_e64 s13, 0x79, v15
	v_sub_nc_u32_e32 v32, 0x78, v15
	v_cmp_eq_u32_e32 vcc_lo, 0, v15
	v_or_b32_e32 v33, 0x800000, v7
	v_cndmask_b32_e64 v32, 0, v32, s13
	v_cndmask_b32_e32 v7, v33, v7, vcc_lo
	v_cndmask_b32_e64 v32, v32, 0x77, vcc_lo
	v_lshl_add_u32 v33, 0x100000, v32, -1
	v_lshlrev_b32_e64 v48, v32, 0x80000
	v_and_b32_e32 v33, v33, v7
	v_cmp_eq_u32_e64 s13, v33, v48
	v_lshrrev_b32_e32 v33, v32, v7
	v_add_nc_u32_e32 v7, 0xffffff89, v15
	v_lshrrev_b32_e32 v15, 23, v33
	v_cndmask_b32_e64 v7, v7, 0xffffff8a, vcc_lo
	v_xor_b32_e32 v15, 1, v15
	v_add_nc_u32_e32 v7, v32, v7
	v_bfe_u32 v32, v33, 20, 1
	v_add_nc_u32_e32 v32, -1, v32
	v_cndmask_b32_e64 v32, 0, v32, s13
	s_mov_b32 s13, exec_lo
	v_add_nc_u32_e32 v32, v32, v33
	v_and_b32_e32 v32, 0xfffff, v32
	v_add_nc_u32_e32 v32, v32, v33
                                        ; implicit-def: $vgpr33
	v_cmpx_ne_u32_e64 v7, v15
	s_xor_b32 s13, exec_lo, s13
; %bb.1849:                             ;   in Loop: Header=BB6_130 Depth=2
	v_cmp_lt_u32_e32 vcc_lo, 0xffffff, v32
	v_sub_nc_u32_e32 v7, v7, v15
	v_cndmask_b32_e64 v15, 0, 1, vcc_lo
	v_add_co_ci_u32_e64 v33, null, 0, v7, vcc_lo
	v_lshrrev_b32_e32 v32, v15, v32
; %bb.1850:                             ;   in Loop: Header=BB6_130 Depth=2
	s_andn2_saveexec_b32 s13, s13
; %bb.1851:                             ;   in Loop: Header=BB6_130 Depth=2
	v_bfe_u32 v33, v32, 23, 1
; %bb.1852:                             ;   in Loop: Header=BB6_130 Depth=2
	s_or_b32 exec_lo, exec_lo, s13
	v_and_b32_sdwa v7, v8, v114 dst_sel:DWORD dst_unused:UNUSED_PAD src0_sel:BYTE_3 src1_sel:DWORD
	v_lshrrev_b32_e32 v8, 20, v32
	v_min_i32_e32 v15, 15, v33
	v_cmp_gt_i32_e32 vcc_lo, 16, v33
	v_lshlrev_b32_e32 v15, 3, v15
	v_cndmask_b32_e32 v8, 7, v8, vcc_lo
	v_and_b32_e32 v15, 0xf8, v15
	v_or_b32_e32 v32, v33, v8
	v_and_b32_e32 v8, 7, v8
	v_cmp_ne_u32_e32 vcc_lo, 0, v32
	v_or3_b32 v7, v15, v7, v8
	v_cndmask_b32_e32 v7, 0, v7, vcc_lo
.LBB6_1853:                             ;   in Loop: Header=BB6_130 Depth=2
	s_or_b32 exec_lo, exec_lo, s41
.LBB6_1854:                             ;   in Loop: Header=BB6_130 Depth=2
	s_or_b32 exec_lo, exec_lo, s40
	v_cmp_gt_i16_sdwa s40, v9, v113 src0_sel:BYTE_1 src1_sel:DWORD
	s_mov_b32 s13, 0
	s_and_saveexec_b32 s41, s40
	s_xor_b32 s40, exec_lo, s41
	s_cbranch_execz .LBB6_2604
; %bb.1855:                             ;   in Loop: Header=BB6_130 Depth=2
	v_cmp_eq_u16_sdwa s42, v9, v114 src0_sel:BYTE_1 src1_sel:DWORD
	s_mov_b32 s13, -1
	s_and_saveexec_b32 s41, s42
; %bb.1856:                             ;   in Loop: Header=BB6_130 Depth=2
	s_xor_b32 s13, exec_lo, -1
; %bb.1857:                             ;   in Loop: Header=BB6_130 Depth=2
	s_or_b32 exec_lo, exec_lo, s41
	s_and_b32 s13, s13, exec_lo
	s_or_saveexec_b32 s40, s40
	v_mov_b32_e32 v8, 0x7f800001
	s_xor_b32 exec_lo, exec_lo, s40
	s_cbranch_execnz .LBB6_2605
.LBB6_1858:                             ;   in Loop: Header=BB6_130 Depth=2
	s_or_b32 exec_lo, exec_lo, s40
	s_and_saveexec_b32 s40, s13
	s_cbranch_execz .LBB6_1860
.LBB6_1859:                             ;   in Loop: Header=BB6_130 Depth=2
	v_and_b32_sdwa v8, v115, v9 dst_sel:DWORD dst_unused:UNUSED_PAD src0_sel:DWORD src1_sel:BYTE_1
	v_and_b32_e32 v15, 7, v8
	v_bfe_u32 v48, v8, 3, 4
	v_ffbh_u32_e32 v32, v15
	v_cmp_eq_u32_e32 vcc_lo, 0, v48
	v_min_u32_e32 v32, 32, v32
	v_subrev_nc_u32_e32 v33, 28, v32
	v_sub_nc_u32_e32 v32, 29, v32
	v_lshlrev_b32_e32 v8, v33, v8
	v_lshlrev_b32_sdwa v33, v116, v9 dst_sel:DWORD dst_unused:UNUSED_PAD src0_sel:DWORD src1_sel:BYTE_1
	v_cndmask_b32_e32 v32, v48, v32, vcc_lo
	v_and_b32_e32 v8, 7, v8
	v_lshl_add_u32 v32, v32, 23, 0x3b800000
	v_cndmask_b32_e32 v8, v15, v8, vcc_lo
	v_and_b32_e32 v15, 0x80000000, v33
	v_lshlrev_b32_e32 v8, 20, v8
	v_or3_b32 v8, v15, v32, v8
.LBB6_1860:                             ;   in Loop: Header=BB6_130 Depth=2
	s_or_b32 exec_lo, exec_lo, s40
	v_cmp_gt_i16_sdwa s40, v16, v113 src0_sel:BYTE_1 src1_sel:DWORD
	s_mov_b32 s13, 0
	s_and_saveexec_b32 s41, s40
	s_xor_b32 s40, exec_lo, s41
	s_cbranch_execz .LBB6_2606
; %bb.1861:                             ;   in Loop: Header=BB6_130 Depth=2
	v_cmp_eq_u16_sdwa s42, v16, v114 src0_sel:BYTE_1 src1_sel:DWORD
	s_mov_b32 s13, -1
	s_and_saveexec_b32 s41, s42
; %bb.1862:                             ;   in Loop: Header=BB6_130 Depth=2
	s_xor_b32 s13, exec_lo, -1
; %bb.1863:                             ;   in Loop: Header=BB6_130 Depth=2
	s_or_b32 exec_lo, exec_lo, s41
	s_and_b32 s13, s13, exec_lo
	s_or_saveexec_b32 s40, s40
	v_mov_b32_e32 v15, 0x7f800001
	s_xor_b32 exec_lo, exec_lo, s40
	s_cbranch_execnz .LBB6_2607
.LBB6_1864:                             ;   in Loop: Header=BB6_130 Depth=2
	s_or_b32 exec_lo, exec_lo, s40
	s_and_saveexec_b32 s40, s13
	s_cbranch_execz .LBB6_1866
.LBB6_1865:                             ;   in Loop: Header=BB6_130 Depth=2
	v_and_b32_sdwa v15, v115, v16 dst_sel:DWORD dst_unused:UNUSED_PAD src0_sel:DWORD src1_sel:BYTE_1
	v_and_b32_e32 v32, 7, v15
	v_bfe_u32 v49, v15, 3, 4
	v_ffbh_u32_e32 v33, v32
	v_cmp_eq_u32_e32 vcc_lo, 0, v49
	v_min_u32_e32 v33, 32, v33
	v_subrev_nc_u32_e32 v48, 28, v33
	v_sub_nc_u32_e32 v33, 29, v33
	v_lshlrev_b32_e32 v15, v48, v15
	v_lshlrev_b32_sdwa v48, v116, v16 dst_sel:DWORD dst_unused:UNUSED_PAD src0_sel:DWORD src1_sel:BYTE_1
	v_cndmask_b32_e32 v33, v49, v33, vcc_lo
	v_and_b32_e32 v15, 7, v15
	v_lshl_add_u32 v33, v33, 23, 0x3b800000
	v_cndmask_b32_e32 v15, v32, v15, vcc_lo
	v_and_b32_e32 v32, 0x80000000, v48
	v_lshlrev_b32_e32 v15, 20, v15
	v_or3_b32 v15, v32, v33, v15
.LBB6_1866:                             ;   in Loop: Header=BB6_130 Depth=2
	s_or_b32 exec_lo, exec_lo, s40
	v_add_f32_e32 v15, v8, v15
	v_and_b32_e32 v8, 0x7f800000, v15
	v_cmp_ne_u32_e32 vcc_lo, 0x7f800000, v8
	v_mov_b32_e32 v8, 0x8000
	s_and_saveexec_b32 s40, vcc_lo
	s_cbranch_execz .LBB6_1874
; %bb.1867:                             ;   in Loop: Header=BB6_130 Depth=2
	v_mov_b32_e32 v8, 0
	s_mov_b32 s41, exec_lo
	v_cmpx_ne_u32_e32 0, v15
	s_cbranch_execz .LBB6_1873
; %bb.1868:                             ;   in Loop: Header=BB6_130 Depth=2
	v_bfe_u32 v32, v15, 23, 8
	v_and_b32_e32 v8, 0x7fffff, v15
	v_cmp_gt_u32_e64 s13, 0x79, v32
	v_sub_nc_u32_e32 v33, 0x78, v32
	v_cmp_eq_u32_e32 vcc_lo, 0, v32
	v_or_b32_e32 v48, 0x800000, v8
	v_cndmask_b32_e64 v33, 0, v33, s13
	v_cndmask_b32_e32 v8, v48, v8, vcc_lo
	v_cndmask_b32_e64 v33, v33, 0x77, vcc_lo
	v_lshl_add_u32 v48, 0x100000, v33, -1
	v_lshlrev_b32_e64 v49, v33, 0x80000
	v_and_b32_e32 v48, v48, v8
	v_cmp_eq_u32_e64 s13, v48, v49
	v_lshrrev_b32_e32 v48, v33, v8
	v_add_nc_u32_e32 v8, 0xffffff89, v32
	v_lshrrev_b32_e32 v32, 23, v48
	v_cndmask_b32_e64 v8, v8, 0xffffff8a, vcc_lo
	v_xor_b32_e32 v32, 1, v32
	v_add_nc_u32_e32 v8, v33, v8
	v_bfe_u32 v33, v48, 20, 1
	v_add_nc_u32_e32 v33, -1, v33
	v_cndmask_b32_e64 v33, 0, v33, s13
	s_mov_b32 s13, exec_lo
	v_add_nc_u32_e32 v33, v33, v48
	v_and_b32_e32 v33, 0xfffff, v33
	v_add_nc_u32_e32 v33, v33, v48
                                        ; implicit-def: $vgpr48
	v_cmpx_ne_u32_e64 v8, v32
	s_xor_b32 s13, exec_lo, s13
; %bb.1869:                             ;   in Loop: Header=BB6_130 Depth=2
	v_cmp_lt_u32_e32 vcc_lo, 0xffffff, v33
	v_sub_nc_u32_e32 v8, v8, v32
	v_cndmask_b32_e64 v32, 0, 1, vcc_lo
	v_add_co_ci_u32_e64 v48, null, 0, v8, vcc_lo
	v_lshrrev_b32_e32 v33, v32, v33
; %bb.1870:                             ;   in Loop: Header=BB6_130 Depth=2
	s_andn2_saveexec_b32 s13, s13
; %bb.1871:                             ;   in Loop: Header=BB6_130 Depth=2
	v_bfe_u32 v48, v33, 23, 1
; %bb.1872:                             ;   in Loop: Header=BB6_130 Depth=2
	s_or_b32 exec_lo, exec_lo, s13
	v_and_b32_sdwa v8, v15, v114 dst_sel:DWORD dst_unused:UNUSED_PAD src0_sel:BYTE_3 src1_sel:DWORD
	v_lshrrev_b32_e32 v15, 20, v33
	v_min_i32_e32 v32, 15, v48
	v_cmp_gt_i32_e32 vcc_lo, 16, v48
	v_lshlrev_b32_e32 v32, 3, v32
	v_cndmask_b32_e32 v15, 7, v15, vcc_lo
	v_and_b32_e32 v32, 0xf8, v32
	v_or_b32_e32 v33, v48, v15
	v_and_b32_e32 v15, 7, v15
	v_cmp_ne_u32_e32 vcc_lo, 0, v33
	v_or3_b32 v8, v8, v32, v15
	v_lshlrev_b32_e32 v8, 8, v8
	v_cndmask_b32_e32 v8, 0, v8, vcc_lo
.LBB6_1873:                             ;   in Loop: Header=BB6_130 Depth=2
	s_or_b32 exec_lo, exec_lo, s41
.LBB6_1874:                             ;   in Loop: Header=BB6_130 Depth=2
	s_or_b32 exec_lo, exec_lo, s40
	v_or_b32_e32 v15, v92, v91
	s_mov_b32 s40, 0
	v_cmp_gt_i16_sdwa s13, v15, v113 src0_sel:BYTE_0 src1_sel:DWORD
	s_and_saveexec_b32 s41, s13
	s_xor_b32 s13, exec_lo, s41
	s_cbranch_execz .LBB6_2608
; %bb.1875:                             ;   in Loop: Header=BB6_130 Depth=2
	v_cmp_eq_u16_sdwa s42, v15, v114 src0_sel:BYTE_0 src1_sel:DWORD
	s_mov_b32 s40, -1
	s_and_saveexec_b32 s41, s42
; %bb.1876:                             ;   in Loop: Header=BB6_130 Depth=2
	s_xor_b32 s40, exec_lo, -1
; %bb.1877:                             ;   in Loop: Header=BB6_130 Depth=2
	s_or_b32 exec_lo, exec_lo, s41
	s_and_b32 s40, s40, exec_lo
	s_or_saveexec_b32 s13, s13
	v_mov_b32_e32 v32, 0x7f800001
	s_xor_b32 exec_lo, exec_lo, s13
	s_cbranch_execnz .LBB6_2609
.LBB6_1878:                             ;   in Loop: Header=BB6_130 Depth=2
	s_or_b32 exec_lo, exec_lo, s13
	v_lshl_or_b32 v15, v15, 16, v9
	s_and_saveexec_b32 s13, s40
	s_cbranch_execz .LBB6_1880
.LBB6_1879:                             ;   in Loop: Header=BB6_130 Depth=2
	v_bfe_u32 v9, v15, 16, 3
	v_bfe_u32 v32, v15, 19, 4
	v_ffbh_u32_e32 v33, v9
	v_cmp_eq_u32_e32 vcc_lo, 0, v32
	v_min_u32_e32 v33, 32, v33
	v_subrev_nc_u32_e32 v48, 28, v33
	v_sub_nc_u32_e32 v33, 29, v33
	v_lshlrev_b32_sdwa v48, v48, v15 dst_sel:DWORD dst_unused:UNUSED_PAD src0_sel:DWORD src1_sel:WORD_1
	v_cndmask_b32_e32 v32, v32, v33, vcc_lo
	v_lshlrev_b32_e32 v33, 8, v15
	v_and_b32_e32 v48, 7, v48
	v_lshl_add_u32 v32, v32, 23, 0x3b800000
	v_and_b32_e32 v33, 0x80000000, v33
	v_cndmask_b32_e32 v9, v9, v48, vcc_lo
	v_lshlrev_b32_e32 v9, 20, v9
	v_or3_b32 v32, v33, v32, v9
.LBB6_1880:                             ;   in Loop: Header=BB6_130 Depth=2
	s_or_b32 exec_lo, exec_lo, s13
	v_and_b32_sdwa v33, v16, v117 dst_sel:DWORD dst_unused:UNUSED_PAD src0_sel:WORD_1 src1_sel:DWORD
	s_mov_b32 s40, 0
	s_mov_b32 s13, exec_lo
	v_cmpx_lt_i16_e32 0x7f, v33
	s_xor_b32 s13, exec_lo, s13
	s_cbranch_execz .LBB6_2610
; %bb.1881:                             ;   in Loop: Header=BB6_130 Depth=2
	s_mov_b32 s40, -1
	s_mov_b32 s41, exec_lo
	v_cmpx_eq_u16_e32 0x80, v33
; %bb.1882:                             ;   in Loop: Header=BB6_130 Depth=2
	s_xor_b32 s40, exec_lo, -1
; %bb.1883:                             ;   in Loop: Header=BB6_130 Depth=2
	s_or_b32 exec_lo, exec_lo, s41
	s_and_b32 s40, s40, exec_lo
                                        ; implicit-def: $vgpr33
	s_or_saveexec_b32 s13, s13
	v_mov_b32_e32 v9, 0x7f800001
	s_xor_b32 exec_lo, exec_lo, s13
	s_cbranch_execnz .LBB6_2611
.LBB6_1884:                             ;   in Loop: Header=BB6_130 Depth=2
	s_or_b32 exec_lo, exec_lo, s13
	s_and_saveexec_b32 s13, s40
	s_cbranch_execz .LBB6_1886
.LBB6_1885:                             ;   in Loop: Header=BB6_130 Depth=2
	v_bfe_u32 v9, v16, 16, 3
	v_bfe_u32 v33, v16, 19, 4
	v_ffbh_u32_e32 v48, v9
	v_cmp_eq_u32_e32 vcc_lo, 0, v33
	v_min_u32_e32 v48, 32, v48
	v_subrev_nc_u32_e32 v49, 28, v48
	v_sub_nc_u32_e32 v48, 29, v48
	v_lshlrev_b32_sdwa v49, v49, v16 dst_sel:DWORD dst_unused:UNUSED_PAD src0_sel:DWORD src1_sel:WORD_1
	v_cndmask_b32_e32 v33, v33, v48, vcc_lo
	v_lshlrev_b32_e32 v48, 8, v16
	v_and_b32_e32 v49, 7, v49
	v_lshl_add_u32 v33, v33, 23, 0x3b800000
	v_and_b32_e32 v48, 0x80000000, v48
	v_cndmask_b32_e32 v9, v9, v49, vcc_lo
	v_lshlrev_b32_e32 v9, 20, v9
	v_or3_b32 v9, v48, v33, v9
.LBB6_1886:                             ;   in Loop: Header=BB6_130 Depth=2
	s_or_b32 exec_lo, exec_lo, s13
	v_add_f32_e32 v32, v32, v9
	v_and_b32_e32 v9, 0x7f800000, v32
	v_cmp_ne_u32_e32 vcc_lo, 0x7f800000, v9
	v_mov_b32_e32 v9, 0x80
	s_and_saveexec_b32 s40, vcc_lo
	s_cbranch_execz .LBB6_1894
; %bb.1887:                             ;   in Loop: Header=BB6_130 Depth=2
	v_mov_b32_e32 v9, 0
	s_mov_b32 s41, exec_lo
	v_cmpx_ne_u32_e32 0, v32
	s_cbranch_execz .LBB6_1893
; %bb.1888:                             ;   in Loop: Header=BB6_130 Depth=2
	v_bfe_u32 v33, v32, 23, 8
	v_and_b32_e32 v9, 0x7fffff, v32
	v_cmp_gt_u32_e64 s13, 0x79, v33
	v_sub_nc_u32_e32 v48, 0x78, v33
	v_cmp_eq_u32_e32 vcc_lo, 0, v33
	v_or_b32_e32 v49, 0x800000, v9
	v_cndmask_b32_e64 v48, 0, v48, s13
	v_cndmask_b32_e32 v9, v49, v9, vcc_lo
	v_cndmask_b32_e64 v48, v48, 0x77, vcc_lo
	v_lshl_add_u32 v49, 0x100000, v48, -1
	v_lshlrev_b32_e64 v51, v48, 0x80000
	v_and_b32_e32 v49, v49, v9
	v_cmp_eq_u32_e64 s13, v49, v51
	v_lshrrev_b32_e32 v49, v48, v9
	v_add_nc_u32_e32 v9, 0xffffff89, v33
	v_lshrrev_b32_e32 v33, 23, v49
	v_cndmask_b32_e64 v9, v9, 0xffffff8a, vcc_lo
	v_xor_b32_e32 v33, 1, v33
	v_add_nc_u32_e32 v9, v48, v9
	v_bfe_u32 v48, v49, 20, 1
	v_add_nc_u32_e32 v48, -1, v48
	v_cndmask_b32_e64 v48, 0, v48, s13
	s_mov_b32 s13, exec_lo
	v_add_nc_u32_e32 v48, v48, v49
	v_and_b32_e32 v48, 0xfffff, v48
	v_add_nc_u32_e32 v48, v48, v49
                                        ; implicit-def: $vgpr49
	v_cmpx_ne_u32_e64 v9, v33
	s_xor_b32 s13, exec_lo, s13
; %bb.1889:                             ;   in Loop: Header=BB6_130 Depth=2
	v_cmp_lt_u32_e32 vcc_lo, 0xffffff, v48
	v_sub_nc_u32_e32 v9, v9, v33
	v_cndmask_b32_e64 v33, 0, 1, vcc_lo
	v_add_co_ci_u32_e64 v49, null, 0, v9, vcc_lo
	v_lshrrev_b32_e32 v48, v33, v48
; %bb.1890:                             ;   in Loop: Header=BB6_130 Depth=2
	s_andn2_saveexec_b32 s13, s13
; %bb.1891:                             ;   in Loop: Header=BB6_130 Depth=2
	v_bfe_u32 v49, v48, 23, 1
; %bb.1892:                             ;   in Loop: Header=BB6_130 Depth=2
	s_or_b32 exec_lo, exec_lo, s13
	v_and_b32_sdwa v9, v32, v114 dst_sel:DWORD dst_unused:UNUSED_PAD src0_sel:BYTE_3 src1_sel:DWORD
	v_lshrrev_b32_e32 v32, 20, v48
	v_min_i32_e32 v33, 15, v49
	v_cmp_gt_i32_e32 vcc_lo, 16, v49
	v_lshlrev_b32_e32 v33, 3, v33
	v_cndmask_b32_e32 v32, 7, v32, vcc_lo
	v_and_b32_e32 v33, 0xf8, v33
	v_or_b32_e32 v48, v49, v32
	v_and_b32_e32 v32, 7, v32
	v_cmp_ne_u32_e32 vcc_lo, 0, v48
	v_or3_b32 v9, v33, v9, v32
	v_cndmask_b32_e32 v9, 0, v9, vcc_lo
.LBB6_1893:                             ;   in Loop: Header=BB6_130 Depth=2
	s_or_b32 exec_lo, exec_lo, s41
.LBB6_1894:                             ;   in Loop: Header=BB6_130 Depth=2
	s_or_b32 exec_lo, exec_lo, s40
	v_cmp_gt_i16_sdwa s40, v15, v113 src0_sel:BYTE_3 src1_sel:DWORD
	s_mov_b32 s13, 0
	s_and_saveexec_b32 s41, s40
	s_xor_b32 s40, exec_lo, s41
	s_cbranch_execz .LBB6_2612
; %bb.1895:                             ;   in Loop: Header=BB6_130 Depth=2
	v_cmp_eq_u16_sdwa s42, v15, v114 src0_sel:BYTE_3 src1_sel:DWORD
	s_mov_b32 s13, -1
	s_and_saveexec_b32 s41, s42
; %bb.1896:                             ;   in Loop: Header=BB6_130 Depth=2
	s_xor_b32 s13, exec_lo, -1
; %bb.1897:                             ;   in Loop: Header=BB6_130 Depth=2
	s_or_b32 exec_lo, exec_lo, s41
	s_and_b32 s13, s13, exec_lo
	s_or_saveexec_b32 s40, s40
	v_mov_b32_e32 v32, 0x7f800001
	s_xor_b32 exec_lo, exec_lo, s40
	s_cbranch_execnz .LBB6_2613
.LBB6_1898:                             ;   in Loop: Header=BB6_130 Depth=2
	s_or_b32 exec_lo, exec_lo, s40
	s_and_saveexec_b32 s40, s13
	s_cbranch_execz .LBB6_1900
.LBB6_1899:                             ;   in Loop: Header=BB6_130 Depth=2
	v_bfe_u32 v32, v15, 24, 3
	v_bfe_u32 v49, v15, 27, 4
	v_ffbh_u32_e32 v33, v32
	v_cmp_eq_u32_e32 vcc_lo, 0, v49
	v_min_u32_e32 v33, 32, v33
	v_subrev_nc_u32_e32 v48, 28, v33
	v_sub_nc_u32_e32 v33, 29, v33
	v_lshlrev_b32_sdwa v48, v48, v15 dst_sel:DWORD dst_unused:UNUSED_PAD src0_sel:DWORD src1_sel:BYTE_3
	v_cndmask_b32_e32 v33, v49, v33, vcc_lo
	v_and_b32_e32 v15, 0x80000000, v15
	v_and_b32_e32 v48, 7, v48
	v_lshl_add_u32 v33, v33, 23, 0x3b800000
	v_cndmask_b32_e32 v32, v32, v48, vcc_lo
	v_lshlrev_b32_e32 v32, 20, v32
	v_or3_b32 v32, v15, v33, v32
.LBB6_1900:                             ;   in Loop: Header=BB6_130 Depth=2
	s_or_b32 exec_lo, exec_lo, s40
	v_cmp_gt_i16_sdwa s40, v16, v113 src0_sel:BYTE_3 src1_sel:DWORD
	s_mov_b32 s13, 0
	s_and_saveexec_b32 s41, s40
	s_xor_b32 s40, exec_lo, s41
	s_cbranch_execz .LBB6_2614
; %bb.1901:                             ;   in Loop: Header=BB6_130 Depth=2
	v_cmp_eq_u16_sdwa s42, v16, v114 src0_sel:BYTE_3 src1_sel:DWORD
	s_mov_b32 s13, -1
	s_and_saveexec_b32 s41, s42
; %bb.1902:                             ;   in Loop: Header=BB6_130 Depth=2
	s_xor_b32 s13, exec_lo, -1
; %bb.1903:                             ;   in Loop: Header=BB6_130 Depth=2
	s_or_b32 exec_lo, exec_lo, s41
	s_and_b32 s13, s13, exec_lo
	s_or_saveexec_b32 s40, s40
	v_mov_b32_e32 v15, 0x7f800001
	s_xor_b32 exec_lo, exec_lo, s40
	s_cbranch_execnz .LBB6_2615
.LBB6_1904:                             ;   in Loop: Header=BB6_130 Depth=2
	s_or_b32 exec_lo, exec_lo, s40
	s_and_saveexec_b32 s40, s13
	s_cbranch_execz .LBB6_1906
.LBB6_1905:                             ;   in Loop: Header=BB6_130 Depth=2
	v_bfe_u32 v15, v16, 24, 3
	v_bfe_u32 v49, v16, 27, 4
	v_ffbh_u32_e32 v33, v15
	v_cmp_eq_u32_e32 vcc_lo, 0, v49
	v_min_u32_e32 v33, 32, v33
	v_subrev_nc_u32_e32 v48, 28, v33
	v_sub_nc_u32_e32 v33, 29, v33
	v_lshlrev_b32_sdwa v48, v48, v16 dst_sel:DWORD dst_unused:UNUSED_PAD src0_sel:DWORD src1_sel:BYTE_3
	v_cndmask_b32_e32 v33, v49, v33, vcc_lo
	v_and_b32_e32 v16, 0x80000000, v16
	v_and_b32_e32 v48, 7, v48
	v_lshl_add_u32 v33, v33, 23, 0x3b800000
	v_cndmask_b32_e32 v15, v15, v48, vcc_lo
	v_lshlrev_b32_e32 v15, 20, v15
	v_or3_b32 v15, v16, v33, v15
.LBB6_1906:                             ;   in Loop: Header=BB6_130 Depth=2
	s_or_b32 exec_lo, exec_lo, s40
	v_add_f32_e32 v16, v32, v15
	v_and_b32_e32 v15, 0x7f800000, v16
	v_cmp_ne_u32_e32 vcc_lo, 0x7f800000, v15
	v_mov_b32_e32 v15, 0x8000
	s_and_saveexec_b32 s40, vcc_lo
	s_cbranch_execz .LBB6_1914
; %bb.1907:                             ;   in Loop: Header=BB6_130 Depth=2
	v_mov_b32_e32 v15, 0
	s_mov_b32 s41, exec_lo
	v_cmpx_ne_u32_e32 0, v16
	s_cbranch_execz .LBB6_1913
; %bb.1908:                             ;   in Loop: Header=BB6_130 Depth=2
	v_bfe_u32 v32, v16, 23, 8
	v_and_b32_e32 v15, 0x7fffff, v16
	v_cmp_gt_u32_e64 s13, 0x79, v32
	v_sub_nc_u32_e32 v33, 0x78, v32
	v_cmp_eq_u32_e32 vcc_lo, 0, v32
	v_or_b32_e32 v48, 0x800000, v15
	v_cndmask_b32_e64 v33, 0, v33, s13
	v_cndmask_b32_e32 v15, v48, v15, vcc_lo
	v_cndmask_b32_e64 v33, v33, 0x77, vcc_lo
	v_lshl_add_u32 v48, 0x100000, v33, -1
	v_lshlrev_b32_e64 v49, v33, 0x80000
	v_and_b32_e32 v48, v48, v15
	v_cmp_eq_u32_e64 s13, v48, v49
	v_lshrrev_b32_e32 v48, v33, v15
	v_add_nc_u32_e32 v15, 0xffffff89, v32
	v_lshrrev_b32_e32 v32, 23, v48
	v_cndmask_b32_e64 v15, v15, 0xffffff8a, vcc_lo
	v_xor_b32_e32 v32, 1, v32
	v_add_nc_u32_e32 v15, v33, v15
	v_bfe_u32 v33, v48, 20, 1
	v_add_nc_u32_e32 v33, -1, v33
	v_cndmask_b32_e64 v33, 0, v33, s13
	s_mov_b32 s13, exec_lo
	v_add_nc_u32_e32 v33, v33, v48
	v_and_b32_e32 v33, 0xfffff, v33
	v_add_nc_u32_e32 v33, v33, v48
                                        ; implicit-def: $vgpr48
	v_cmpx_ne_u32_e64 v15, v32
	s_xor_b32 s13, exec_lo, s13
; %bb.1909:                             ;   in Loop: Header=BB6_130 Depth=2
	v_cmp_lt_u32_e32 vcc_lo, 0xffffff, v33
	v_sub_nc_u32_e32 v15, v15, v32
	v_cndmask_b32_e64 v32, 0, 1, vcc_lo
	v_add_co_ci_u32_e64 v48, null, 0, v15, vcc_lo
	v_lshrrev_b32_e32 v33, v32, v33
; %bb.1910:                             ;   in Loop: Header=BB6_130 Depth=2
	s_andn2_saveexec_b32 s13, s13
; %bb.1911:                             ;   in Loop: Header=BB6_130 Depth=2
	v_bfe_u32 v48, v33, 23, 1
; %bb.1912:                             ;   in Loop: Header=BB6_130 Depth=2
	s_or_b32 exec_lo, exec_lo, s13
	v_and_b32_sdwa v15, v16, v114 dst_sel:DWORD dst_unused:UNUSED_PAD src0_sel:BYTE_3 src1_sel:DWORD
	v_lshrrev_b32_e32 v16, 20, v33
	v_min_i32_e32 v32, 15, v48
	v_cmp_gt_i32_e32 vcc_lo, 16, v48
	v_lshlrev_b32_e32 v32, 3, v32
	v_cndmask_b32_e32 v16, 7, v16, vcc_lo
	v_and_b32_e32 v32, 0xf8, v32
	v_or_b32_e32 v33, v48, v16
	v_and_b32_e32 v16, 7, v16
	v_cmp_ne_u32_e32 vcc_lo, 0, v33
	v_or3_b32 v15, v15, v32, v16
	v_lshlrev_b32_e32 v15, 8, v15
	v_cndmask_b32_e32 v15, 0, v15, vcc_lo
.LBB6_1913:                             ;   in Loop: Header=BB6_130 Depth=2
	s_or_b32 exec_lo, exec_lo, s41
.LBB6_1914:                             ;   in Loop: Header=BB6_130 Depth=2
	s_or_b32 exec_lo, exec_lo, s40
	v_or_b32_e32 v33, v89, v88
	s_mov_b32 s40, 0
	v_cmp_gt_i16_sdwa s13, v33, v113 src0_sel:BYTE_0 src1_sel:DWORD
	s_and_saveexec_b32 s41, s13
	s_xor_b32 s13, exec_lo, s41
	s_cbranch_execz .LBB6_2616
; %bb.1915:                             ;   in Loop: Header=BB6_130 Depth=2
	v_cmp_eq_u16_sdwa s42, v33, v114 src0_sel:BYTE_0 src1_sel:DWORD
	s_mov_b32 s40, -1
	s_and_saveexec_b32 s41, s42
; %bb.1916:                             ;   in Loop: Header=BB6_130 Depth=2
	s_xor_b32 s40, exec_lo, -1
; %bb.1917:                             ;   in Loop: Header=BB6_130 Depth=2
	s_or_b32 exec_lo, exec_lo, s41
	s_and_b32 s40, s40, exec_lo
	s_or_saveexec_b32 s13, s13
	v_mov_b32_e32 v16, 0x7f800001
	s_xor_b32 exec_lo, exec_lo, s13
	s_cbranch_execnz .LBB6_2617
.LBB6_1918:                             ;   in Loop: Header=BB6_130 Depth=2
	s_or_b32 exec_lo, exec_lo, s13
	s_and_saveexec_b32 s13, s40
	s_cbranch_execz .LBB6_1920
.LBB6_1919:                             ;   in Loop: Header=BB6_130 Depth=2
	v_and_b32_e32 v16, 7, v33
	v_bfe_u32 v32, v33, 3, 4
	v_ffbh_u32_e32 v48, v16
	v_cmp_eq_u32_e32 vcc_lo, 0, v32
	v_min_u32_e32 v48, 32, v48
	v_subrev_nc_u32_e32 v49, 28, v48
	v_sub_nc_u32_e32 v48, 29, v48
	v_lshlrev_b32_e32 v49, v49, v33
	v_cndmask_b32_e32 v32, v32, v48, vcc_lo
	v_lshlrev_b32_e32 v48, 24, v33
	v_and_b32_e32 v49, 7, v49
	v_lshl_add_u32 v32, v32, 23, 0x3b800000
	v_and_b32_e32 v48, 0x80000000, v48
	v_cndmask_b32_e32 v16, v16, v49, vcc_lo
	v_lshlrev_b32_e32 v16, 20, v16
	v_or3_b32 v16, v48, v32, v16
.LBB6_1920:                             ;   in Loop: Header=BB6_130 Depth=2
	s_or_b32 exec_lo, exec_lo, s13
	v_cmp_gt_i16_sdwa s13, v17, v113 src0_sel:BYTE_0 src1_sel:DWORD
	s_mov_b32 s40, 0
	s_and_saveexec_b32 s41, s13
	s_xor_b32 s13, exec_lo, s41
	s_cbranch_execz .LBB6_2618
; %bb.1921:                             ;   in Loop: Header=BB6_130 Depth=2
	v_cmp_eq_u16_sdwa s42, v17, v114 src0_sel:BYTE_0 src1_sel:DWORD
	s_mov_b32 s40, -1
	s_and_saveexec_b32 s41, s42
; %bb.1922:                             ;   in Loop: Header=BB6_130 Depth=2
	s_xor_b32 s40, exec_lo, -1
; %bb.1923:                             ;   in Loop: Header=BB6_130 Depth=2
	s_or_b32 exec_lo, exec_lo, s41
	s_and_b32 s40, s40, exec_lo
	s_or_saveexec_b32 s13, s13
	v_mov_b32_e32 v32, 0x7f800001
	s_xor_b32 exec_lo, exec_lo, s13
	s_cbranch_execnz .LBB6_2619
.LBB6_1924:                             ;   in Loop: Header=BB6_130 Depth=2
	s_or_b32 exec_lo, exec_lo, s13
	s_and_saveexec_b32 s13, s40
	s_cbranch_execz .LBB6_1926
.LBB6_1925:                             ;   in Loop: Header=BB6_130 Depth=2
	v_and_b32_e32 v32, 7, v17
	v_bfe_u32 v48, v17, 3, 4
	v_ffbh_u32_e32 v49, v32
	v_cmp_eq_u32_e32 vcc_lo, 0, v48
	v_min_u32_e32 v49, 32, v49
	v_subrev_nc_u32_e32 v51, 28, v49
	v_sub_nc_u32_e32 v49, 29, v49
	v_lshlrev_b32_e32 v51, v51, v17
	v_cndmask_b32_e32 v48, v48, v49, vcc_lo
	v_lshlrev_b32_e32 v49, 24, v17
	v_and_b32_e32 v51, 7, v51
	v_lshl_add_u32 v48, v48, 23, 0x3b800000
	v_and_b32_e32 v49, 0x80000000, v49
	v_cndmask_b32_e32 v32, v32, v51, vcc_lo
	v_lshlrev_b32_e32 v32, 20, v32
	v_or3_b32 v32, v49, v48, v32
.LBB6_1926:                             ;   in Loop: Header=BB6_130 Depth=2
	s_or_b32 exec_lo, exec_lo, s13
	v_add_f32_e32 v32, v16, v32
	v_and_b32_e32 v16, 0x7f800000, v32
	v_cmp_ne_u32_e32 vcc_lo, 0x7f800000, v16
	v_mov_b32_e32 v16, 0x80
	s_and_saveexec_b32 s40, vcc_lo
	s_cbranch_execz .LBB6_1934
; %bb.1927:                             ;   in Loop: Header=BB6_130 Depth=2
	v_mov_b32_e32 v16, 0
	s_mov_b32 s41, exec_lo
	v_cmpx_ne_u32_e32 0, v32
	s_cbranch_execz .LBB6_1933
; %bb.1928:                             ;   in Loop: Header=BB6_130 Depth=2
	v_bfe_u32 v48, v32, 23, 8
	v_and_b32_e32 v16, 0x7fffff, v32
	v_cmp_gt_u32_e64 s13, 0x79, v48
	v_sub_nc_u32_e32 v49, 0x78, v48
	v_cmp_eq_u32_e32 vcc_lo, 0, v48
	v_or_b32_e32 v51, 0x800000, v16
	v_cndmask_b32_e64 v49, 0, v49, s13
	v_cndmask_b32_e32 v16, v51, v16, vcc_lo
	v_cndmask_b32_e64 v49, v49, 0x77, vcc_lo
	v_lshl_add_u32 v51, 0x100000, v49, -1
	v_lshlrev_b32_e64 v84, v49, 0x80000
	v_and_b32_e32 v51, v51, v16
	v_cmp_eq_u32_e64 s13, v51, v84
	v_lshrrev_b32_e32 v51, v49, v16
	v_add_nc_u32_e32 v16, 0xffffff89, v48
	v_lshrrev_b32_e32 v48, 23, v51
	v_cndmask_b32_e64 v16, v16, 0xffffff8a, vcc_lo
	v_xor_b32_e32 v48, 1, v48
	v_add_nc_u32_e32 v16, v49, v16
	v_bfe_u32 v49, v51, 20, 1
	v_add_nc_u32_e32 v49, -1, v49
	v_cndmask_b32_e64 v49, 0, v49, s13
	s_mov_b32 s13, exec_lo
	v_add_nc_u32_e32 v49, v49, v51
	v_and_b32_e32 v49, 0xfffff, v49
	v_add_nc_u32_e32 v49, v49, v51
                                        ; implicit-def: $vgpr51
	v_cmpx_ne_u32_e64 v16, v48
	s_xor_b32 s13, exec_lo, s13
; %bb.1929:                             ;   in Loop: Header=BB6_130 Depth=2
	v_cmp_lt_u32_e32 vcc_lo, 0xffffff, v49
	v_sub_nc_u32_e32 v16, v16, v48
	v_cndmask_b32_e64 v48, 0, 1, vcc_lo
	v_add_co_ci_u32_e64 v51, null, 0, v16, vcc_lo
	v_lshrrev_b32_e32 v49, v48, v49
; %bb.1930:                             ;   in Loop: Header=BB6_130 Depth=2
	s_andn2_saveexec_b32 s13, s13
; %bb.1931:                             ;   in Loop: Header=BB6_130 Depth=2
	v_bfe_u32 v51, v49, 23, 1
; %bb.1932:                             ;   in Loop: Header=BB6_130 Depth=2
	s_or_b32 exec_lo, exec_lo, s13
	v_and_b32_sdwa v16, v32, v114 dst_sel:DWORD dst_unused:UNUSED_PAD src0_sel:BYTE_3 src1_sel:DWORD
	v_lshrrev_b32_e32 v32, 20, v49
	v_min_i32_e32 v48, 15, v51
	v_cmp_gt_i32_e32 vcc_lo, 16, v51
	v_lshlrev_b32_e32 v48, 3, v48
	v_cndmask_b32_e32 v32, 7, v32, vcc_lo
	v_and_b32_e32 v48, 0xf8, v48
	v_or_b32_e32 v49, v51, v32
	v_and_b32_e32 v32, 7, v32
	v_cmp_ne_u32_e32 vcc_lo, 0, v49
	v_or3_b32 v16, v48, v16, v32
	v_cndmask_b32_e32 v16, 0, v16, vcc_lo
.LBB6_1933:                             ;   in Loop: Header=BB6_130 Depth=2
	s_or_b32 exec_lo, exec_lo, s41
.LBB6_1934:                             ;   in Loop: Header=BB6_130 Depth=2
	s_or_b32 exec_lo, exec_lo, s40
	v_cmp_gt_i16_sdwa s40, v33, v113 src0_sel:BYTE_1 src1_sel:DWORD
	s_mov_b32 s13, 0
	s_and_saveexec_b32 s41, s40
	s_xor_b32 s40, exec_lo, s41
	s_cbranch_execz .LBB6_2620
; %bb.1935:                             ;   in Loop: Header=BB6_130 Depth=2
	v_cmp_eq_u16_sdwa s42, v33, v114 src0_sel:BYTE_1 src1_sel:DWORD
	s_mov_b32 s13, -1
	s_and_saveexec_b32 s41, s42
; %bb.1936:                             ;   in Loop: Header=BB6_130 Depth=2
	s_xor_b32 s13, exec_lo, -1
; %bb.1937:                             ;   in Loop: Header=BB6_130 Depth=2
	s_or_b32 exec_lo, exec_lo, s41
	s_and_b32 s13, s13, exec_lo
	s_or_saveexec_b32 s40, s40
	v_mov_b32_e32 v32, 0x7f800001
	s_xor_b32 exec_lo, exec_lo, s40
	s_cbranch_execnz .LBB6_2621
.LBB6_1938:                             ;   in Loop: Header=BB6_130 Depth=2
	s_or_b32 exec_lo, exec_lo, s40
	s_and_saveexec_b32 s40, s13
	s_cbranch_execz .LBB6_1940
.LBB6_1939:                             ;   in Loop: Header=BB6_130 Depth=2
	v_and_b32_sdwa v32, v115, v33 dst_sel:DWORD dst_unused:UNUSED_PAD src0_sel:DWORD src1_sel:BYTE_1
	v_and_b32_e32 v48, 7, v32
	v_bfe_u32 v84, v32, 3, 4
	v_ffbh_u32_e32 v49, v48
	v_cmp_eq_u32_e32 vcc_lo, 0, v84
	v_min_u32_e32 v49, 32, v49
	v_subrev_nc_u32_e32 v51, 28, v49
	v_sub_nc_u32_e32 v49, 29, v49
	v_lshlrev_b32_e32 v32, v51, v32
	v_lshlrev_b32_sdwa v51, v116, v33 dst_sel:DWORD dst_unused:UNUSED_PAD src0_sel:DWORD src1_sel:BYTE_1
	v_cndmask_b32_e32 v49, v84, v49, vcc_lo
	v_and_b32_e32 v32, 7, v32
	v_lshl_add_u32 v49, v49, 23, 0x3b800000
	v_cndmask_b32_e32 v32, v48, v32, vcc_lo
	v_and_b32_e32 v48, 0x80000000, v51
	v_lshlrev_b32_e32 v32, 20, v32
	v_or3_b32 v32, v48, v49, v32
.LBB6_1940:                             ;   in Loop: Header=BB6_130 Depth=2
	s_or_b32 exec_lo, exec_lo, s40
	v_cmp_gt_i16_sdwa s40, v17, v113 src0_sel:BYTE_1 src1_sel:DWORD
	s_mov_b32 s13, 0
	s_and_saveexec_b32 s41, s40
	s_xor_b32 s40, exec_lo, s41
	s_cbranch_execz .LBB6_2622
; %bb.1941:                             ;   in Loop: Header=BB6_130 Depth=2
	v_cmp_eq_u16_sdwa s42, v17, v114 src0_sel:BYTE_1 src1_sel:DWORD
	s_mov_b32 s13, -1
	s_and_saveexec_b32 s41, s42
; %bb.1942:                             ;   in Loop: Header=BB6_130 Depth=2
	s_xor_b32 s13, exec_lo, -1
; %bb.1943:                             ;   in Loop: Header=BB6_130 Depth=2
	s_or_b32 exec_lo, exec_lo, s41
	s_and_b32 s13, s13, exec_lo
	s_or_saveexec_b32 s40, s40
	v_mov_b32_e32 v48, 0x7f800001
	s_xor_b32 exec_lo, exec_lo, s40
	s_cbranch_execnz .LBB6_2623
.LBB6_1944:                             ;   in Loop: Header=BB6_130 Depth=2
	s_or_b32 exec_lo, exec_lo, s40
	s_and_saveexec_b32 s40, s13
	s_cbranch_execz .LBB6_1946
.LBB6_1945:                             ;   in Loop: Header=BB6_130 Depth=2
	v_and_b32_sdwa v48, v115, v17 dst_sel:DWORD dst_unused:UNUSED_PAD src0_sel:DWORD src1_sel:BYTE_1
	v_and_b32_e32 v49, 7, v48
	v_bfe_u32 v85, v48, 3, 4
	v_ffbh_u32_e32 v51, v49
	v_cmp_eq_u32_e32 vcc_lo, 0, v85
	v_min_u32_e32 v51, 32, v51
	v_subrev_nc_u32_e32 v84, 28, v51
	v_sub_nc_u32_e32 v51, 29, v51
	v_lshlrev_b32_e32 v48, v84, v48
	v_lshlrev_b32_sdwa v84, v116, v17 dst_sel:DWORD dst_unused:UNUSED_PAD src0_sel:DWORD src1_sel:BYTE_1
	v_cndmask_b32_e32 v51, v85, v51, vcc_lo
	v_and_b32_e32 v48, 7, v48
	v_lshl_add_u32 v51, v51, 23, 0x3b800000
	v_cndmask_b32_e32 v48, v49, v48, vcc_lo
	v_and_b32_e32 v49, 0x80000000, v84
	v_lshlrev_b32_e32 v48, 20, v48
	v_or3_b32 v48, v49, v51, v48
.LBB6_1946:                             ;   in Loop: Header=BB6_130 Depth=2
	s_or_b32 exec_lo, exec_lo, s40
	v_add_f32_e32 v48, v32, v48
	v_and_b32_e32 v32, 0x7f800000, v48
	v_cmp_ne_u32_e32 vcc_lo, 0x7f800000, v32
	v_mov_b32_e32 v32, 0x8000
	s_and_saveexec_b32 s40, vcc_lo
	s_cbranch_execz .LBB6_1954
; %bb.1947:                             ;   in Loop: Header=BB6_130 Depth=2
	v_mov_b32_e32 v32, 0
	s_mov_b32 s41, exec_lo
	v_cmpx_ne_u32_e32 0, v48
	s_cbranch_execz .LBB6_1953
; %bb.1948:                             ;   in Loop: Header=BB6_130 Depth=2
	v_bfe_u32 v49, v48, 23, 8
	v_and_b32_e32 v32, 0x7fffff, v48
	v_cmp_gt_u32_e64 s13, 0x79, v49
	v_sub_nc_u32_e32 v51, 0x78, v49
	v_cmp_eq_u32_e32 vcc_lo, 0, v49
	v_or_b32_e32 v84, 0x800000, v32
	v_cndmask_b32_e64 v51, 0, v51, s13
	v_cndmask_b32_e32 v32, v84, v32, vcc_lo
	v_cndmask_b32_e64 v51, v51, 0x77, vcc_lo
	v_lshl_add_u32 v84, 0x100000, v51, -1
	v_lshlrev_b32_e64 v85, v51, 0x80000
	v_and_b32_e32 v84, v84, v32
	v_cmp_eq_u32_e64 s13, v84, v85
	v_lshrrev_b32_e32 v84, v51, v32
	v_add_nc_u32_e32 v32, 0xffffff89, v49
	v_lshrrev_b32_e32 v49, 23, v84
	v_cndmask_b32_e64 v32, v32, 0xffffff8a, vcc_lo
	v_xor_b32_e32 v49, 1, v49
	v_add_nc_u32_e32 v32, v51, v32
	v_bfe_u32 v51, v84, 20, 1
	v_add_nc_u32_e32 v51, -1, v51
	v_cndmask_b32_e64 v51, 0, v51, s13
	s_mov_b32 s13, exec_lo
	v_add_nc_u32_e32 v51, v51, v84
	v_and_b32_e32 v51, 0xfffff, v51
	v_add_nc_u32_e32 v51, v51, v84
                                        ; implicit-def: $vgpr84
	v_cmpx_ne_u32_e64 v32, v49
	s_xor_b32 s13, exec_lo, s13
; %bb.1949:                             ;   in Loop: Header=BB6_130 Depth=2
	v_cmp_lt_u32_e32 vcc_lo, 0xffffff, v51
	v_sub_nc_u32_e32 v32, v32, v49
	v_cndmask_b32_e64 v49, 0, 1, vcc_lo
	v_add_co_ci_u32_e64 v84, null, 0, v32, vcc_lo
	v_lshrrev_b32_e32 v51, v49, v51
; %bb.1950:                             ;   in Loop: Header=BB6_130 Depth=2
	s_andn2_saveexec_b32 s13, s13
; %bb.1951:                             ;   in Loop: Header=BB6_130 Depth=2
	v_bfe_u32 v84, v51, 23, 1
; %bb.1952:                             ;   in Loop: Header=BB6_130 Depth=2
	s_or_b32 exec_lo, exec_lo, s13
	v_and_b32_sdwa v32, v48, v114 dst_sel:DWORD dst_unused:UNUSED_PAD src0_sel:BYTE_3 src1_sel:DWORD
	v_lshrrev_b32_e32 v48, 20, v51
	v_min_i32_e32 v49, 15, v84
	v_cmp_gt_i32_e32 vcc_lo, 16, v84
	v_lshlrev_b32_e32 v49, 3, v49
	v_cndmask_b32_e32 v48, 7, v48, vcc_lo
	v_and_b32_e32 v49, 0xf8, v49
	v_or_b32_e32 v51, v84, v48
	v_and_b32_e32 v48, 7, v48
	v_cmp_ne_u32_e32 vcc_lo, 0, v51
	v_or3_b32 v32, v32, v49, v48
	v_lshlrev_b32_e32 v32, 8, v32
	v_cndmask_b32_e32 v32, 0, v32, vcc_lo
.LBB6_1953:                             ;   in Loop: Header=BB6_130 Depth=2
	s_or_b32 exec_lo, exec_lo, s41
.LBB6_1954:                             ;   in Loop: Header=BB6_130 Depth=2
	s_or_b32 exec_lo, exec_lo, s40
	v_or_b32_e32 v48, v79, v78
	s_mov_b32 s40, 0
	v_cmp_gt_i16_sdwa s13, v48, v113 src0_sel:BYTE_0 src1_sel:DWORD
	s_and_saveexec_b32 s41, s13
	s_xor_b32 s13, exec_lo, s41
	s_cbranch_execz .LBB6_2624
; %bb.1955:                             ;   in Loop: Header=BB6_130 Depth=2
	v_cmp_eq_u16_sdwa s42, v48, v114 src0_sel:BYTE_0 src1_sel:DWORD
	s_mov_b32 s40, -1
	s_and_saveexec_b32 s41, s42
; %bb.1956:                             ;   in Loop: Header=BB6_130 Depth=2
	s_xor_b32 s40, exec_lo, -1
; %bb.1957:                             ;   in Loop: Header=BB6_130 Depth=2
	s_or_b32 exec_lo, exec_lo, s41
	s_and_b32 s40, s40, exec_lo
	s_or_saveexec_b32 s13, s13
	v_mov_b32_e32 v49, 0x7f800001
	s_xor_b32 exec_lo, exec_lo, s13
	s_cbranch_execnz .LBB6_2625
.LBB6_1958:                             ;   in Loop: Header=BB6_130 Depth=2
	s_or_b32 exec_lo, exec_lo, s13
	v_lshl_or_b32 v48, v48, 16, v33
	s_and_saveexec_b32 s13, s40
	s_cbranch_execz .LBB6_1960
.LBB6_1959:                             ;   in Loop: Header=BB6_130 Depth=2
	v_bfe_u32 v33, v48, 16, 3
	v_bfe_u32 v49, v48, 19, 4
	v_ffbh_u32_e32 v51, v33
	v_cmp_eq_u32_e32 vcc_lo, 0, v49
	v_min_u32_e32 v51, 32, v51
	v_subrev_nc_u32_e32 v84, 28, v51
	v_sub_nc_u32_e32 v51, 29, v51
	v_lshlrev_b32_sdwa v84, v84, v48 dst_sel:DWORD dst_unused:UNUSED_PAD src0_sel:DWORD src1_sel:WORD_1
	v_cndmask_b32_e32 v49, v49, v51, vcc_lo
	v_lshlrev_b32_e32 v51, 8, v48
	v_and_b32_e32 v84, 7, v84
	v_lshl_add_u32 v49, v49, 23, 0x3b800000
	v_and_b32_e32 v51, 0x80000000, v51
	v_cndmask_b32_e32 v33, v33, v84, vcc_lo
	v_lshlrev_b32_e32 v33, 20, v33
	v_or3_b32 v49, v51, v49, v33
.LBB6_1960:                             ;   in Loop: Header=BB6_130 Depth=2
	s_or_b32 exec_lo, exec_lo, s13
	v_and_b32_sdwa v51, v17, v117 dst_sel:DWORD dst_unused:UNUSED_PAD src0_sel:WORD_1 src1_sel:DWORD
	s_mov_b32 s40, 0
	s_mov_b32 s13, exec_lo
	v_cmpx_lt_i16_e32 0x7f, v51
	s_xor_b32 s13, exec_lo, s13
	s_cbranch_execz .LBB6_2626
; %bb.1961:                             ;   in Loop: Header=BB6_130 Depth=2
	s_mov_b32 s40, -1
	s_mov_b32 s41, exec_lo
	v_cmpx_eq_u16_e32 0x80, v51
; %bb.1962:                             ;   in Loop: Header=BB6_130 Depth=2
	s_xor_b32 s40, exec_lo, -1
; %bb.1963:                             ;   in Loop: Header=BB6_130 Depth=2
	s_or_b32 exec_lo, exec_lo, s41
	s_and_b32 s40, s40, exec_lo
                                        ; implicit-def: $vgpr51
	s_or_saveexec_b32 s13, s13
	v_mov_b32_e32 v33, 0x7f800001
	s_xor_b32 exec_lo, exec_lo, s13
	s_cbranch_execnz .LBB6_2627
.LBB6_1964:                             ;   in Loop: Header=BB6_130 Depth=2
	s_or_b32 exec_lo, exec_lo, s13
	s_and_saveexec_b32 s13, s40
	s_cbranch_execz .LBB6_1966
.LBB6_1965:                             ;   in Loop: Header=BB6_130 Depth=2
	v_bfe_u32 v33, v17, 16, 3
	v_bfe_u32 v51, v17, 19, 4
	v_ffbh_u32_e32 v84, v33
	v_cmp_eq_u32_e32 vcc_lo, 0, v51
	v_min_u32_e32 v84, 32, v84
	v_subrev_nc_u32_e32 v85, 28, v84
	v_sub_nc_u32_e32 v84, 29, v84
	v_lshlrev_b32_sdwa v85, v85, v17 dst_sel:DWORD dst_unused:UNUSED_PAD src0_sel:DWORD src1_sel:WORD_1
	v_cndmask_b32_e32 v51, v51, v84, vcc_lo
	v_lshlrev_b32_e32 v84, 8, v17
	v_and_b32_e32 v85, 7, v85
	v_lshl_add_u32 v51, v51, 23, 0x3b800000
	v_and_b32_e32 v84, 0x80000000, v84
	v_cndmask_b32_e32 v33, v33, v85, vcc_lo
	v_lshlrev_b32_e32 v33, 20, v33
	v_or3_b32 v33, v84, v51, v33
.LBB6_1966:                             ;   in Loop: Header=BB6_130 Depth=2
	s_or_b32 exec_lo, exec_lo, s13
	v_add_f32_e32 v49, v49, v33
	v_and_b32_e32 v33, 0x7f800000, v49
	v_cmp_ne_u32_e32 vcc_lo, 0x7f800000, v33
	v_mov_b32_e32 v33, 0x80
	s_and_saveexec_b32 s40, vcc_lo
	s_cbranch_execz .LBB6_1974
; %bb.1967:                             ;   in Loop: Header=BB6_130 Depth=2
	v_mov_b32_e32 v33, 0
	s_mov_b32 s41, exec_lo
	v_cmpx_ne_u32_e32 0, v49
	s_cbranch_execz .LBB6_1973
; %bb.1968:                             ;   in Loop: Header=BB6_130 Depth=2
	v_bfe_u32 v51, v49, 23, 8
	v_and_b32_e32 v33, 0x7fffff, v49
	v_cmp_gt_u32_e64 s13, 0x79, v51
	v_sub_nc_u32_e32 v84, 0x78, v51
	v_cmp_eq_u32_e32 vcc_lo, 0, v51
	v_or_b32_e32 v85, 0x800000, v33
	v_cndmask_b32_e64 v84, 0, v84, s13
	v_cndmask_b32_e32 v33, v85, v33, vcc_lo
	v_cndmask_b32_e64 v84, v84, 0x77, vcc_lo
	v_lshl_add_u32 v85, 0x100000, v84, -1
	v_lshlrev_b32_e64 v87, v84, 0x80000
	v_and_b32_e32 v85, v85, v33
	v_cmp_eq_u32_e64 s13, v85, v87
	v_lshrrev_b32_e32 v85, v84, v33
	v_add_nc_u32_e32 v33, 0xffffff89, v51
	v_lshrrev_b32_e32 v51, 23, v85
	v_cndmask_b32_e64 v33, v33, 0xffffff8a, vcc_lo
	v_xor_b32_e32 v51, 1, v51
	v_add_nc_u32_e32 v33, v84, v33
	v_bfe_u32 v84, v85, 20, 1
	v_add_nc_u32_e32 v84, -1, v84
	v_cndmask_b32_e64 v84, 0, v84, s13
	s_mov_b32 s13, exec_lo
	v_add_nc_u32_e32 v84, v84, v85
	v_and_b32_e32 v84, 0xfffff, v84
	v_add_nc_u32_e32 v84, v84, v85
                                        ; implicit-def: $vgpr85
	v_cmpx_ne_u32_e64 v33, v51
	s_xor_b32 s13, exec_lo, s13
; %bb.1969:                             ;   in Loop: Header=BB6_130 Depth=2
	v_cmp_lt_u32_e32 vcc_lo, 0xffffff, v84
	v_sub_nc_u32_e32 v33, v33, v51
	v_cndmask_b32_e64 v51, 0, 1, vcc_lo
	v_add_co_ci_u32_e64 v85, null, 0, v33, vcc_lo
	v_lshrrev_b32_e32 v84, v51, v84
; %bb.1970:                             ;   in Loop: Header=BB6_130 Depth=2
	s_andn2_saveexec_b32 s13, s13
; %bb.1971:                             ;   in Loop: Header=BB6_130 Depth=2
	v_bfe_u32 v85, v84, 23, 1
; %bb.1972:                             ;   in Loop: Header=BB6_130 Depth=2
	s_or_b32 exec_lo, exec_lo, s13
	v_and_b32_sdwa v33, v49, v114 dst_sel:DWORD dst_unused:UNUSED_PAD src0_sel:BYTE_3 src1_sel:DWORD
	v_lshrrev_b32_e32 v49, 20, v84
	v_min_i32_e32 v51, 15, v85
	v_cmp_gt_i32_e32 vcc_lo, 16, v85
	v_lshlrev_b32_e32 v51, 3, v51
	v_cndmask_b32_e32 v49, 7, v49, vcc_lo
	v_and_b32_e32 v51, 0xf8, v51
	v_or_b32_e32 v84, v85, v49
	v_and_b32_e32 v49, 7, v49
	v_cmp_ne_u32_e32 vcc_lo, 0, v84
	v_or3_b32 v33, v51, v33, v49
	v_cndmask_b32_e32 v33, 0, v33, vcc_lo
.LBB6_1973:                             ;   in Loop: Header=BB6_130 Depth=2
	s_or_b32 exec_lo, exec_lo, s41
.LBB6_1974:                             ;   in Loop: Header=BB6_130 Depth=2
	s_or_b32 exec_lo, exec_lo, s40
	v_cmp_gt_i16_sdwa s40, v48, v113 src0_sel:BYTE_3 src1_sel:DWORD
	s_mov_b32 s13, 0
	s_and_saveexec_b32 s41, s40
	s_xor_b32 s40, exec_lo, s41
	s_cbranch_execz .LBB6_2628
; %bb.1975:                             ;   in Loop: Header=BB6_130 Depth=2
	v_cmp_eq_u16_sdwa s42, v48, v114 src0_sel:BYTE_3 src1_sel:DWORD
	s_mov_b32 s13, -1
	s_and_saveexec_b32 s41, s42
; %bb.1976:                             ;   in Loop: Header=BB6_130 Depth=2
	s_xor_b32 s13, exec_lo, -1
; %bb.1977:                             ;   in Loop: Header=BB6_130 Depth=2
	s_or_b32 exec_lo, exec_lo, s41
	s_and_b32 s13, s13, exec_lo
	s_or_saveexec_b32 s40, s40
	v_mov_b32_e32 v49, 0x7f800001
	s_xor_b32 exec_lo, exec_lo, s40
	s_cbranch_execnz .LBB6_2629
.LBB6_1978:                             ;   in Loop: Header=BB6_130 Depth=2
	s_or_b32 exec_lo, exec_lo, s40
	s_and_saveexec_b32 s40, s13
	s_cbranch_execz .LBB6_1980
.LBB6_1979:                             ;   in Loop: Header=BB6_130 Depth=2
	v_bfe_u32 v49, v48, 24, 3
	v_bfe_u32 v85, v48, 27, 4
	v_ffbh_u32_e32 v51, v49
	v_cmp_eq_u32_e32 vcc_lo, 0, v85
	v_min_u32_e32 v51, 32, v51
	v_subrev_nc_u32_e32 v84, 28, v51
	v_sub_nc_u32_e32 v51, 29, v51
	v_lshlrev_b32_sdwa v84, v84, v48 dst_sel:DWORD dst_unused:UNUSED_PAD src0_sel:DWORD src1_sel:BYTE_3
	v_cndmask_b32_e32 v51, v85, v51, vcc_lo
	v_and_b32_e32 v48, 0x80000000, v48
	v_and_b32_e32 v84, 7, v84
	v_lshl_add_u32 v51, v51, 23, 0x3b800000
	v_cndmask_b32_e32 v49, v49, v84, vcc_lo
	v_lshlrev_b32_e32 v49, 20, v49
	v_or3_b32 v49, v48, v51, v49
.LBB6_1980:                             ;   in Loop: Header=BB6_130 Depth=2
	s_or_b32 exec_lo, exec_lo, s40
	v_cmp_gt_i16_sdwa s40, v17, v113 src0_sel:BYTE_3 src1_sel:DWORD
	s_mov_b32 s13, 0
	s_and_saveexec_b32 s41, s40
	s_xor_b32 s40, exec_lo, s41
	s_cbranch_execz .LBB6_2630
; %bb.1981:                             ;   in Loop: Header=BB6_130 Depth=2
	v_cmp_eq_u16_sdwa s42, v17, v114 src0_sel:BYTE_3 src1_sel:DWORD
	s_mov_b32 s13, -1
	s_and_saveexec_b32 s41, s42
; %bb.1982:                             ;   in Loop: Header=BB6_130 Depth=2
	s_xor_b32 s13, exec_lo, -1
; %bb.1983:                             ;   in Loop: Header=BB6_130 Depth=2
	s_or_b32 exec_lo, exec_lo, s41
	s_and_b32 s13, s13, exec_lo
	s_or_saveexec_b32 s40, s40
	v_mov_b32_e32 v48, 0x7f800001
	s_xor_b32 exec_lo, exec_lo, s40
	s_cbranch_execnz .LBB6_2631
.LBB6_1984:                             ;   in Loop: Header=BB6_130 Depth=2
	s_or_b32 exec_lo, exec_lo, s40
	s_and_saveexec_b32 s40, s13
	s_cbranch_execz .LBB6_1986
.LBB6_1985:                             ;   in Loop: Header=BB6_130 Depth=2
	v_bfe_u32 v48, v17, 24, 3
	v_bfe_u32 v85, v17, 27, 4
	v_ffbh_u32_e32 v51, v48
	v_cmp_eq_u32_e32 vcc_lo, 0, v85
	v_min_u32_e32 v51, 32, v51
	v_subrev_nc_u32_e32 v84, 28, v51
	v_sub_nc_u32_e32 v51, 29, v51
	v_lshlrev_b32_sdwa v84, v84, v17 dst_sel:DWORD dst_unused:UNUSED_PAD src0_sel:DWORD src1_sel:BYTE_3
	v_cndmask_b32_e32 v51, v85, v51, vcc_lo
	v_and_b32_e32 v17, 0x80000000, v17
	v_and_b32_e32 v84, 7, v84
	v_lshl_add_u32 v51, v51, 23, 0x3b800000
	v_cndmask_b32_e32 v48, v48, v84, vcc_lo
	v_lshlrev_b32_e32 v48, 20, v48
	v_or3_b32 v48, v17, v51, v48
.LBB6_1986:                             ;   in Loop: Header=BB6_130 Depth=2
	s_or_b32 exec_lo, exec_lo, s40
	v_add_f32_e32 v48, v49, v48
	v_and_b32_e32 v17, 0x7f800000, v48
	v_cmp_ne_u32_e32 vcc_lo, 0x7f800000, v17
	v_mov_b32_e32 v17, 0x8000
	s_and_saveexec_b32 s40, vcc_lo
	s_cbranch_execz .LBB6_1994
; %bb.1987:                             ;   in Loop: Header=BB6_130 Depth=2
	v_mov_b32_e32 v17, 0
	s_mov_b32 s41, exec_lo
	v_cmpx_ne_u32_e32 0, v48
	s_cbranch_execz .LBB6_1993
; %bb.1988:                             ;   in Loop: Header=BB6_130 Depth=2
	v_bfe_u32 v49, v48, 23, 8
	v_and_b32_e32 v17, 0x7fffff, v48
	v_cmp_gt_u32_e64 s13, 0x79, v49
	v_sub_nc_u32_e32 v51, 0x78, v49
	v_cmp_eq_u32_e32 vcc_lo, 0, v49
	v_or_b32_e32 v84, 0x800000, v17
	v_cndmask_b32_e64 v51, 0, v51, s13
	v_cndmask_b32_e32 v17, v84, v17, vcc_lo
	v_cndmask_b32_e64 v51, v51, 0x77, vcc_lo
	v_lshl_add_u32 v84, 0x100000, v51, -1
	v_lshlrev_b32_e64 v85, v51, 0x80000
	v_and_b32_e32 v84, v84, v17
	v_cmp_eq_u32_e64 s13, v84, v85
	v_lshrrev_b32_e32 v84, v51, v17
	v_add_nc_u32_e32 v17, 0xffffff89, v49
	v_lshrrev_b32_e32 v49, 23, v84
	v_cndmask_b32_e64 v17, v17, 0xffffff8a, vcc_lo
	v_xor_b32_e32 v49, 1, v49
	v_add_nc_u32_e32 v17, v51, v17
	v_bfe_u32 v51, v84, 20, 1
	v_add_nc_u32_e32 v51, -1, v51
	v_cndmask_b32_e64 v51, 0, v51, s13
	s_mov_b32 s13, exec_lo
	v_add_nc_u32_e32 v51, v51, v84
	v_and_b32_e32 v51, 0xfffff, v51
	v_add_nc_u32_e32 v51, v51, v84
                                        ; implicit-def: $vgpr84
	v_cmpx_ne_u32_e64 v17, v49
	s_xor_b32 s13, exec_lo, s13
; %bb.1989:                             ;   in Loop: Header=BB6_130 Depth=2
	v_cmp_lt_u32_e32 vcc_lo, 0xffffff, v51
	v_sub_nc_u32_e32 v17, v17, v49
	v_cndmask_b32_e64 v49, 0, 1, vcc_lo
	v_add_co_ci_u32_e64 v84, null, 0, v17, vcc_lo
	v_lshrrev_b32_e32 v51, v49, v51
; %bb.1990:                             ;   in Loop: Header=BB6_130 Depth=2
	s_andn2_saveexec_b32 s13, s13
; %bb.1991:                             ;   in Loop: Header=BB6_130 Depth=2
	v_bfe_u32 v84, v51, 23, 1
; %bb.1992:                             ;   in Loop: Header=BB6_130 Depth=2
	s_or_b32 exec_lo, exec_lo, s13
	v_and_b32_sdwa v17, v48, v114 dst_sel:DWORD dst_unused:UNUSED_PAD src0_sel:BYTE_3 src1_sel:DWORD
	v_lshrrev_b32_e32 v48, 20, v51
	v_min_i32_e32 v49, 15, v84
	v_cmp_gt_i32_e32 vcc_lo, 16, v84
	v_lshlrev_b32_e32 v49, 3, v49
	v_cndmask_b32_e32 v48, 7, v48, vcc_lo
	v_and_b32_e32 v49, 0xf8, v49
	v_or_b32_e32 v51, v84, v48
	v_and_b32_e32 v48, 7, v48
	v_cmp_ne_u32_e32 vcc_lo, 0, v51
	v_or3_b32 v17, v17, v49, v48
	v_lshlrev_b32_e32 v17, 8, v17
	v_cndmask_b32_e32 v17, 0, v17, vcc_lo
.LBB6_1993:                             ;   in Loop: Header=BB6_130 Depth=2
	s_or_b32 exec_lo, exec_lo, s41
.LBB6_1994:                             ;   in Loop: Header=BB6_130 Depth=2
	s_or_b32 exec_lo, exec_lo, s40
	v_or_b32_e32 v51, v76, v75
	s_mov_b32 s40, 0
	v_cmp_gt_i16_sdwa s13, v51, v113 src0_sel:BYTE_0 src1_sel:DWORD
	s_and_saveexec_b32 s41, s13
	s_xor_b32 s13, exec_lo, s41
	s_cbranch_execz .LBB6_2632
; %bb.1995:                             ;   in Loop: Header=BB6_130 Depth=2
	v_cmp_eq_u16_sdwa s42, v51, v114 src0_sel:BYTE_0 src1_sel:DWORD
	s_mov_b32 s40, -1
	s_and_saveexec_b32 s41, s42
; %bb.1996:                             ;   in Loop: Header=BB6_130 Depth=2
	s_xor_b32 s40, exec_lo, -1
; %bb.1997:                             ;   in Loop: Header=BB6_130 Depth=2
	s_or_b32 exec_lo, exec_lo, s41
	s_and_b32 s40, s40, exec_lo
	s_or_saveexec_b32 s13, s13
	v_mov_b32_e32 v48, 0x7f800001
	s_xor_b32 exec_lo, exec_lo, s13
	s_cbranch_execnz .LBB6_2633
.LBB6_1998:                             ;   in Loop: Header=BB6_130 Depth=2
	s_or_b32 exec_lo, exec_lo, s13
	s_and_saveexec_b32 s13, s40
	s_cbranch_execz .LBB6_2000
.LBB6_1999:                             ;   in Loop: Header=BB6_130 Depth=2
	v_and_b32_e32 v48, 7, v51
	v_bfe_u32 v49, v51, 3, 4
	v_ffbh_u32_e32 v84, v48
	v_cmp_eq_u32_e32 vcc_lo, 0, v49
	v_min_u32_e32 v84, 32, v84
	v_subrev_nc_u32_e32 v85, 28, v84
	v_sub_nc_u32_e32 v84, 29, v84
	v_lshlrev_b32_e32 v85, v85, v51
	v_cndmask_b32_e32 v49, v49, v84, vcc_lo
	v_lshlrev_b32_e32 v84, 24, v51
	v_and_b32_e32 v85, 7, v85
	v_lshl_add_u32 v49, v49, 23, 0x3b800000
	v_and_b32_e32 v84, 0x80000000, v84
	v_cndmask_b32_e32 v48, v48, v85, vcc_lo
	v_lshlrev_b32_e32 v48, 20, v48
	v_or3_b32 v48, v84, v49, v48
.LBB6_2000:                             ;   in Loop: Header=BB6_130 Depth=2
	s_or_b32 exec_lo, exec_lo, s13
	s_waitcnt vmcnt(0)
	v_cmp_gt_i16_sdwa s13, v10, v113 src0_sel:BYTE_0 src1_sel:DWORD
	s_mov_b32 s40, 0
	s_and_saveexec_b32 s41, s13
	s_xor_b32 s13, exec_lo, s41
	s_cbranch_execz .LBB6_2634
; %bb.2001:                             ;   in Loop: Header=BB6_130 Depth=2
	v_cmp_eq_u16_sdwa s42, v10, v114 src0_sel:BYTE_0 src1_sel:DWORD
	s_mov_b32 s40, -1
	s_and_saveexec_b32 s41, s42
; %bb.2002:                             ;   in Loop: Header=BB6_130 Depth=2
	s_xor_b32 s40, exec_lo, -1
; %bb.2003:                             ;   in Loop: Header=BB6_130 Depth=2
	s_or_b32 exec_lo, exec_lo, s41
	s_and_b32 s40, s40, exec_lo
	s_or_saveexec_b32 s13, s13
	v_mov_b32_e32 v49, 0x7f800001
	s_xor_b32 exec_lo, exec_lo, s13
	s_cbranch_execnz .LBB6_2635
.LBB6_2004:                             ;   in Loop: Header=BB6_130 Depth=2
	s_or_b32 exec_lo, exec_lo, s13
	s_and_saveexec_b32 s13, s40
	s_cbranch_execz .LBB6_2006
.LBB6_2005:                             ;   in Loop: Header=BB6_130 Depth=2
	v_and_b32_e32 v49, 7, v10
	v_bfe_u32 v84, v10, 3, 4
	v_ffbh_u32_e32 v85, v49
	v_cmp_eq_u32_e32 vcc_lo, 0, v84
	v_min_u32_e32 v85, 32, v85
	v_subrev_nc_u32_e32 v87, 28, v85
	v_sub_nc_u32_e32 v85, 29, v85
	v_lshlrev_b32_e32 v87, v87, v10
	v_cndmask_b32_e32 v84, v84, v85, vcc_lo
	v_lshlrev_b32_e32 v85, 24, v10
	v_and_b32_e32 v87, 7, v87
	v_lshl_add_u32 v84, v84, 23, 0x3b800000
	v_and_b32_e32 v85, 0x80000000, v85
	v_cndmask_b32_e32 v49, v49, v87, vcc_lo
	v_lshlrev_b32_e32 v49, 20, v49
	v_or3_b32 v49, v85, v84, v49
.LBB6_2006:                             ;   in Loop: Header=BB6_130 Depth=2
	s_or_b32 exec_lo, exec_lo, s13
	v_add_f32_e32 v49, v48, v49
	v_and_b32_e32 v48, 0x7f800000, v49
	v_cmp_ne_u32_e32 vcc_lo, 0x7f800000, v48
	v_mov_b32_e32 v48, 0x80
	s_and_saveexec_b32 s40, vcc_lo
	s_cbranch_execz .LBB6_2014
; %bb.2007:                             ;   in Loop: Header=BB6_130 Depth=2
	v_mov_b32_e32 v48, 0
	s_mov_b32 s41, exec_lo
	v_cmpx_ne_u32_e32 0, v49
	s_cbranch_execz .LBB6_2013
; %bb.2008:                             ;   in Loop: Header=BB6_130 Depth=2
	v_bfe_u32 v84, v49, 23, 8
	v_and_b32_e32 v48, 0x7fffff, v49
	v_cmp_gt_u32_e64 s13, 0x79, v84
	v_sub_nc_u32_e32 v85, 0x78, v84
	v_cmp_eq_u32_e32 vcc_lo, 0, v84
	v_or_b32_e32 v87, 0x800000, v48
	v_cndmask_b32_e64 v85, 0, v85, s13
	v_cndmask_b32_e32 v48, v87, v48, vcc_lo
	v_cndmask_b32_e64 v85, v85, 0x77, vcc_lo
	v_lshl_add_u32 v87, 0x100000, v85, -1
	v_lshlrev_b32_e64 v96, v85, 0x80000
	v_and_b32_e32 v87, v87, v48
	v_cmp_eq_u32_e64 s13, v87, v96
	v_lshrrev_b32_e32 v87, v85, v48
	v_add_nc_u32_e32 v48, 0xffffff89, v84
	v_lshrrev_b32_e32 v84, 23, v87
	v_cndmask_b32_e64 v48, v48, 0xffffff8a, vcc_lo
	v_xor_b32_e32 v84, 1, v84
	v_add_nc_u32_e32 v48, v85, v48
	v_bfe_u32 v85, v87, 20, 1
	v_add_nc_u32_e32 v85, -1, v85
	v_cndmask_b32_e64 v85, 0, v85, s13
	s_mov_b32 s13, exec_lo
	v_add_nc_u32_e32 v85, v85, v87
	v_and_b32_e32 v85, 0xfffff, v85
	v_add_nc_u32_e32 v85, v85, v87
                                        ; implicit-def: $vgpr87
	v_cmpx_ne_u32_e64 v48, v84
	s_xor_b32 s13, exec_lo, s13
; %bb.2009:                             ;   in Loop: Header=BB6_130 Depth=2
	v_cmp_lt_u32_e32 vcc_lo, 0xffffff, v85
	v_sub_nc_u32_e32 v48, v48, v84
	v_cndmask_b32_e64 v84, 0, 1, vcc_lo
	v_add_co_ci_u32_e64 v87, null, 0, v48, vcc_lo
	v_lshrrev_b32_e32 v85, v84, v85
; %bb.2010:                             ;   in Loop: Header=BB6_130 Depth=2
	s_andn2_saveexec_b32 s13, s13
; %bb.2011:                             ;   in Loop: Header=BB6_130 Depth=2
	v_bfe_u32 v87, v85, 23, 1
; %bb.2012:                             ;   in Loop: Header=BB6_130 Depth=2
	s_or_b32 exec_lo, exec_lo, s13
	v_and_b32_sdwa v48, v49, v114 dst_sel:DWORD dst_unused:UNUSED_PAD src0_sel:BYTE_3 src1_sel:DWORD
	v_lshrrev_b32_e32 v49, 20, v85
	v_min_i32_e32 v84, 15, v87
	v_cmp_gt_i32_e32 vcc_lo, 16, v87
	v_lshlrev_b32_e32 v84, 3, v84
	v_cndmask_b32_e32 v49, 7, v49, vcc_lo
	v_and_b32_e32 v84, 0xf8, v84
	v_or_b32_e32 v85, v87, v49
	v_and_b32_e32 v49, 7, v49
	v_cmp_ne_u32_e32 vcc_lo, 0, v85
	v_or3_b32 v48, v84, v48, v49
	v_cndmask_b32_e32 v48, 0, v48, vcc_lo
.LBB6_2013:                             ;   in Loop: Header=BB6_130 Depth=2
	s_or_b32 exec_lo, exec_lo, s41
.LBB6_2014:                             ;   in Loop: Header=BB6_130 Depth=2
	s_or_b32 exec_lo, exec_lo, s40
	v_cmp_gt_i16_sdwa s40, v51, v113 src0_sel:BYTE_1 src1_sel:DWORD
	s_mov_b32 s13, 0
	s_and_saveexec_b32 s41, s40
	s_xor_b32 s40, exec_lo, s41
	s_cbranch_execz .LBB6_2636
; %bb.2015:                             ;   in Loop: Header=BB6_130 Depth=2
	v_cmp_eq_u16_sdwa s42, v51, v114 src0_sel:BYTE_1 src1_sel:DWORD
	s_mov_b32 s13, -1
	s_and_saveexec_b32 s41, s42
; %bb.2016:                             ;   in Loop: Header=BB6_130 Depth=2
	s_xor_b32 s13, exec_lo, -1
; %bb.2017:                             ;   in Loop: Header=BB6_130 Depth=2
	s_or_b32 exec_lo, exec_lo, s41
	s_and_b32 s13, s13, exec_lo
	s_or_saveexec_b32 s40, s40
	v_mov_b32_e32 v49, 0x7f800001
	s_xor_b32 exec_lo, exec_lo, s40
	s_cbranch_execnz .LBB6_2637
.LBB6_2018:                             ;   in Loop: Header=BB6_130 Depth=2
	s_or_b32 exec_lo, exec_lo, s40
	s_and_saveexec_b32 s40, s13
	s_cbranch_execz .LBB6_2020
.LBB6_2019:                             ;   in Loop: Header=BB6_130 Depth=2
	v_and_b32_sdwa v49, v115, v51 dst_sel:DWORD dst_unused:UNUSED_PAD src0_sel:DWORD src1_sel:BYTE_1
	v_and_b32_e32 v84, 7, v49
	v_bfe_u32 v96, v49, 3, 4
	v_ffbh_u32_e32 v85, v84
	v_cmp_eq_u32_e32 vcc_lo, 0, v96
	v_min_u32_e32 v85, 32, v85
	v_subrev_nc_u32_e32 v87, 28, v85
	v_sub_nc_u32_e32 v85, 29, v85
	v_lshlrev_b32_e32 v49, v87, v49
	v_lshlrev_b32_sdwa v87, v116, v51 dst_sel:DWORD dst_unused:UNUSED_PAD src0_sel:DWORD src1_sel:BYTE_1
	v_cndmask_b32_e32 v85, v96, v85, vcc_lo
	v_and_b32_e32 v49, 7, v49
	v_lshl_add_u32 v85, v85, 23, 0x3b800000
	v_cndmask_b32_e32 v49, v84, v49, vcc_lo
	v_and_b32_e32 v84, 0x80000000, v87
	v_lshlrev_b32_e32 v49, 20, v49
	v_or3_b32 v49, v84, v85, v49
.LBB6_2020:                             ;   in Loop: Header=BB6_130 Depth=2
	s_or_b32 exec_lo, exec_lo, s40
	v_cmp_gt_i16_sdwa s40, v10, v113 src0_sel:BYTE_1 src1_sel:DWORD
	s_mov_b32 s13, 0
	s_and_saveexec_b32 s41, s40
	s_xor_b32 s40, exec_lo, s41
	s_cbranch_execz .LBB6_2638
; %bb.2021:                             ;   in Loop: Header=BB6_130 Depth=2
	v_cmp_eq_u16_sdwa s42, v10, v114 src0_sel:BYTE_1 src1_sel:DWORD
	s_mov_b32 s13, -1
	s_and_saveexec_b32 s41, s42
; %bb.2022:                             ;   in Loop: Header=BB6_130 Depth=2
	s_xor_b32 s13, exec_lo, -1
; %bb.2023:                             ;   in Loop: Header=BB6_130 Depth=2
	s_or_b32 exec_lo, exec_lo, s41
	s_and_b32 s13, s13, exec_lo
	s_or_saveexec_b32 s40, s40
	v_mov_b32_e32 v84, 0x7f800001
	s_xor_b32 exec_lo, exec_lo, s40
	s_cbranch_execnz .LBB6_2639
.LBB6_2024:                             ;   in Loop: Header=BB6_130 Depth=2
	s_or_b32 exec_lo, exec_lo, s40
	s_and_saveexec_b32 s40, s13
	s_cbranch_execz .LBB6_2026
.LBB6_2025:                             ;   in Loop: Header=BB6_130 Depth=2
	v_and_b32_sdwa v84, v115, v10 dst_sel:DWORD dst_unused:UNUSED_PAD src0_sel:DWORD src1_sel:BYTE_1
	v_and_b32_e32 v85, 7, v84
	v_bfe_u32 v98, v84, 3, 4
	v_ffbh_u32_e32 v87, v85
	v_cmp_eq_u32_e32 vcc_lo, 0, v98
	v_min_u32_e32 v87, 32, v87
	v_subrev_nc_u32_e32 v96, 28, v87
	v_sub_nc_u32_e32 v87, 29, v87
	v_lshlrev_b32_e32 v84, v96, v84
	v_lshlrev_b32_sdwa v96, v116, v10 dst_sel:DWORD dst_unused:UNUSED_PAD src0_sel:DWORD src1_sel:BYTE_1
	v_cndmask_b32_e32 v87, v98, v87, vcc_lo
	v_and_b32_e32 v84, 7, v84
	v_lshl_add_u32 v87, v87, 23, 0x3b800000
	v_cndmask_b32_e32 v84, v85, v84, vcc_lo
	v_and_b32_e32 v85, 0x80000000, v96
	v_lshlrev_b32_e32 v84, 20, v84
	v_or3_b32 v84, v85, v87, v84
.LBB6_2026:                             ;   in Loop: Header=BB6_130 Depth=2
	s_or_b32 exec_lo, exec_lo, s40
	v_add_f32_e32 v84, v49, v84
	v_and_b32_e32 v49, 0x7f800000, v84
	v_cmp_ne_u32_e32 vcc_lo, 0x7f800000, v49
	v_mov_b32_e32 v49, 0x8000
	s_and_saveexec_b32 s40, vcc_lo
	s_cbranch_execz .LBB6_2034
; %bb.2027:                             ;   in Loop: Header=BB6_130 Depth=2
	v_mov_b32_e32 v49, 0
	s_mov_b32 s41, exec_lo
	v_cmpx_ne_u32_e32 0, v84
	s_cbranch_execz .LBB6_2033
; %bb.2028:                             ;   in Loop: Header=BB6_130 Depth=2
	v_bfe_u32 v85, v84, 23, 8
	v_and_b32_e32 v49, 0x7fffff, v84
	v_cmp_gt_u32_e64 s13, 0x79, v85
	v_sub_nc_u32_e32 v87, 0x78, v85
	v_cmp_eq_u32_e32 vcc_lo, 0, v85
	v_or_b32_e32 v96, 0x800000, v49
	v_cndmask_b32_e64 v87, 0, v87, s13
	v_cndmask_b32_e32 v49, v96, v49, vcc_lo
	v_cndmask_b32_e64 v87, v87, 0x77, vcc_lo
	v_lshl_add_u32 v96, 0x100000, v87, -1
	v_lshlrev_b32_e64 v98, v87, 0x80000
	v_and_b32_e32 v96, v96, v49
	v_cmp_eq_u32_e64 s13, v96, v98
	v_lshrrev_b32_e32 v96, v87, v49
	v_add_nc_u32_e32 v49, 0xffffff89, v85
	v_lshrrev_b32_e32 v85, 23, v96
	v_cndmask_b32_e64 v49, v49, 0xffffff8a, vcc_lo
	v_xor_b32_e32 v85, 1, v85
	v_add_nc_u32_e32 v49, v87, v49
	v_bfe_u32 v87, v96, 20, 1
	v_add_nc_u32_e32 v87, -1, v87
	v_cndmask_b32_e64 v87, 0, v87, s13
	s_mov_b32 s13, exec_lo
	v_add_nc_u32_e32 v87, v87, v96
	v_and_b32_e32 v87, 0xfffff, v87
	v_add_nc_u32_e32 v87, v87, v96
                                        ; implicit-def: $vgpr96
	v_cmpx_ne_u32_e64 v49, v85
	s_xor_b32 s13, exec_lo, s13
; %bb.2029:                             ;   in Loop: Header=BB6_130 Depth=2
	v_cmp_lt_u32_e32 vcc_lo, 0xffffff, v87
	v_sub_nc_u32_e32 v49, v49, v85
	v_cndmask_b32_e64 v85, 0, 1, vcc_lo
	v_add_co_ci_u32_e64 v96, null, 0, v49, vcc_lo
	v_lshrrev_b32_e32 v87, v85, v87
; %bb.2030:                             ;   in Loop: Header=BB6_130 Depth=2
	s_andn2_saveexec_b32 s13, s13
; %bb.2031:                             ;   in Loop: Header=BB6_130 Depth=2
	v_bfe_u32 v96, v87, 23, 1
; %bb.2032:                             ;   in Loop: Header=BB6_130 Depth=2
	s_or_b32 exec_lo, exec_lo, s13
	v_and_b32_sdwa v49, v84, v114 dst_sel:DWORD dst_unused:UNUSED_PAD src0_sel:BYTE_3 src1_sel:DWORD
	v_lshrrev_b32_e32 v84, 20, v87
	v_min_i32_e32 v85, 15, v96
	v_cmp_gt_i32_e32 vcc_lo, 16, v96
	v_lshlrev_b32_e32 v85, 3, v85
	v_cndmask_b32_e32 v84, 7, v84, vcc_lo
	v_and_b32_e32 v85, 0xf8, v85
	v_or_b32_e32 v87, v96, v84
	v_and_b32_e32 v84, 7, v84
	v_cmp_ne_u32_e32 vcc_lo, 0, v87
	v_or3_b32 v49, v49, v85, v84
	v_lshlrev_b32_e32 v49, 8, v49
	v_cndmask_b32_e32 v49, 0, v49, vcc_lo
.LBB6_2033:                             ;   in Loop: Header=BB6_130 Depth=2
	s_or_b32 exec_lo, exec_lo, s41
.LBB6_2034:                             ;   in Loop: Header=BB6_130 Depth=2
	s_or_b32 exec_lo, exec_lo, s40
	v_or_b32_e32 v84, v73, v72
	s_mov_b32 s40, 0
	v_cmp_gt_i16_sdwa s13, v84, v113 src0_sel:BYTE_0 src1_sel:DWORD
	s_and_saveexec_b32 s41, s13
	s_xor_b32 s13, exec_lo, s41
	s_cbranch_execz .LBB6_2640
; %bb.2035:                             ;   in Loop: Header=BB6_130 Depth=2
	v_cmp_eq_u16_sdwa s42, v84, v114 src0_sel:BYTE_0 src1_sel:DWORD
	s_mov_b32 s40, -1
	s_and_saveexec_b32 s41, s42
; %bb.2036:                             ;   in Loop: Header=BB6_130 Depth=2
	s_xor_b32 s40, exec_lo, -1
; %bb.2037:                             ;   in Loop: Header=BB6_130 Depth=2
	s_or_b32 exec_lo, exec_lo, s41
	s_and_b32 s40, s40, exec_lo
	s_or_saveexec_b32 s13, s13
	v_mov_b32_e32 v85, 0x7f800001
	s_xor_b32 exec_lo, exec_lo, s13
	s_cbranch_execnz .LBB6_2641
.LBB6_2038:                             ;   in Loop: Header=BB6_130 Depth=2
	s_or_b32 exec_lo, exec_lo, s13
	v_lshl_or_b32 v84, v84, 16, v51
	s_and_saveexec_b32 s13, s40
	s_cbranch_execz .LBB6_2040
.LBB6_2039:                             ;   in Loop: Header=BB6_130 Depth=2
	v_bfe_u32 v51, v84, 16, 3
	v_bfe_u32 v85, v84, 19, 4
	v_ffbh_u32_e32 v87, v51
	v_cmp_eq_u32_e32 vcc_lo, 0, v85
	v_min_u32_e32 v87, 32, v87
	v_subrev_nc_u32_e32 v96, 28, v87
	v_sub_nc_u32_e32 v87, 29, v87
	v_lshlrev_b32_sdwa v96, v96, v84 dst_sel:DWORD dst_unused:UNUSED_PAD src0_sel:DWORD src1_sel:WORD_1
	v_cndmask_b32_e32 v85, v85, v87, vcc_lo
	v_lshlrev_b32_e32 v87, 8, v84
	v_and_b32_e32 v96, 7, v96
	v_lshl_add_u32 v85, v85, 23, 0x3b800000
	v_and_b32_e32 v87, 0x80000000, v87
	v_cndmask_b32_e32 v51, v51, v96, vcc_lo
	v_lshlrev_b32_e32 v51, 20, v51
	v_or3_b32 v85, v87, v85, v51
.LBB6_2040:                             ;   in Loop: Header=BB6_130 Depth=2
	s_or_b32 exec_lo, exec_lo, s13
	v_and_b32_sdwa v87, v10, v117 dst_sel:DWORD dst_unused:UNUSED_PAD src0_sel:WORD_1 src1_sel:DWORD
	s_mov_b32 s40, 0
	s_mov_b32 s13, exec_lo
	v_cmpx_lt_i16_e32 0x7f, v87
	s_xor_b32 s13, exec_lo, s13
	s_cbranch_execz .LBB6_2642
; %bb.2041:                             ;   in Loop: Header=BB6_130 Depth=2
	s_mov_b32 s40, -1
	s_mov_b32 s41, exec_lo
	v_cmpx_eq_u16_e32 0x80, v87
; %bb.2042:                             ;   in Loop: Header=BB6_130 Depth=2
	s_xor_b32 s40, exec_lo, -1
; %bb.2043:                             ;   in Loop: Header=BB6_130 Depth=2
	s_or_b32 exec_lo, exec_lo, s41
	s_and_b32 s40, s40, exec_lo
                                        ; implicit-def: $vgpr87
	s_or_saveexec_b32 s13, s13
	v_mov_b32_e32 v51, 0x7f800001
	s_xor_b32 exec_lo, exec_lo, s13
	s_cbranch_execnz .LBB6_2643
.LBB6_2044:                             ;   in Loop: Header=BB6_130 Depth=2
	s_or_b32 exec_lo, exec_lo, s13
	s_and_saveexec_b32 s13, s40
	s_cbranch_execz .LBB6_2046
.LBB6_2045:                             ;   in Loop: Header=BB6_130 Depth=2
	v_bfe_u32 v51, v10, 16, 3
	v_bfe_u32 v87, v10, 19, 4
	v_ffbh_u32_e32 v96, v51
	v_cmp_eq_u32_e32 vcc_lo, 0, v87
	v_min_u32_e32 v96, 32, v96
	v_subrev_nc_u32_e32 v98, 28, v96
	v_sub_nc_u32_e32 v96, 29, v96
	v_lshlrev_b32_sdwa v98, v98, v10 dst_sel:DWORD dst_unused:UNUSED_PAD src0_sel:DWORD src1_sel:WORD_1
	v_cndmask_b32_e32 v87, v87, v96, vcc_lo
	v_lshlrev_b32_e32 v96, 8, v10
	v_and_b32_e32 v98, 7, v98
	v_lshl_add_u32 v87, v87, 23, 0x3b800000
	v_and_b32_e32 v96, 0x80000000, v96
	v_cndmask_b32_e32 v51, v51, v98, vcc_lo
	v_lshlrev_b32_e32 v51, 20, v51
	v_or3_b32 v51, v96, v87, v51
.LBB6_2046:                             ;   in Loop: Header=BB6_130 Depth=2
	s_or_b32 exec_lo, exec_lo, s13
	v_add_f32_e32 v85, v85, v51
	v_and_b32_e32 v51, 0x7f800000, v85
	v_cmp_ne_u32_e32 vcc_lo, 0x7f800000, v51
	v_mov_b32_e32 v51, 0x80
	s_and_saveexec_b32 s40, vcc_lo
	s_cbranch_execz .LBB6_2054
; %bb.2047:                             ;   in Loop: Header=BB6_130 Depth=2
	v_mov_b32_e32 v51, 0
	s_mov_b32 s41, exec_lo
	v_cmpx_ne_u32_e32 0, v85
	s_cbranch_execz .LBB6_2053
; %bb.2048:                             ;   in Loop: Header=BB6_130 Depth=2
	v_bfe_u32 v87, v85, 23, 8
	v_and_b32_e32 v51, 0x7fffff, v85
	v_cmp_gt_u32_e64 s13, 0x79, v87
	v_sub_nc_u32_e32 v96, 0x78, v87
	v_cmp_eq_u32_e32 vcc_lo, 0, v87
	v_or_b32_e32 v98, 0x800000, v51
	v_cndmask_b32_e64 v96, 0, v96, s13
	v_cndmask_b32_e32 v51, v98, v51, vcc_lo
	v_cndmask_b32_e64 v96, v96, 0x77, vcc_lo
	v_lshl_add_u32 v98, 0x100000, v96, -1
	v_lshlrev_b32_e64 v103, v96, 0x80000
	v_and_b32_e32 v98, v98, v51
	v_cmp_eq_u32_e64 s13, v98, v103
	v_lshrrev_b32_e32 v98, v96, v51
	v_add_nc_u32_e32 v51, 0xffffff89, v87
	v_lshrrev_b32_e32 v87, 23, v98
	v_cndmask_b32_e64 v51, v51, 0xffffff8a, vcc_lo
	v_xor_b32_e32 v87, 1, v87
	v_add_nc_u32_e32 v51, v96, v51
	v_bfe_u32 v96, v98, 20, 1
	v_add_nc_u32_e32 v96, -1, v96
	v_cndmask_b32_e64 v96, 0, v96, s13
	s_mov_b32 s13, exec_lo
	v_add_nc_u32_e32 v96, v96, v98
	v_and_b32_e32 v96, 0xfffff, v96
	v_add_nc_u32_e32 v96, v96, v98
                                        ; implicit-def: $vgpr98
	v_cmpx_ne_u32_e64 v51, v87
	s_xor_b32 s13, exec_lo, s13
; %bb.2049:                             ;   in Loop: Header=BB6_130 Depth=2
	v_cmp_lt_u32_e32 vcc_lo, 0xffffff, v96
	v_sub_nc_u32_e32 v51, v51, v87
	v_cndmask_b32_e64 v87, 0, 1, vcc_lo
	v_add_co_ci_u32_e64 v98, null, 0, v51, vcc_lo
	v_lshrrev_b32_e32 v96, v87, v96
; %bb.2050:                             ;   in Loop: Header=BB6_130 Depth=2
	s_andn2_saveexec_b32 s13, s13
; %bb.2051:                             ;   in Loop: Header=BB6_130 Depth=2
	v_bfe_u32 v98, v96, 23, 1
; %bb.2052:                             ;   in Loop: Header=BB6_130 Depth=2
	s_or_b32 exec_lo, exec_lo, s13
	v_and_b32_sdwa v51, v85, v114 dst_sel:DWORD dst_unused:UNUSED_PAD src0_sel:BYTE_3 src1_sel:DWORD
	v_lshrrev_b32_e32 v85, 20, v96
	v_min_i32_e32 v87, 15, v98
	v_cmp_gt_i32_e32 vcc_lo, 16, v98
	v_lshlrev_b32_e32 v87, 3, v87
	v_cndmask_b32_e32 v85, 7, v85, vcc_lo
	v_and_b32_e32 v87, 0xf8, v87
	v_or_b32_e32 v96, v98, v85
	v_and_b32_e32 v85, 7, v85
	v_cmp_ne_u32_e32 vcc_lo, 0, v96
	v_or3_b32 v51, v87, v51, v85
	v_cndmask_b32_e32 v51, 0, v51, vcc_lo
.LBB6_2053:                             ;   in Loop: Header=BB6_130 Depth=2
	s_or_b32 exec_lo, exec_lo, s41
.LBB6_2054:                             ;   in Loop: Header=BB6_130 Depth=2
	s_or_b32 exec_lo, exec_lo, s40
	v_cmp_gt_i16_sdwa s40, v84, v113 src0_sel:BYTE_3 src1_sel:DWORD
	s_mov_b32 s13, 0
	s_and_saveexec_b32 s41, s40
	s_xor_b32 s40, exec_lo, s41
	s_cbranch_execz .LBB6_2644
; %bb.2055:                             ;   in Loop: Header=BB6_130 Depth=2
	v_cmp_eq_u16_sdwa s42, v84, v114 src0_sel:BYTE_3 src1_sel:DWORD
	s_mov_b32 s13, -1
	s_and_saveexec_b32 s41, s42
; %bb.2056:                             ;   in Loop: Header=BB6_130 Depth=2
	s_xor_b32 s13, exec_lo, -1
; %bb.2057:                             ;   in Loop: Header=BB6_130 Depth=2
	s_or_b32 exec_lo, exec_lo, s41
	s_and_b32 s13, s13, exec_lo
	s_or_saveexec_b32 s40, s40
	v_mov_b32_e32 v85, 0x7f800001
	s_xor_b32 exec_lo, exec_lo, s40
	s_cbranch_execnz .LBB6_2645
.LBB6_2058:                             ;   in Loop: Header=BB6_130 Depth=2
	s_or_b32 exec_lo, exec_lo, s40
	s_and_saveexec_b32 s40, s13
	s_cbranch_execz .LBB6_2060
.LBB6_2059:                             ;   in Loop: Header=BB6_130 Depth=2
	v_bfe_u32 v85, v84, 24, 3
	v_bfe_u32 v98, v84, 27, 4
	v_ffbh_u32_e32 v87, v85
	v_cmp_eq_u32_e32 vcc_lo, 0, v98
	v_min_u32_e32 v87, 32, v87
	v_subrev_nc_u32_e32 v96, 28, v87
	v_sub_nc_u32_e32 v87, 29, v87
	v_lshlrev_b32_sdwa v96, v96, v84 dst_sel:DWORD dst_unused:UNUSED_PAD src0_sel:DWORD src1_sel:BYTE_3
	v_cndmask_b32_e32 v87, v98, v87, vcc_lo
	v_and_b32_e32 v84, 0x80000000, v84
	v_and_b32_e32 v96, 7, v96
	v_lshl_add_u32 v87, v87, 23, 0x3b800000
	v_cndmask_b32_e32 v85, v85, v96, vcc_lo
	v_lshlrev_b32_e32 v85, 20, v85
	v_or3_b32 v85, v84, v87, v85
.LBB6_2060:                             ;   in Loop: Header=BB6_130 Depth=2
	s_or_b32 exec_lo, exec_lo, s40
	v_cmp_gt_i16_sdwa s40, v10, v113 src0_sel:BYTE_3 src1_sel:DWORD
	s_mov_b32 s13, 0
	s_and_saveexec_b32 s41, s40
	s_xor_b32 s40, exec_lo, s41
	s_cbranch_execz .LBB6_2646
; %bb.2061:                             ;   in Loop: Header=BB6_130 Depth=2
	v_cmp_eq_u16_sdwa s42, v10, v114 src0_sel:BYTE_3 src1_sel:DWORD
	s_mov_b32 s13, -1
	s_and_saveexec_b32 s41, s42
; %bb.2062:                             ;   in Loop: Header=BB6_130 Depth=2
	s_xor_b32 s13, exec_lo, -1
; %bb.2063:                             ;   in Loop: Header=BB6_130 Depth=2
	s_or_b32 exec_lo, exec_lo, s41
	s_and_b32 s13, s13, exec_lo
	s_or_saveexec_b32 s40, s40
	v_mov_b32_e32 v84, 0x7f800001
	s_xor_b32 exec_lo, exec_lo, s40
	s_cbranch_execnz .LBB6_2647
.LBB6_2064:                             ;   in Loop: Header=BB6_130 Depth=2
	s_or_b32 exec_lo, exec_lo, s40
	s_and_saveexec_b32 s40, s13
	s_cbranch_execz .LBB6_2066
.LBB6_2065:                             ;   in Loop: Header=BB6_130 Depth=2
	v_bfe_u32 v84, v10, 24, 3
	v_bfe_u32 v98, v10, 27, 4
	v_ffbh_u32_e32 v87, v84
	v_cmp_eq_u32_e32 vcc_lo, 0, v98
	v_min_u32_e32 v87, 32, v87
	v_subrev_nc_u32_e32 v96, 28, v87
	v_sub_nc_u32_e32 v87, 29, v87
	v_lshlrev_b32_sdwa v96, v96, v10 dst_sel:DWORD dst_unused:UNUSED_PAD src0_sel:DWORD src1_sel:BYTE_3
	v_cndmask_b32_e32 v87, v98, v87, vcc_lo
	v_and_b32_e32 v10, 0x80000000, v10
	v_and_b32_e32 v96, 7, v96
	v_lshl_add_u32 v87, v87, 23, 0x3b800000
	v_cndmask_b32_e32 v84, v84, v96, vcc_lo
	v_lshlrev_b32_e32 v84, 20, v84
	v_or3_b32 v84, v10, v87, v84
.LBB6_2066:                             ;   in Loop: Header=BB6_130 Depth=2
	s_or_b32 exec_lo, exec_lo, s40
	v_add_f32_e32 v84, v85, v84
	v_and_b32_e32 v10, 0x7f800000, v84
	v_cmp_ne_u32_e32 vcc_lo, 0x7f800000, v10
	v_mov_b32_e32 v10, 0x8000
	s_and_saveexec_b32 s40, vcc_lo
	s_cbranch_execz .LBB6_2074
; %bb.2067:                             ;   in Loop: Header=BB6_130 Depth=2
	v_mov_b32_e32 v10, 0
	s_mov_b32 s41, exec_lo
	v_cmpx_ne_u32_e32 0, v84
	s_cbranch_execz .LBB6_2073
; %bb.2068:                             ;   in Loop: Header=BB6_130 Depth=2
	v_bfe_u32 v85, v84, 23, 8
	v_and_b32_e32 v10, 0x7fffff, v84
	v_cmp_gt_u32_e64 s13, 0x79, v85
	v_sub_nc_u32_e32 v87, 0x78, v85
	v_cmp_eq_u32_e32 vcc_lo, 0, v85
	v_or_b32_e32 v96, 0x800000, v10
	v_cndmask_b32_e64 v87, 0, v87, s13
	v_cndmask_b32_e32 v10, v96, v10, vcc_lo
	v_cndmask_b32_e64 v87, v87, 0x77, vcc_lo
	v_lshl_add_u32 v96, 0x100000, v87, -1
	v_lshlrev_b32_e64 v98, v87, 0x80000
	v_and_b32_e32 v96, v96, v10
	v_cmp_eq_u32_e64 s13, v96, v98
	v_lshrrev_b32_e32 v96, v87, v10
	v_add_nc_u32_e32 v10, 0xffffff89, v85
	v_lshrrev_b32_e32 v85, 23, v96
	v_cndmask_b32_e64 v10, v10, 0xffffff8a, vcc_lo
	v_xor_b32_e32 v85, 1, v85
	v_add_nc_u32_e32 v10, v87, v10
	v_bfe_u32 v87, v96, 20, 1
	v_add_nc_u32_e32 v87, -1, v87
	v_cndmask_b32_e64 v87, 0, v87, s13
	s_mov_b32 s13, exec_lo
	v_add_nc_u32_e32 v87, v87, v96
	v_and_b32_e32 v87, 0xfffff, v87
	v_add_nc_u32_e32 v87, v87, v96
                                        ; implicit-def: $vgpr96
	v_cmpx_ne_u32_e64 v10, v85
	s_xor_b32 s13, exec_lo, s13
; %bb.2069:                             ;   in Loop: Header=BB6_130 Depth=2
	v_cmp_lt_u32_e32 vcc_lo, 0xffffff, v87
	v_sub_nc_u32_e32 v10, v10, v85
	v_cndmask_b32_e64 v85, 0, 1, vcc_lo
	v_add_co_ci_u32_e64 v96, null, 0, v10, vcc_lo
	v_lshrrev_b32_e32 v87, v85, v87
; %bb.2070:                             ;   in Loop: Header=BB6_130 Depth=2
	s_andn2_saveexec_b32 s13, s13
; %bb.2071:                             ;   in Loop: Header=BB6_130 Depth=2
	v_bfe_u32 v96, v87, 23, 1
; %bb.2072:                             ;   in Loop: Header=BB6_130 Depth=2
	s_or_b32 exec_lo, exec_lo, s13
	v_and_b32_sdwa v10, v84, v114 dst_sel:DWORD dst_unused:UNUSED_PAD src0_sel:BYTE_3 src1_sel:DWORD
	v_lshrrev_b32_e32 v84, 20, v87
	v_min_i32_e32 v85, 15, v96
	v_cmp_gt_i32_e32 vcc_lo, 16, v96
	v_lshlrev_b32_e32 v85, 3, v85
	v_cndmask_b32_e32 v84, 7, v84, vcc_lo
	v_and_b32_e32 v85, 0xf8, v85
	v_or_b32_e32 v87, v96, v84
	v_and_b32_e32 v84, 7, v84
	v_cmp_ne_u32_e32 vcc_lo, 0, v87
	v_or3_b32 v10, v10, v85, v84
	v_lshlrev_b32_e32 v10, 8, v10
	v_cndmask_b32_e32 v10, 0, v10, vcc_lo
.LBB6_2073:                             ;   in Loop: Header=BB6_130 Depth=2
	s_or_b32 exec_lo, exec_lo, s41
.LBB6_2074:                             ;   in Loop: Header=BB6_130 Depth=2
	s_or_b32 exec_lo, exec_lo, s40
	v_or_b32_e32 v87, v62, v61
	s_mov_b32 s40, 0
	v_cmp_gt_i16_sdwa s13, v87, v113 src0_sel:BYTE_0 src1_sel:DWORD
	s_and_saveexec_b32 s41, s13
	s_xor_b32 s13, exec_lo, s41
	s_cbranch_execz .LBB6_2648
; %bb.2075:                             ;   in Loop: Header=BB6_130 Depth=2
	v_cmp_eq_u16_sdwa s42, v87, v114 src0_sel:BYTE_0 src1_sel:DWORD
	s_mov_b32 s40, -1
	s_and_saveexec_b32 s41, s42
; %bb.2076:                             ;   in Loop: Header=BB6_130 Depth=2
	s_xor_b32 s40, exec_lo, -1
; %bb.2077:                             ;   in Loop: Header=BB6_130 Depth=2
	s_or_b32 exec_lo, exec_lo, s41
	s_and_b32 s40, s40, exec_lo
	s_or_saveexec_b32 s13, s13
	v_mov_b32_e32 v84, 0x7f800001
	s_xor_b32 exec_lo, exec_lo, s13
	s_cbranch_execnz .LBB6_2649
.LBB6_2078:                             ;   in Loop: Header=BB6_130 Depth=2
	s_or_b32 exec_lo, exec_lo, s13
	s_and_saveexec_b32 s13, s40
	s_cbranch_execz .LBB6_2080
.LBB6_2079:                             ;   in Loop: Header=BB6_130 Depth=2
	v_and_b32_e32 v84, 7, v87
	v_bfe_u32 v85, v87, 3, 4
	v_ffbh_u32_e32 v96, v84
	v_cmp_eq_u32_e32 vcc_lo, 0, v85
	v_min_u32_e32 v96, 32, v96
	v_subrev_nc_u32_e32 v98, 28, v96
	v_sub_nc_u32_e32 v96, 29, v96
	v_lshlrev_b32_e32 v98, v98, v87
	v_cndmask_b32_e32 v85, v85, v96, vcc_lo
	v_lshlrev_b32_e32 v96, 24, v87
	v_and_b32_e32 v98, 7, v98
	v_lshl_add_u32 v85, v85, 23, 0x3b800000
	v_and_b32_e32 v96, 0x80000000, v96
	v_cndmask_b32_e32 v84, v84, v98, vcc_lo
	v_lshlrev_b32_e32 v84, 20, v84
	v_or3_b32 v84, v96, v85, v84
.LBB6_2080:                             ;   in Loop: Header=BB6_130 Depth=2
	s_or_b32 exec_lo, exec_lo, s13
	v_cmp_gt_i16_sdwa s13, v11, v113 src0_sel:BYTE_0 src1_sel:DWORD
	s_mov_b32 s40, 0
	s_and_saveexec_b32 s41, s13
	s_xor_b32 s13, exec_lo, s41
	s_cbranch_execz .LBB6_2650
; %bb.2081:                             ;   in Loop: Header=BB6_130 Depth=2
	v_cmp_eq_u16_sdwa s42, v11, v114 src0_sel:BYTE_0 src1_sel:DWORD
	s_mov_b32 s40, -1
	s_and_saveexec_b32 s41, s42
; %bb.2082:                             ;   in Loop: Header=BB6_130 Depth=2
	s_xor_b32 s40, exec_lo, -1
; %bb.2083:                             ;   in Loop: Header=BB6_130 Depth=2
	s_or_b32 exec_lo, exec_lo, s41
	s_and_b32 s40, s40, exec_lo
	s_or_saveexec_b32 s13, s13
	v_mov_b32_e32 v85, 0x7f800001
	s_xor_b32 exec_lo, exec_lo, s13
	s_cbranch_execnz .LBB6_2651
.LBB6_2084:                             ;   in Loop: Header=BB6_130 Depth=2
	s_or_b32 exec_lo, exec_lo, s13
	s_and_saveexec_b32 s13, s40
	s_cbranch_execz .LBB6_2086
.LBB6_2085:                             ;   in Loop: Header=BB6_130 Depth=2
	v_and_b32_e32 v85, 7, v11
	v_bfe_u32 v96, v11, 3, 4
	v_ffbh_u32_e32 v98, v85
	v_cmp_eq_u32_e32 vcc_lo, 0, v96
	v_min_u32_e32 v98, 32, v98
	v_subrev_nc_u32_e32 v103, 28, v98
	v_sub_nc_u32_e32 v98, 29, v98
	v_lshlrev_b32_e32 v103, v103, v11
	v_cndmask_b32_e32 v96, v96, v98, vcc_lo
	v_lshlrev_b32_e32 v98, 24, v11
	v_and_b32_e32 v103, 7, v103
	v_lshl_add_u32 v96, v96, 23, 0x3b800000
	v_and_b32_e32 v98, 0x80000000, v98
	v_cndmask_b32_e32 v85, v85, v103, vcc_lo
	v_lshlrev_b32_e32 v85, 20, v85
	v_or3_b32 v85, v98, v96, v85
.LBB6_2086:                             ;   in Loop: Header=BB6_130 Depth=2
	s_or_b32 exec_lo, exec_lo, s13
	v_add_f32_e32 v85, v84, v85
	v_and_b32_e32 v84, 0x7f800000, v85
	v_cmp_ne_u32_e32 vcc_lo, 0x7f800000, v84
	v_mov_b32_e32 v84, 0x80
	s_and_saveexec_b32 s40, vcc_lo
	s_cbranch_execz .LBB6_2094
; %bb.2087:                             ;   in Loop: Header=BB6_130 Depth=2
	v_mov_b32_e32 v84, 0
	s_mov_b32 s41, exec_lo
	v_cmpx_ne_u32_e32 0, v85
	s_cbranch_execz .LBB6_2093
; %bb.2088:                             ;   in Loop: Header=BB6_130 Depth=2
	v_bfe_u32 v96, v85, 23, 8
	v_and_b32_e32 v84, 0x7fffff, v85
	v_cmp_gt_u32_e64 s13, 0x79, v96
	v_sub_nc_u32_e32 v98, 0x78, v96
	v_cmp_eq_u32_e32 vcc_lo, 0, v96
	v_or_b32_e32 v103, 0x800000, v84
	v_cndmask_b32_e64 v98, 0, v98, s13
	v_cndmask_b32_e32 v84, v103, v84, vcc_lo
	v_cndmask_b32_e64 v98, v98, 0x77, vcc_lo
	v_lshl_add_u32 v103, 0x100000, v98, -1
	v_lshlrev_b32_e64 v112, v98, 0x80000
	v_and_b32_e32 v103, v103, v84
	v_cmp_eq_u32_e64 s13, v103, v112
	v_lshrrev_b32_e32 v103, v98, v84
	v_add_nc_u32_e32 v84, 0xffffff89, v96
	v_lshrrev_b32_e32 v96, 23, v103
	v_cndmask_b32_e64 v84, v84, 0xffffff8a, vcc_lo
	v_xor_b32_e32 v96, 1, v96
	v_add_nc_u32_e32 v84, v98, v84
	v_bfe_u32 v98, v103, 20, 1
	v_add_nc_u32_e32 v98, -1, v98
	v_cndmask_b32_e64 v98, 0, v98, s13
	s_mov_b32 s13, exec_lo
	v_add_nc_u32_e32 v98, v98, v103
	v_and_b32_e32 v98, 0xfffff, v98
	v_add_nc_u32_e32 v98, v98, v103
                                        ; implicit-def: $vgpr103
	v_cmpx_ne_u32_e64 v84, v96
	s_xor_b32 s13, exec_lo, s13
; %bb.2089:                             ;   in Loop: Header=BB6_130 Depth=2
	v_cmp_lt_u32_e32 vcc_lo, 0xffffff, v98
	v_sub_nc_u32_e32 v84, v84, v96
	v_cndmask_b32_e64 v96, 0, 1, vcc_lo
	v_add_co_ci_u32_e64 v103, null, 0, v84, vcc_lo
	v_lshrrev_b32_e32 v98, v96, v98
; %bb.2090:                             ;   in Loop: Header=BB6_130 Depth=2
	s_andn2_saveexec_b32 s13, s13
; %bb.2091:                             ;   in Loop: Header=BB6_130 Depth=2
	v_bfe_u32 v103, v98, 23, 1
; %bb.2092:                             ;   in Loop: Header=BB6_130 Depth=2
	s_or_b32 exec_lo, exec_lo, s13
	v_and_b32_sdwa v84, v85, v114 dst_sel:DWORD dst_unused:UNUSED_PAD src0_sel:BYTE_3 src1_sel:DWORD
	v_lshrrev_b32_e32 v85, 20, v98
	v_min_i32_e32 v96, 15, v103
	v_cmp_gt_i32_e32 vcc_lo, 16, v103
	v_lshlrev_b32_e32 v96, 3, v96
	v_cndmask_b32_e32 v85, 7, v85, vcc_lo
	v_and_b32_e32 v96, 0xf8, v96
	v_or_b32_e32 v98, v103, v85
	v_and_b32_e32 v85, 7, v85
	v_cmp_ne_u32_e32 vcc_lo, 0, v98
	v_or3_b32 v84, v96, v84, v85
	v_cndmask_b32_e32 v84, 0, v84, vcc_lo
.LBB6_2093:                             ;   in Loop: Header=BB6_130 Depth=2
	s_or_b32 exec_lo, exec_lo, s41
.LBB6_2094:                             ;   in Loop: Header=BB6_130 Depth=2
	s_or_b32 exec_lo, exec_lo, s40
	v_cmp_gt_i16_sdwa s40, v87, v113 src0_sel:BYTE_1 src1_sel:DWORD
	s_mov_b32 s13, 0
	s_and_saveexec_b32 s41, s40
	s_xor_b32 s40, exec_lo, s41
	s_cbranch_execz .LBB6_2652
; %bb.2095:                             ;   in Loop: Header=BB6_130 Depth=2
	v_cmp_eq_u16_sdwa s42, v87, v114 src0_sel:BYTE_1 src1_sel:DWORD
	s_mov_b32 s13, -1
	s_and_saveexec_b32 s41, s42
; %bb.2096:                             ;   in Loop: Header=BB6_130 Depth=2
	s_xor_b32 s13, exec_lo, -1
; %bb.2097:                             ;   in Loop: Header=BB6_130 Depth=2
	s_or_b32 exec_lo, exec_lo, s41
	s_and_b32 s13, s13, exec_lo
	s_or_saveexec_b32 s40, s40
	v_mov_b32_e32 v85, 0x7f800001
	s_xor_b32 exec_lo, exec_lo, s40
	s_cbranch_execnz .LBB6_2653
.LBB6_2098:                             ;   in Loop: Header=BB6_130 Depth=2
	s_or_b32 exec_lo, exec_lo, s40
	s_and_saveexec_b32 s40, s13
	s_cbranch_execz .LBB6_2100
.LBB6_2099:                             ;   in Loop: Header=BB6_130 Depth=2
	v_and_b32_sdwa v85, v115, v87 dst_sel:DWORD dst_unused:UNUSED_PAD src0_sel:DWORD src1_sel:BYTE_1
	v_and_b32_e32 v96, 7, v85
	v_bfe_u32 v112, v85, 3, 4
	v_ffbh_u32_e32 v98, v96
	v_cmp_eq_u32_e32 vcc_lo, 0, v112
	v_min_u32_e32 v98, 32, v98
	v_subrev_nc_u32_e32 v103, 28, v98
	v_sub_nc_u32_e32 v98, 29, v98
	v_lshlrev_b32_e32 v85, v103, v85
	v_lshlrev_b32_sdwa v103, v116, v87 dst_sel:DWORD dst_unused:UNUSED_PAD src0_sel:DWORD src1_sel:BYTE_1
	v_cndmask_b32_e32 v98, v112, v98, vcc_lo
	v_and_b32_e32 v85, 7, v85
	v_lshl_add_u32 v98, v98, 23, 0x3b800000
	v_cndmask_b32_e32 v85, v96, v85, vcc_lo
	v_and_b32_e32 v96, 0x80000000, v103
	v_lshlrev_b32_e32 v85, 20, v85
	v_or3_b32 v85, v96, v98, v85
.LBB6_2100:                             ;   in Loop: Header=BB6_130 Depth=2
	s_or_b32 exec_lo, exec_lo, s40
	v_cmp_gt_i16_sdwa s40, v11, v113 src0_sel:BYTE_1 src1_sel:DWORD
	s_mov_b32 s13, 0
	s_and_saveexec_b32 s41, s40
	s_xor_b32 s40, exec_lo, s41
	s_cbranch_execz .LBB6_2654
; %bb.2101:                             ;   in Loop: Header=BB6_130 Depth=2
	v_cmp_eq_u16_sdwa s42, v11, v114 src0_sel:BYTE_1 src1_sel:DWORD
	s_mov_b32 s13, -1
	s_and_saveexec_b32 s41, s42
; %bb.2102:                             ;   in Loop: Header=BB6_130 Depth=2
	s_xor_b32 s13, exec_lo, -1
; %bb.2103:                             ;   in Loop: Header=BB6_130 Depth=2
	s_or_b32 exec_lo, exec_lo, s41
	s_and_b32 s13, s13, exec_lo
	s_or_saveexec_b32 s40, s40
	v_mov_b32_e32 v96, 0x7f800001
	s_xor_b32 exec_lo, exec_lo, s40
	s_cbranch_execnz .LBB6_2655
.LBB6_2104:                             ;   in Loop: Header=BB6_130 Depth=2
	s_or_b32 exec_lo, exec_lo, s40
	s_and_saveexec_b32 s40, s13
	s_cbranch_execz .LBB6_2106
.LBB6_2105:                             ;   in Loop: Header=BB6_130 Depth=2
	v_and_b32_sdwa v96, v115, v11 dst_sel:DWORD dst_unused:UNUSED_PAD src0_sel:DWORD src1_sel:BYTE_1
	v_and_b32_e32 v98, 7, v96
	v_bfe_u32 v61, v96, 3, 4
	v_ffbh_u32_e32 v103, v98
	v_cmp_eq_u32_e32 vcc_lo, 0, v61
	v_min_u32_e32 v103, 32, v103
	v_subrev_nc_u32_e32 v112, 28, v103
	v_sub_nc_u32_e32 v103, 29, v103
	v_lshlrev_b32_e32 v96, v112, v96
	v_lshlrev_b32_sdwa v112, v116, v11 dst_sel:DWORD dst_unused:UNUSED_PAD src0_sel:DWORD src1_sel:BYTE_1
	v_cndmask_b32_e32 v103, v61, v103, vcc_lo
	v_and_b32_e32 v96, 7, v96
	v_lshl_add_u32 v103, v103, 23, 0x3b800000
	v_cndmask_b32_e32 v96, v98, v96, vcc_lo
	v_and_b32_e32 v98, 0x80000000, v112
	v_lshlrev_b32_e32 v96, 20, v96
	v_or3_b32 v96, v98, v103, v96
.LBB6_2106:                             ;   in Loop: Header=BB6_130 Depth=2
	s_or_b32 exec_lo, exec_lo, s40
	v_add_f32_e32 v96, v85, v96
	v_and_b32_e32 v85, 0x7f800000, v96
	v_cmp_ne_u32_e32 vcc_lo, 0x7f800000, v85
	v_mov_b32_e32 v85, 0x8000
	s_and_saveexec_b32 s40, vcc_lo
	s_cbranch_execz .LBB6_2114
; %bb.2107:                             ;   in Loop: Header=BB6_130 Depth=2
	v_mov_b32_e32 v85, 0
	s_mov_b32 s41, exec_lo
	v_cmpx_ne_u32_e32 0, v96
	s_cbranch_execz .LBB6_2113
; %bb.2108:                             ;   in Loop: Header=BB6_130 Depth=2
	v_bfe_u32 v98, v96, 23, 8
	v_and_b32_e32 v85, 0x7fffff, v96
	v_cmp_gt_u32_e64 s13, 0x79, v98
	v_sub_nc_u32_e32 v103, 0x78, v98
	v_cmp_eq_u32_e32 vcc_lo, 0, v98
	v_or_b32_e32 v112, 0x800000, v85
	v_cndmask_b32_e64 v103, 0, v103, s13
	v_cndmask_b32_e32 v85, v112, v85, vcc_lo
	v_cndmask_b32_e64 v103, v103, 0x77, vcc_lo
	v_lshl_add_u32 v112, 0x100000, v103, -1
	v_lshlrev_b32_e64 v61, v103, 0x80000
	v_and_b32_e32 v112, v112, v85
	v_cmp_eq_u32_e64 s13, v112, v61
	v_lshrrev_b32_e32 v112, v103, v85
	v_add_nc_u32_e32 v85, 0xffffff89, v98
	v_lshrrev_b32_e32 v98, 23, v112
	v_cndmask_b32_e64 v85, v85, 0xffffff8a, vcc_lo
	v_xor_b32_e32 v98, 1, v98
	v_add_nc_u32_e32 v85, v103, v85
	v_bfe_u32 v103, v112, 20, 1
	v_add_nc_u32_e32 v103, -1, v103
	v_cndmask_b32_e64 v103, 0, v103, s13
	s_mov_b32 s13, exec_lo
	v_add_nc_u32_e32 v103, v103, v112
	v_and_b32_e32 v103, 0xfffff, v103
	v_add_nc_u32_e32 v103, v103, v112
                                        ; implicit-def: $vgpr112
	v_cmpx_ne_u32_e64 v85, v98
	s_xor_b32 s13, exec_lo, s13
; %bb.2109:                             ;   in Loop: Header=BB6_130 Depth=2
	v_cmp_lt_u32_e32 vcc_lo, 0xffffff, v103
	v_sub_nc_u32_e32 v85, v85, v98
	v_cndmask_b32_e64 v98, 0, 1, vcc_lo
	v_add_co_ci_u32_e64 v112, null, 0, v85, vcc_lo
	v_lshrrev_b32_e32 v103, v98, v103
; %bb.2110:                             ;   in Loop: Header=BB6_130 Depth=2
	s_andn2_saveexec_b32 s13, s13
; %bb.2111:                             ;   in Loop: Header=BB6_130 Depth=2
	v_bfe_u32 v112, v103, 23, 1
; %bb.2112:                             ;   in Loop: Header=BB6_130 Depth=2
	s_or_b32 exec_lo, exec_lo, s13
	v_and_b32_sdwa v85, v96, v114 dst_sel:DWORD dst_unused:UNUSED_PAD src0_sel:BYTE_3 src1_sel:DWORD
	v_lshrrev_b32_e32 v96, 20, v103
	v_min_i32_e32 v98, 15, v112
	v_cmp_gt_i32_e32 vcc_lo, 16, v112
	v_lshlrev_b32_e32 v98, 3, v98
	v_cndmask_b32_e32 v96, 7, v96, vcc_lo
	v_and_b32_e32 v98, 0xf8, v98
	v_or_b32_e32 v103, v112, v96
	v_and_b32_e32 v96, 7, v96
	v_cmp_ne_u32_e32 vcc_lo, 0, v103
	v_or3_b32 v85, v85, v98, v96
	v_lshlrev_b32_e32 v85, 8, v85
	v_cndmask_b32_e32 v85, 0, v85, vcc_lo
.LBB6_2113:                             ;   in Loop: Header=BB6_130 Depth=2
	s_or_b32 exec_lo, exec_lo, s41
.LBB6_2114:                             ;   in Loop: Header=BB6_130 Depth=2
	s_or_b32 exec_lo, exec_lo, s40
	v_or_b32_e32 v96, v60, v58
	s_mov_b32 s40, 0
	v_cmp_gt_i16_sdwa s13, v96, v113 src0_sel:BYTE_0 src1_sel:DWORD
	s_and_saveexec_b32 s41, s13
	s_xor_b32 s13, exec_lo, s41
	s_cbranch_execz .LBB6_2656
; %bb.2115:                             ;   in Loop: Header=BB6_130 Depth=2
	v_cmp_eq_u16_sdwa s42, v96, v114 src0_sel:BYTE_0 src1_sel:DWORD
	s_mov_b32 s40, -1
	s_and_saveexec_b32 s41, s42
; %bb.2116:                             ;   in Loop: Header=BB6_130 Depth=2
	s_xor_b32 s40, exec_lo, -1
; %bb.2117:                             ;   in Loop: Header=BB6_130 Depth=2
	s_or_b32 exec_lo, exec_lo, s41
	s_and_b32 s40, s40, exec_lo
	s_or_saveexec_b32 s13, s13
	v_mov_b32_e32 v98, 0x7f800001
	s_xor_b32 exec_lo, exec_lo, s13
	s_cbranch_execnz .LBB6_2657
.LBB6_2118:                             ;   in Loop: Header=BB6_130 Depth=2
	s_or_b32 exec_lo, exec_lo, s13
	v_lshl_or_b32 v96, v96, 16, v87
	s_and_saveexec_b32 s13, s40
	s_cbranch_execz .LBB6_2120
.LBB6_2119:                             ;   in Loop: Header=BB6_130 Depth=2
	v_bfe_u32 v87, v96, 16, 3
	v_bfe_u32 v98, v96, 19, 4
	v_ffbh_u32_e32 v103, v87
	v_cmp_eq_u32_e32 vcc_lo, 0, v98
	v_min_u32_e32 v103, 32, v103
	v_subrev_nc_u32_e32 v112, 28, v103
	v_sub_nc_u32_e32 v103, 29, v103
	v_lshlrev_b32_sdwa v112, v112, v96 dst_sel:DWORD dst_unused:UNUSED_PAD src0_sel:DWORD src1_sel:WORD_1
	v_cndmask_b32_e32 v98, v98, v103, vcc_lo
	v_lshlrev_b32_e32 v103, 8, v96
	v_and_b32_e32 v112, 7, v112
	v_lshl_add_u32 v98, v98, 23, 0x3b800000
	v_and_b32_e32 v103, 0x80000000, v103
	v_cndmask_b32_e32 v87, v87, v112, vcc_lo
	v_lshlrev_b32_e32 v87, 20, v87
	v_or3_b32 v98, v103, v98, v87
.LBB6_2120:                             ;   in Loop: Header=BB6_130 Depth=2
	s_or_b32 exec_lo, exec_lo, s13
	v_and_b32_sdwa v103, v11, v117 dst_sel:DWORD dst_unused:UNUSED_PAD src0_sel:WORD_1 src1_sel:DWORD
	s_mov_b32 s40, 0
	s_mov_b32 s13, exec_lo
	v_cmpx_lt_i16_e32 0x7f, v103
	s_xor_b32 s13, exec_lo, s13
	s_cbranch_execz .LBB6_2658
; %bb.2121:                             ;   in Loop: Header=BB6_130 Depth=2
	s_mov_b32 s40, -1
	s_mov_b32 s41, exec_lo
	v_cmpx_eq_u16_e32 0x80, v103
; %bb.2122:                             ;   in Loop: Header=BB6_130 Depth=2
	s_xor_b32 s40, exec_lo, -1
; %bb.2123:                             ;   in Loop: Header=BB6_130 Depth=2
	s_or_b32 exec_lo, exec_lo, s41
	s_and_b32 s40, s40, exec_lo
                                        ; implicit-def: $vgpr103
	s_or_saveexec_b32 s13, s13
	v_mov_b32_e32 v87, 0x7f800001
	s_xor_b32 exec_lo, exec_lo, s13
	s_cbranch_execnz .LBB6_2659
.LBB6_2124:                             ;   in Loop: Header=BB6_130 Depth=2
	s_or_b32 exec_lo, exec_lo, s13
	s_and_saveexec_b32 s13, s40
	s_cbranch_execz .LBB6_2126
.LBB6_2125:                             ;   in Loop: Header=BB6_130 Depth=2
	v_bfe_u32 v87, v11, 16, 3
	v_bfe_u32 v103, v11, 19, 4
	v_ffbh_u32_e32 v112, v87
	v_cmp_eq_u32_e32 vcc_lo, 0, v103
	v_min_u32_e32 v112, 32, v112
	v_subrev_nc_u32_e32 v58, 28, v112
	v_sub_nc_u32_e32 v112, 29, v112
	v_lshlrev_b32_sdwa v58, v58, v11 dst_sel:DWORD dst_unused:UNUSED_PAD src0_sel:DWORD src1_sel:WORD_1
	v_cndmask_b32_e32 v103, v103, v112, vcc_lo
	v_lshlrev_b32_e32 v112, 8, v11
	v_and_b32_e32 v58, 7, v58
	v_lshl_add_u32 v103, v103, 23, 0x3b800000
	v_and_b32_e32 v112, 0x80000000, v112
	v_cndmask_b32_e32 v87, v87, v58, vcc_lo
	v_lshlrev_b32_e32 v87, 20, v87
	v_or3_b32 v87, v112, v103, v87
.LBB6_2126:                             ;   in Loop: Header=BB6_130 Depth=2
	s_or_b32 exec_lo, exec_lo, s13
	v_add_f32_e32 v98, v98, v87
	v_and_b32_e32 v87, 0x7f800000, v98
	v_cmp_ne_u32_e32 vcc_lo, 0x7f800000, v87
	v_mov_b32_e32 v87, 0x80
	s_and_saveexec_b32 s40, vcc_lo
	s_cbranch_execz .LBB6_2134
; %bb.2127:                             ;   in Loop: Header=BB6_130 Depth=2
	v_mov_b32_e32 v87, 0
	s_mov_b32 s41, exec_lo
	v_cmpx_ne_u32_e32 0, v98
	s_cbranch_execz .LBB6_2133
; %bb.2128:                             ;   in Loop: Header=BB6_130 Depth=2
	v_bfe_u32 v103, v98, 23, 8
	v_and_b32_e32 v87, 0x7fffff, v98
	v_cmp_gt_u32_e64 s13, 0x79, v103
	v_sub_nc_u32_e32 v112, 0x78, v103
	v_cmp_eq_u32_e32 vcc_lo, 0, v103
	v_or_b32_e32 v58, 0x800000, v87
	v_cndmask_b32_e64 v112, 0, v112, s13
	v_cndmask_b32_e32 v87, v58, v87, vcc_lo
	v_cndmask_b32_e64 v112, v112, 0x77, vcc_lo
	v_lshl_add_u32 v58, 0x100000, v112, -1
	v_lshlrev_b32_e64 v60, v112, 0x80000
	v_and_b32_e32 v58, v58, v87
	v_cmp_eq_u32_e64 s13, v58, v60
	v_lshrrev_b32_e32 v58, v112, v87
	v_add_nc_u32_e32 v87, 0xffffff89, v103
	v_lshrrev_b32_e32 v103, 23, v58
	v_cndmask_b32_e64 v87, v87, 0xffffff8a, vcc_lo
	v_xor_b32_e32 v103, 1, v103
	v_add_nc_u32_e32 v87, v112, v87
	v_bfe_u32 v112, v58, 20, 1
	v_add_nc_u32_e32 v112, -1, v112
	v_cndmask_b32_e64 v112, 0, v112, s13
	s_mov_b32 s13, exec_lo
	v_add_nc_u32_e32 v112, v112, v58
	v_and_b32_e32 v112, 0xfffff, v112
	v_add_nc_u32_e32 v112, v112, v58
                                        ; implicit-def: $vgpr58
	v_cmpx_ne_u32_e64 v87, v103
	s_xor_b32 s13, exec_lo, s13
; %bb.2129:                             ;   in Loop: Header=BB6_130 Depth=2
	v_cmp_lt_u32_e32 vcc_lo, 0xffffff, v112
	v_sub_nc_u32_e32 v87, v87, v103
	v_cndmask_b32_e64 v103, 0, 1, vcc_lo
	v_add_co_ci_u32_e64 v58, null, 0, v87, vcc_lo
	v_lshrrev_b32_e32 v112, v103, v112
; %bb.2130:                             ;   in Loop: Header=BB6_130 Depth=2
	s_andn2_saveexec_b32 s13, s13
; %bb.2131:                             ;   in Loop: Header=BB6_130 Depth=2
	v_bfe_u32 v58, v112, 23, 1
; %bb.2132:                             ;   in Loop: Header=BB6_130 Depth=2
	s_or_b32 exec_lo, exec_lo, s13
	v_and_b32_sdwa v87, v98, v114 dst_sel:DWORD dst_unused:UNUSED_PAD src0_sel:BYTE_3 src1_sel:DWORD
	v_lshrrev_b32_e32 v98, 20, v112
	v_min_i32_e32 v103, 15, v58
	v_cmp_gt_i32_e32 vcc_lo, 16, v58
	v_lshlrev_b32_e32 v103, 3, v103
	v_cndmask_b32_e32 v98, 7, v98, vcc_lo
	v_and_b32_e32 v103, 0xf8, v103
	v_or_b32_e32 v112, v58, v98
	v_and_b32_e32 v98, 7, v98
	v_cmp_ne_u32_e32 vcc_lo, 0, v112
	v_or3_b32 v87, v103, v87, v98
	v_cndmask_b32_e32 v87, 0, v87, vcc_lo
.LBB6_2133:                             ;   in Loop: Header=BB6_130 Depth=2
	s_or_b32 exec_lo, exec_lo, s41
.LBB6_2134:                             ;   in Loop: Header=BB6_130 Depth=2
	s_or_b32 exec_lo, exec_lo, s40
	v_cmp_gt_i16_sdwa s40, v96, v113 src0_sel:BYTE_3 src1_sel:DWORD
	s_mov_b32 s13, 0
	s_and_saveexec_b32 s41, s40
	s_xor_b32 s40, exec_lo, s41
	s_cbranch_execz .LBB6_2660
; %bb.2135:                             ;   in Loop: Header=BB6_130 Depth=2
	v_cmp_eq_u16_sdwa s42, v96, v114 src0_sel:BYTE_3 src1_sel:DWORD
	s_mov_b32 s13, -1
	s_and_saveexec_b32 s41, s42
; %bb.2136:                             ;   in Loop: Header=BB6_130 Depth=2
	s_xor_b32 s13, exec_lo, -1
; %bb.2137:                             ;   in Loop: Header=BB6_130 Depth=2
	s_or_b32 exec_lo, exec_lo, s41
	s_and_b32 s13, s13, exec_lo
	s_or_saveexec_b32 s40, s40
	v_mov_b32_e32 v98, 0x7f800001
	s_xor_b32 exec_lo, exec_lo, s40
	s_cbranch_execnz .LBB6_2661
.LBB6_2138:                             ;   in Loop: Header=BB6_130 Depth=2
	s_or_b32 exec_lo, exec_lo, s40
	s_and_saveexec_b32 s40, s13
	s_cbranch_execz .LBB6_2140
.LBB6_2139:                             ;   in Loop: Header=BB6_130 Depth=2
	v_bfe_u32 v98, v96, 24, 3
	v_bfe_u32 v58, v96, 27, 4
	v_ffbh_u32_e32 v103, v98
	v_cmp_eq_u32_e32 vcc_lo, 0, v58
	v_min_u32_e32 v103, 32, v103
	v_subrev_nc_u32_e32 v112, 28, v103
	v_sub_nc_u32_e32 v103, 29, v103
	v_lshlrev_b32_sdwa v112, v112, v96 dst_sel:DWORD dst_unused:UNUSED_PAD src0_sel:DWORD src1_sel:BYTE_3
	v_cndmask_b32_e32 v103, v58, v103, vcc_lo
	v_and_b32_e32 v96, 0x80000000, v96
	v_and_b32_e32 v112, 7, v112
	v_lshl_add_u32 v103, v103, 23, 0x3b800000
	v_cndmask_b32_e32 v98, v98, v112, vcc_lo
	v_lshlrev_b32_e32 v98, 20, v98
	v_or3_b32 v98, v96, v103, v98
.LBB6_2140:                             ;   in Loop: Header=BB6_130 Depth=2
	s_or_b32 exec_lo, exec_lo, s40
	v_cmp_gt_i16_sdwa s40, v11, v113 src0_sel:BYTE_3 src1_sel:DWORD
	s_mov_b32 s13, 0
	s_and_saveexec_b32 s41, s40
	s_xor_b32 s40, exec_lo, s41
	s_cbranch_execz .LBB6_2662
; %bb.2141:                             ;   in Loop: Header=BB6_130 Depth=2
	v_cmp_eq_u16_sdwa s42, v11, v114 src0_sel:BYTE_3 src1_sel:DWORD
	s_mov_b32 s13, -1
	s_and_saveexec_b32 s41, s42
; %bb.2142:                             ;   in Loop: Header=BB6_130 Depth=2
	s_xor_b32 s13, exec_lo, -1
; %bb.2143:                             ;   in Loop: Header=BB6_130 Depth=2
	s_or_b32 exec_lo, exec_lo, s41
	s_and_b32 s13, s13, exec_lo
	s_or_saveexec_b32 s40, s40
	v_mov_b32_e32 v96, 0x7f800001
	s_xor_b32 exec_lo, exec_lo, s40
	s_cbranch_execnz .LBB6_2663
.LBB6_2144:                             ;   in Loop: Header=BB6_130 Depth=2
	s_or_b32 exec_lo, exec_lo, s40
	s_and_saveexec_b32 s40, s13
	s_cbranch_execz .LBB6_2146
.LBB6_2145:                             ;   in Loop: Header=BB6_130 Depth=2
	v_bfe_u32 v96, v11, 24, 3
	v_bfe_u32 v58, v11, 27, 4
	v_ffbh_u32_e32 v103, v96
	v_cmp_eq_u32_e32 vcc_lo, 0, v58
	v_min_u32_e32 v103, 32, v103
	v_subrev_nc_u32_e32 v112, 28, v103
	v_sub_nc_u32_e32 v103, 29, v103
	v_lshlrev_b32_sdwa v112, v112, v11 dst_sel:DWORD dst_unused:UNUSED_PAD src0_sel:DWORD src1_sel:BYTE_3
	v_cndmask_b32_e32 v103, v58, v103, vcc_lo
	v_and_b32_e32 v11, 0x80000000, v11
	v_and_b32_e32 v112, 7, v112
	v_lshl_add_u32 v103, v103, 23, 0x3b800000
	v_cndmask_b32_e32 v96, v96, v112, vcc_lo
	v_lshlrev_b32_e32 v96, 20, v96
	v_or3_b32 v96, v11, v103, v96
.LBB6_2146:                             ;   in Loop: Header=BB6_130 Depth=2
	s_or_b32 exec_lo, exec_lo, s40
	v_add_f32_e32 v96, v98, v96
	v_and_b32_e32 v11, 0x7f800000, v96
	v_cmp_ne_u32_e32 vcc_lo, 0x7f800000, v11
	v_mov_b32_e32 v11, 0x8000
	s_and_saveexec_b32 s40, vcc_lo
	s_cbranch_execz .LBB6_2154
; %bb.2147:                             ;   in Loop: Header=BB6_130 Depth=2
	v_mov_b32_e32 v11, 0
	s_mov_b32 s41, exec_lo
	v_cmpx_ne_u32_e32 0, v96
	s_cbranch_execz .LBB6_2153
; %bb.2148:                             ;   in Loop: Header=BB6_130 Depth=2
	v_bfe_u32 v98, v96, 23, 8
	v_and_b32_e32 v11, 0x7fffff, v96
	v_cmp_gt_u32_e64 s13, 0x79, v98
	v_sub_nc_u32_e32 v103, 0x78, v98
	v_cmp_eq_u32_e32 vcc_lo, 0, v98
	v_or_b32_e32 v112, 0x800000, v11
	v_cndmask_b32_e64 v103, 0, v103, s13
	v_cndmask_b32_e32 v11, v112, v11, vcc_lo
	v_cndmask_b32_e64 v103, v103, 0x77, vcc_lo
	v_lshl_add_u32 v112, 0x100000, v103, -1
	v_lshlrev_b32_e64 v58, v103, 0x80000
	v_and_b32_e32 v112, v112, v11
	v_cmp_eq_u32_e64 s13, v112, v58
	v_lshrrev_b32_e32 v112, v103, v11
	v_add_nc_u32_e32 v11, 0xffffff89, v98
	v_lshrrev_b32_e32 v98, 23, v112
	v_cndmask_b32_e64 v11, v11, 0xffffff8a, vcc_lo
	v_xor_b32_e32 v98, 1, v98
	v_add_nc_u32_e32 v11, v103, v11
	v_bfe_u32 v103, v112, 20, 1
	v_add_nc_u32_e32 v103, -1, v103
	v_cndmask_b32_e64 v103, 0, v103, s13
	s_mov_b32 s13, exec_lo
	v_add_nc_u32_e32 v103, v103, v112
	v_and_b32_e32 v103, 0xfffff, v103
	v_add_nc_u32_e32 v103, v103, v112
                                        ; implicit-def: $vgpr112
	v_cmpx_ne_u32_e64 v11, v98
	s_xor_b32 s13, exec_lo, s13
; %bb.2149:                             ;   in Loop: Header=BB6_130 Depth=2
	v_cmp_lt_u32_e32 vcc_lo, 0xffffff, v103
	v_sub_nc_u32_e32 v11, v11, v98
	v_cndmask_b32_e64 v98, 0, 1, vcc_lo
	v_add_co_ci_u32_e64 v112, null, 0, v11, vcc_lo
	v_lshrrev_b32_e32 v103, v98, v103
; %bb.2150:                             ;   in Loop: Header=BB6_130 Depth=2
	s_andn2_saveexec_b32 s13, s13
; %bb.2151:                             ;   in Loop: Header=BB6_130 Depth=2
	v_bfe_u32 v112, v103, 23, 1
; %bb.2152:                             ;   in Loop: Header=BB6_130 Depth=2
	s_or_b32 exec_lo, exec_lo, s13
	v_and_b32_sdwa v11, v96, v114 dst_sel:DWORD dst_unused:UNUSED_PAD src0_sel:BYTE_3 src1_sel:DWORD
	v_lshrrev_b32_e32 v96, 20, v103
	v_min_i32_e32 v98, 15, v112
	v_cmp_gt_i32_e32 vcc_lo, 16, v112
	v_lshlrev_b32_e32 v98, 3, v98
	v_cndmask_b32_e32 v96, 7, v96, vcc_lo
	v_and_b32_e32 v98, 0xf8, v98
	v_or_b32_e32 v103, v112, v96
	v_and_b32_e32 v96, 7, v96
	v_cmp_ne_u32_e32 vcc_lo, 0, v103
	v_or3_b32 v11, v11, v98, v96
	v_lshlrev_b32_e32 v11, 8, v11
	v_cndmask_b32_e32 v11, 0, v11, vcc_lo
.LBB6_2153:                             ;   in Loop: Header=BB6_130 Depth=2
	s_or_b32 exec_lo, exec_lo, s41
.LBB6_2154:                             ;   in Loop: Header=BB6_130 Depth=2
	s_or_b32 exec_lo, exec_lo, s40
	v_or_b32_e32 v103, v59, v47
	s_mov_b32 s40, 0
	v_cmp_gt_i16_sdwa s13, v103, v113 src0_sel:BYTE_0 src1_sel:DWORD
	s_and_saveexec_b32 s41, s13
	s_xor_b32 s13, exec_lo, s41
	s_cbranch_execz .LBB6_2664
; %bb.2155:                             ;   in Loop: Header=BB6_130 Depth=2
	v_cmp_eq_u16_sdwa s42, v103, v114 src0_sel:BYTE_0 src1_sel:DWORD
	s_mov_b32 s40, -1
	s_and_saveexec_b32 s41, s42
; %bb.2156:                             ;   in Loop: Header=BB6_130 Depth=2
	s_xor_b32 s40, exec_lo, -1
; %bb.2157:                             ;   in Loop: Header=BB6_130 Depth=2
	s_or_b32 exec_lo, exec_lo, s41
	s_and_b32 s40, s40, exec_lo
	s_or_saveexec_b32 s13, s13
	v_mov_b32_e32 v96, 0x7f800001
	s_xor_b32 exec_lo, exec_lo, s13
	s_cbranch_execnz .LBB6_2665
.LBB6_2158:                             ;   in Loop: Header=BB6_130 Depth=2
	s_or_b32 exec_lo, exec_lo, s13
	s_and_saveexec_b32 s13, s40
	s_cbranch_execz .LBB6_2160
.LBB6_2159:                             ;   in Loop: Header=BB6_130 Depth=2
	v_and_b32_e32 v96, 7, v103
	v_bfe_u32 v98, v103, 3, 4
	v_ffbh_u32_e32 v112, v96
	v_cmp_eq_u32_e32 vcc_lo, 0, v98
	v_min_u32_e32 v112, 32, v112
	v_subrev_nc_u32_e32 v47, 28, v112
	v_sub_nc_u32_e32 v112, 29, v112
	v_lshlrev_b32_e32 v47, v47, v103
	v_cndmask_b32_e32 v98, v98, v112, vcc_lo
	v_lshlrev_b32_e32 v112, 24, v103
	v_and_b32_e32 v47, 7, v47
	v_lshl_add_u32 v98, v98, 23, 0x3b800000
	v_and_b32_e32 v112, 0x80000000, v112
	v_cndmask_b32_e32 v96, v96, v47, vcc_lo
	v_lshlrev_b32_e32 v96, 20, v96
	v_or3_b32 v96, v112, v98, v96
.LBB6_2160:                             ;   in Loop: Header=BB6_130 Depth=2
	s_or_b32 exec_lo, exec_lo, s13
	v_cmp_gt_i16_sdwa s13, v12, v113 src0_sel:BYTE_0 src1_sel:DWORD
	s_mov_b32 s40, 0
	s_and_saveexec_b32 s41, s13
	s_xor_b32 s13, exec_lo, s41
	s_cbranch_execz .LBB6_2666
; %bb.2161:                             ;   in Loop: Header=BB6_130 Depth=2
	v_cmp_eq_u16_sdwa s42, v12, v114 src0_sel:BYTE_0 src1_sel:DWORD
	s_mov_b32 s40, -1
	s_and_saveexec_b32 s41, s42
; %bb.2162:                             ;   in Loop: Header=BB6_130 Depth=2
	s_xor_b32 s40, exec_lo, -1
; %bb.2163:                             ;   in Loop: Header=BB6_130 Depth=2
	s_or_b32 exec_lo, exec_lo, s41
	s_and_b32 s40, s40, exec_lo
	s_or_saveexec_b32 s13, s13
	v_mov_b32_e32 v98, 0x7f800001
	s_xor_b32 exec_lo, exec_lo, s13
	s_cbranch_execnz .LBB6_2667
.LBB6_2164:                             ;   in Loop: Header=BB6_130 Depth=2
	s_or_b32 exec_lo, exec_lo, s13
	s_and_saveexec_b32 s13, s40
	s_cbranch_execz .LBB6_2166
.LBB6_2165:                             ;   in Loop: Header=BB6_130 Depth=2
	v_and_b32_e32 v98, 7, v12
	v_bfe_u32 v112, v12, 3, 4
	v_ffbh_u32_e32 v47, v98
	v_cmp_eq_u32_e32 vcc_lo, 0, v112
	v_min_u32_e32 v47, 32, v47
	v_subrev_nc_u32_e32 v58, 28, v47
	v_sub_nc_u32_e32 v47, 29, v47
	v_lshlrev_b32_e32 v58, v58, v12
	v_cndmask_b32_e32 v112, v112, v47, vcc_lo
	v_lshlrev_b32_e32 v47, 24, v12
	v_and_b32_e32 v58, 7, v58
	v_lshl_add_u32 v112, v112, 23, 0x3b800000
	v_and_b32_e32 v47, 0x80000000, v47
	v_cndmask_b32_e32 v98, v98, v58, vcc_lo
	v_lshlrev_b32_e32 v98, 20, v98
	v_or3_b32 v98, v47, v112, v98
.LBB6_2166:                             ;   in Loop: Header=BB6_130 Depth=2
	s_or_b32 exec_lo, exec_lo, s13
	v_add_f32_e32 v98, v96, v98
	v_and_b32_e32 v96, 0x7f800000, v98
	v_cmp_ne_u32_e32 vcc_lo, 0x7f800000, v96
	v_mov_b32_e32 v96, 0x80
	s_and_saveexec_b32 s40, vcc_lo
	s_cbranch_execz .LBB6_2174
; %bb.2167:                             ;   in Loop: Header=BB6_130 Depth=2
	v_mov_b32_e32 v96, 0
	s_mov_b32 s41, exec_lo
	v_cmpx_ne_u32_e32 0, v98
	s_cbranch_execz .LBB6_2173
; %bb.2168:                             ;   in Loop: Header=BB6_130 Depth=2
	v_bfe_u32 v112, v98, 23, 8
	v_and_b32_e32 v96, 0x7fffff, v98
	v_cmp_gt_u32_e64 s13, 0x79, v112
	v_sub_nc_u32_e32 v47, 0x78, v112
	v_cmp_eq_u32_e32 vcc_lo, 0, v112
	v_or_b32_e32 v58, 0x800000, v96
	v_cndmask_b32_e64 v47, 0, v47, s13
	v_cndmask_b32_e32 v96, v58, v96, vcc_lo
	v_cndmask_b32_e64 v47, v47, 0x77, vcc_lo
	v_lshl_add_u32 v58, 0x100000, v47, -1
	v_lshlrev_b32_e64 v59, v47, 0x80000
	v_and_b32_e32 v58, v58, v96
	v_cmp_eq_u32_e64 s13, v58, v59
	v_lshrrev_b32_e32 v58, v47, v96
	v_add_nc_u32_e32 v96, 0xffffff89, v112
	v_lshrrev_b32_e32 v112, 23, v58
	v_cndmask_b32_e64 v96, v96, 0xffffff8a, vcc_lo
	v_xor_b32_e32 v112, 1, v112
	v_add_nc_u32_e32 v96, v47, v96
	v_bfe_u32 v47, v58, 20, 1
	v_add_nc_u32_e32 v47, -1, v47
	v_cndmask_b32_e64 v47, 0, v47, s13
	s_mov_b32 s13, exec_lo
	v_add_nc_u32_e32 v47, v47, v58
	v_and_b32_e32 v47, 0xfffff, v47
	v_add_nc_u32_e32 v47, v47, v58
                                        ; implicit-def: $vgpr58
	v_cmpx_ne_u32_e64 v96, v112
	s_xor_b32 s13, exec_lo, s13
; %bb.2169:                             ;   in Loop: Header=BB6_130 Depth=2
	v_cmp_lt_u32_e32 vcc_lo, 0xffffff, v47
	v_sub_nc_u32_e32 v96, v96, v112
	v_cndmask_b32_e64 v112, 0, 1, vcc_lo
	v_add_co_ci_u32_e64 v58, null, 0, v96, vcc_lo
	v_lshrrev_b32_e32 v47, v112, v47
; %bb.2170:                             ;   in Loop: Header=BB6_130 Depth=2
	s_andn2_saveexec_b32 s13, s13
; %bb.2171:                             ;   in Loop: Header=BB6_130 Depth=2
	v_bfe_u32 v58, v47, 23, 1
; %bb.2172:                             ;   in Loop: Header=BB6_130 Depth=2
	s_or_b32 exec_lo, exec_lo, s13
	v_and_b32_sdwa v96, v98, v114 dst_sel:DWORD dst_unused:UNUSED_PAD src0_sel:BYTE_3 src1_sel:DWORD
	v_lshrrev_b32_e32 v98, 20, v47
	v_min_i32_e32 v112, 15, v58
	v_cmp_gt_i32_e32 vcc_lo, 16, v58
	v_lshlrev_b32_e32 v112, 3, v112
	v_cndmask_b32_e32 v98, 7, v98, vcc_lo
	v_and_b32_e32 v112, 0xf8, v112
	v_or_b32_e32 v47, v58, v98
	v_and_b32_e32 v98, 7, v98
	v_cmp_ne_u32_e32 vcc_lo, 0, v47
	v_or3_b32 v96, v112, v96, v98
	v_cndmask_b32_e32 v96, 0, v96, vcc_lo
.LBB6_2173:                             ;   in Loop: Header=BB6_130 Depth=2
	s_or_b32 exec_lo, exec_lo, s41
.LBB6_2174:                             ;   in Loop: Header=BB6_130 Depth=2
	s_or_b32 exec_lo, exec_lo, s40
	v_cmp_gt_i16_sdwa s40, v103, v113 src0_sel:BYTE_1 src1_sel:DWORD
	s_mov_b32 s13, 0
	s_and_saveexec_b32 s41, s40
	s_xor_b32 s40, exec_lo, s41
	s_cbranch_execz .LBB6_2668
; %bb.2175:                             ;   in Loop: Header=BB6_130 Depth=2
	v_cmp_eq_u16_sdwa s42, v103, v114 src0_sel:BYTE_1 src1_sel:DWORD
	s_mov_b32 s13, -1
	s_and_saveexec_b32 s41, s42
; %bb.2176:                             ;   in Loop: Header=BB6_130 Depth=2
	s_xor_b32 s13, exec_lo, -1
; %bb.2177:                             ;   in Loop: Header=BB6_130 Depth=2
	s_or_b32 exec_lo, exec_lo, s41
	s_and_b32 s13, s13, exec_lo
	s_or_saveexec_b32 s40, s40
	v_mov_b32_e32 v98, 0x7f800001
	s_xor_b32 exec_lo, exec_lo, s40
	s_cbranch_execnz .LBB6_2669
.LBB6_2178:                             ;   in Loop: Header=BB6_130 Depth=2
	s_or_b32 exec_lo, exec_lo, s40
	s_and_saveexec_b32 s40, s13
	s_cbranch_execz .LBB6_2180
.LBB6_2179:                             ;   in Loop: Header=BB6_130 Depth=2
	v_and_b32_sdwa v98, v115, v103 dst_sel:DWORD dst_unused:UNUSED_PAD src0_sel:DWORD src1_sel:BYTE_1
	v_and_b32_e32 v112, 7, v98
	v_bfe_u32 v59, v98, 3, 4
	v_ffbh_u32_e32 v47, v112
	v_cmp_eq_u32_e32 vcc_lo, 0, v59
	v_min_u32_e32 v47, 32, v47
	v_subrev_nc_u32_e32 v58, 28, v47
	v_sub_nc_u32_e32 v47, 29, v47
	v_lshlrev_b32_e32 v98, v58, v98
	v_lshlrev_b32_sdwa v58, v116, v103 dst_sel:DWORD dst_unused:UNUSED_PAD src0_sel:DWORD src1_sel:BYTE_1
	v_cndmask_b32_e32 v47, v59, v47, vcc_lo
	v_and_b32_e32 v98, 7, v98
	v_lshl_add_u32 v47, v47, 23, 0x3b800000
	v_cndmask_b32_e32 v98, v112, v98, vcc_lo
	v_and_b32_e32 v112, 0x80000000, v58
	v_lshlrev_b32_e32 v98, 20, v98
	v_or3_b32 v98, v112, v47, v98
.LBB6_2180:                             ;   in Loop: Header=BB6_130 Depth=2
	s_or_b32 exec_lo, exec_lo, s40
	v_cmp_gt_i16_sdwa s40, v12, v113 src0_sel:BYTE_1 src1_sel:DWORD
	s_mov_b32 s13, 0
	s_and_saveexec_b32 s41, s40
	s_xor_b32 s40, exec_lo, s41
	s_cbranch_execz .LBB6_2670
; %bb.2181:                             ;   in Loop: Header=BB6_130 Depth=2
	v_cmp_eq_u16_sdwa s42, v12, v114 src0_sel:BYTE_1 src1_sel:DWORD
	s_mov_b32 s13, -1
	s_and_saveexec_b32 s41, s42
; %bb.2182:                             ;   in Loop: Header=BB6_130 Depth=2
	s_xor_b32 s13, exec_lo, -1
; %bb.2183:                             ;   in Loop: Header=BB6_130 Depth=2
	s_or_b32 exec_lo, exec_lo, s41
	s_and_b32 s13, s13, exec_lo
	s_or_saveexec_b32 s40, s40
	v_mov_b32_e32 v112, 0x7f800001
	s_xor_b32 exec_lo, exec_lo, s40
	s_cbranch_execnz .LBB6_2671
.LBB6_2184:                             ;   in Loop: Header=BB6_130 Depth=2
	s_or_b32 exec_lo, exec_lo, s40
	s_and_saveexec_b32 s40, s13
	s_cbranch_execz .LBB6_2186
.LBB6_2185:                             ;   in Loop: Header=BB6_130 Depth=2
	v_and_b32_sdwa v112, v115, v12 dst_sel:DWORD dst_unused:UNUSED_PAD src0_sel:DWORD src1_sel:BYTE_1
	v_and_b32_e32 v47, 7, v112
	v_bfe_u32 v60, v112, 3, 4
	v_ffbh_u32_e32 v58, v47
	v_cmp_eq_u32_e32 vcc_lo, 0, v60
	v_min_u32_e32 v58, 32, v58
	v_subrev_nc_u32_e32 v59, 28, v58
	v_sub_nc_u32_e32 v58, 29, v58
	v_lshlrev_b32_e32 v112, v59, v112
	v_lshlrev_b32_sdwa v59, v116, v12 dst_sel:DWORD dst_unused:UNUSED_PAD src0_sel:DWORD src1_sel:BYTE_1
	v_cndmask_b32_e32 v58, v60, v58, vcc_lo
	v_and_b32_e32 v112, 7, v112
	v_lshl_add_u32 v58, v58, 23, 0x3b800000
	v_cndmask_b32_e32 v112, v47, v112, vcc_lo
	v_and_b32_e32 v47, 0x80000000, v59
	v_lshlrev_b32_e32 v112, 20, v112
	v_or3_b32 v112, v47, v58, v112
.LBB6_2186:                             ;   in Loop: Header=BB6_130 Depth=2
	s_or_b32 exec_lo, exec_lo, s40
	v_add_f32_e32 v112, v98, v112
	v_and_b32_e32 v98, 0x7f800000, v112
	v_cmp_ne_u32_e32 vcc_lo, 0x7f800000, v98
	v_mov_b32_e32 v98, 0x8000
	s_and_saveexec_b32 s40, vcc_lo
	s_cbranch_execz .LBB6_2194
; %bb.2187:                             ;   in Loop: Header=BB6_130 Depth=2
	v_mov_b32_e32 v98, 0
	s_mov_b32 s41, exec_lo
	v_cmpx_ne_u32_e32 0, v112
	s_cbranch_execz .LBB6_2193
; %bb.2188:                             ;   in Loop: Header=BB6_130 Depth=2
	v_bfe_u32 v47, v112, 23, 8
	v_and_b32_e32 v98, 0x7fffff, v112
	v_cmp_gt_u32_e64 s13, 0x79, v47
	v_sub_nc_u32_e32 v58, 0x78, v47
	v_cmp_eq_u32_e32 vcc_lo, 0, v47
	v_or_b32_e32 v59, 0x800000, v98
	v_cndmask_b32_e64 v58, 0, v58, s13
	v_cndmask_b32_e32 v98, v59, v98, vcc_lo
	v_cndmask_b32_e64 v58, v58, 0x77, vcc_lo
	v_lshl_add_u32 v59, 0x100000, v58, -1
	v_lshlrev_b32_e64 v60, v58, 0x80000
	v_and_b32_e32 v59, v59, v98
	v_cmp_eq_u32_e64 s13, v59, v60
	v_lshrrev_b32_e32 v59, v58, v98
	v_add_nc_u32_e32 v98, 0xffffff89, v47
	v_lshrrev_b32_e32 v47, 23, v59
	v_cndmask_b32_e64 v98, v98, 0xffffff8a, vcc_lo
	v_xor_b32_e32 v47, 1, v47
	v_add_nc_u32_e32 v98, v58, v98
	v_bfe_u32 v58, v59, 20, 1
	v_add_nc_u32_e32 v58, -1, v58
	v_cndmask_b32_e64 v58, 0, v58, s13
	s_mov_b32 s13, exec_lo
	v_add_nc_u32_e32 v58, v58, v59
	v_and_b32_e32 v58, 0xfffff, v58
	v_add_nc_u32_e32 v58, v58, v59
                                        ; implicit-def: $vgpr59
	v_cmpx_ne_u32_e64 v98, v47
	s_xor_b32 s13, exec_lo, s13
; %bb.2189:                             ;   in Loop: Header=BB6_130 Depth=2
	v_cmp_lt_u32_e32 vcc_lo, 0xffffff, v58
	v_sub_nc_u32_e32 v98, v98, v47
	v_cndmask_b32_e64 v47, 0, 1, vcc_lo
	v_add_co_ci_u32_e64 v59, null, 0, v98, vcc_lo
	v_lshrrev_b32_e32 v58, v47, v58
; %bb.2190:                             ;   in Loop: Header=BB6_130 Depth=2
	s_andn2_saveexec_b32 s13, s13
; %bb.2191:                             ;   in Loop: Header=BB6_130 Depth=2
	v_bfe_u32 v59, v58, 23, 1
; %bb.2192:                             ;   in Loop: Header=BB6_130 Depth=2
	s_or_b32 exec_lo, exec_lo, s13
	v_and_b32_sdwa v98, v112, v114 dst_sel:DWORD dst_unused:UNUSED_PAD src0_sel:BYTE_3 src1_sel:DWORD
	v_lshrrev_b32_e32 v112, 20, v58
	v_min_i32_e32 v47, 15, v59
	v_cmp_gt_i32_e32 vcc_lo, 16, v59
	v_lshlrev_b32_e32 v47, 3, v47
	v_cndmask_b32_e32 v112, 7, v112, vcc_lo
	v_and_b32_e32 v47, 0xf8, v47
	v_or_b32_e32 v58, v59, v112
	v_and_b32_e32 v112, 7, v112
	v_cmp_ne_u32_e32 vcc_lo, 0, v58
	v_or3_b32 v98, v98, v47, v112
	v_lshlrev_b32_e32 v98, 8, v98
	v_cndmask_b32_e32 v98, 0, v98, vcc_lo
.LBB6_2193:                             ;   in Loop: Header=BB6_130 Depth=2
	s_or_b32 exec_lo, exec_lo, s41
.LBB6_2194:                             ;   in Loop: Header=BB6_130 Depth=2
	s_or_b32 exec_lo, exec_lo, s40
	v_or_b32_e32 v112, v57, v45
	s_mov_b32 s40, 0
	v_cmp_gt_i16_sdwa s13, v112, v113 src0_sel:BYTE_0 src1_sel:DWORD
	s_and_saveexec_b32 s41, s13
	s_xor_b32 s13, exec_lo, s41
	s_cbranch_execz .LBB6_2672
; %bb.2195:                             ;   in Loop: Header=BB6_130 Depth=2
	v_cmp_eq_u16_sdwa s42, v112, v114 src0_sel:BYTE_0 src1_sel:DWORD
	s_mov_b32 s40, -1
	s_and_saveexec_b32 s41, s42
; %bb.2196:                             ;   in Loop: Header=BB6_130 Depth=2
	s_xor_b32 s40, exec_lo, -1
; %bb.2197:                             ;   in Loop: Header=BB6_130 Depth=2
	s_or_b32 exec_lo, exec_lo, s41
	s_and_b32 s40, s40, exec_lo
	s_or_saveexec_b32 s13, s13
	v_mov_b32_e32 v45, 0x7f800001
	s_xor_b32 exec_lo, exec_lo, s13
	s_cbranch_execnz .LBB6_2673
.LBB6_2198:                             ;   in Loop: Header=BB6_130 Depth=2
	s_or_b32 exec_lo, exec_lo, s13
	v_lshl_or_b32 v112, v112, 16, v103
	s_and_saveexec_b32 s13, s40
	s_cbranch_execz .LBB6_2200
.LBB6_2199:                             ;   in Loop: Header=BB6_130 Depth=2
	v_bfe_u32 v103, v112, 16, 3
	v_bfe_u32 v45, v112, 19, 4
	v_ffbh_u32_e32 v47, v103
	v_cmp_eq_u32_e32 vcc_lo, 0, v45
	v_min_u32_e32 v47, 32, v47
	v_subrev_nc_u32_e32 v57, 28, v47
	v_sub_nc_u32_e32 v47, 29, v47
	v_lshlrev_b32_sdwa v57, v57, v112 dst_sel:DWORD dst_unused:UNUSED_PAD src0_sel:DWORD src1_sel:WORD_1
	v_cndmask_b32_e32 v45, v45, v47, vcc_lo
	v_lshlrev_b32_e32 v47, 8, v112
	v_and_b32_e32 v57, 7, v57
	v_lshl_add_u32 v45, v45, 23, 0x3b800000
	v_and_b32_e32 v47, 0x80000000, v47
	v_cndmask_b32_e32 v103, v103, v57, vcc_lo
	v_lshlrev_b32_e32 v103, 20, v103
	v_or3_b32 v45, v47, v45, v103
.LBB6_2200:                             ;   in Loop: Header=BB6_130 Depth=2
	s_or_b32 exec_lo, exec_lo, s13
	v_and_b32_sdwa v47, v12, v117 dst_sel:DWORD dst_unused:UNUSED_PAD src0_sel:WORD_1 src1_sel:DWORD
	s_mov_b32 s40, 0
	s_mov_b32 s13, exec_lo
	v_cmpx_lt_i16_e32 0x7f, v47
	s_xor_b32 s13, exec_lo, s13
	s_cbranch_execz .LBB6_2674
; %bb.2201:                             ;   in Loop: Header=BB6_130 Depth=2
	s_mov_b32 s40, -1
	s_mov_b32 s41, exec_lo
	v_cmpx_eq_u16_e32 0x80, v47
; %bb.2202:                             ;   in Loop: Header=BB6_130 Depth=2
	s_xor_b32 s40, exec_lo, -1
; %bb.2203:                             ;   in Loop: Header=BB6_130 Depth=2
	s_or_b32 exec_lo, exec_lo, s41
	s_and_b32 s40, s40, exec_lo
                                        ; implicit-def: $vgpr47
	s_or_saveexec_b32 s13, s13
	v_mov_b32_e32 v103, 0x7f800001
	s_xor_b32 exec_lo, exec_lo, s13
	s_cbranch_execnz .LBB6_2675
.LBB6_2204:                             ;   in Loop: Header=BB6_130 Depth=2
	s_or_b32 exec_lo, exec_lo, s13
	s_and_saveexec_b32 s13, s40
	s_cbranch_execz .LBB6_2206
.LBB6_2205:                             ;   in Loop: Header=BB6_130 Depth=2
	v_bfe_u32 v103, v12, 16, 3
	v_bfe_u32 v47, v12, 19, 4
	v_ffbh_u32_e32 v57, v103
	v_cmp_eq_u32_e32 vcc_lo, 0, v47
	v_min_u32_e32 v57, 32, v57
	v_subrev_nc_u32_e32 v58, 28, v57
	v_sub_nc_u32_e32 v57, 29, v57
	v_lshlrev_b32_sdwa v58, v58, v12 dst_sel:DWORD dst_unused:UNUSED_PAD src0_sel:DWORD src1_sel:WORD_1
	v_cndmask_b32_e32 v47, v47, v57, vcc_lo
	v_lshlrev_b32_e32 v57, 8, v12
	v_and_b32_e32 v58, 7, v58
	v_lshl_add_u32 v47, v47, 23, 0x3b800000
	v_and_b32_e32 v57, 0x80000000, v57
	v_cndmask_b32_e32 v103, v103, v58, vcc_lo
	v_lshlrev_b32_e32 v103, 20, v103
	v_or3_b32 v103, v57, v47, v103
.LBB6_2206:                             ;   in Loop: Header=BB6_130 Depth=2
	s_or_b32 exec_lo, exec_lo, s13
	v_add_f32_e32 v45, v45, v103
	v_and_b32_e32 v103, 0x7f800000, v45
	v_cmp_ne_u32_e32 vcc_lo, 0x7f800000, v103
	v_mov_b32_e32 v103, 0x80
	s_and_saveexec_b32 s40, vcc_lo
	s_cbranch_execz .LBB6_2214
; %bb.2207:                             ;   in Loop: Header=BB6_130 Depth=2
	v_mov_b32_e32 v103, 0
	s_mov_b32 s41, exec_lo
	v_cmpx_ne_u32_e32 0, v45
	s_cbranch_execz .LBB6_2213
; %bb.2208:                             ;   in Loop: Header=BB6_130 Depth=2
	v_bfe_u32 v47, v45, 23, 8
	v_and_b32_e32 v103, 0x7fffff, v45
	v_cmp_gt_u32_e64 s13, 0x79, v47
	v_sub_nc_u32_e32 v57, 0x78, v47
	v_cmp_eq_u32_e32 vcc_lo, 0, v47
	v_or_b32_e32 v58, 0x800000, v103
	v_cndmask_b32_e64 v57, 0, v57, s13
	v_cndmask_b32_e32 v103, v58, v103, vcc_lo
	v_cndmask_b32_e64 v57, v57, 0x77, vcc_lo
	v_lshl_add_u32 v58, 0x100000, v57, -1
	v_lshlrev_b32_e64 v59, v57, 0x80000
	v_and_b32_e32 v58, v58, v103
	v_cmp_eq_u32_e64 s13, v58, v59
	v_lshrrev_b32_e32 v58, v57, v103
	v_add_nc_u32_e32 v103, 0xffffff89, v47
	v_lshrrev_b32_e32 v47, 23, v58
	v_cndmask_b32_e64 v103, v103, 0xffffff8a, vcc_lo
	v_xor_b32_e32 v47, 1, v47
	v_add_nc_u32_e32 v103, v57, v103
	v_bfe_u32 v57, v58, 20, 1
	v_add_nc_u32_e32 v57, -1, v57
	v_cndmask_b32_e64 v57, 0, v57, s13
	s_mov_b32 s13, exec_lo
	v_add_nc_u32_e32 v57, v57, v58
	v_and_b32_e32 v57, 0xfffff, v57
	v_add_nc_u32_e32 v57, v57, v58
                                        ; implicit-def: $vgpr58
	v_cmpx_ne_u32_e64 v103, v47
	s_xor_b32 s13, exec_lo, s13
; %bb.2209:                             ;   in Loop: Header=BB6_130 Depth=2
	v_cmp_lt_u32_e32 vcc_lo, 0xffffff, v57
	v_sub_nc_u32_e32 v103, v103, v47
	v_cndmask_b32_e64 v47, 0, 1, vcc_lo
	v_add_co_ci_u32_e64 v58, null, 0, v103, vcc_lo
	v_lshrrev_b32_e32 v57, v47, v57
; %bb.2210:                             ;   in Loop: Header=BB6_130 Depth=2
	s_andn2_saveexec_b32 s13, s13
; %bb.2211:                             ;   in Loop: Header=BB6_130 Depth=2
	v_bfe_u32 v58, v57, 23, 1
; %bb.2212:                             ;   in Loop: Header=BB6_130 Depth=2
	s_or_b32 exec_lo, exec_lo, s13
	v_and_b32_sdwa v103, v45, v114 dst_sel:DWORD dst_unused:UNUSED_PAD src0_sel:BYTE_3 src1_sel:DWORD
	v_lshrrev_b32_e32 v45, 20, v57
	v_min_i32_e32 v47, 15, v58
	v_cmp_gt_i32_e32 vcc_lo, 16, v58
	v_lshlrev_b32_e32 v47, 3, v47
	v_cndmask_b32_e32 v45, 7, v45, vcc_lo
	v_and_b32_e32 v47, 0xf8, v47
	v_or_b32_e32 v57, v58, v45
	v_and_b32_e32 v45, 7, v45
	v_cmp_ne_u32_e32 vcc_lo, 0, v57
	v_or3_b32 v103, v47, v103, v45
	v_cndmask_b32_e32 v103, 0, v103, vcc_lo
.LBB6_2213:                             ;   in Loop: Header=BB6_130 Depth=2
	s_or_b32 exec_lo, exec_lo, s41
.LBB6_2214:                             ;   in Loop: Header=BB6_130 Depth=2
	s_or_b32 exec_lo, exec_lo, s40
	v_cmp_gt_i16_sdwa s40, v112, v113 src0_sel:BYTE_3 src1_sel:DWORD
	s_mov_b32 s13, 0
	s_and_saveexec_b32 s41, s40
	s_xor_b32 s40, exec_lo, s41
	s_cbranch_execz .LBB6_2676
; %bb.2215:                             ;   in Loop: Header=BB6_130 Depth=2
	v_cmp_eq_u16_sdwa s42, v112, v114 src0_sel:BYTE_3 src1_sel:DWORD
	s_mov_b32 s13, -1
	s_and_saveexec_b32 s41, s42
; %bb.2216:                             ;   in Loop: Header=BB6_130 Depth=2
	s_xor_b32 s13, exec_lo, -1
; %bb.2217:                             ;   in Loop: Header=BB6_130 Depth=2
	s_or_b32 exec_lo, exec_lo, s41
	s_and_b32 s13, s13, exec_lo
	s_or_saveexec_b32 s40, s40
	v_mov_b32_e32 v45, 0x7f800001
	s_xor_b32 exec_lo, exec_lo, s40
	s_cbranch_execnz .LBB6_2677
.LBB6_2218:                             ;   in Loop: Header=BB6_130 Depth=2
	s_or_b32 exec_lo, exec_lo, s40
	s_and_saveexec_b32 s40, s13
	s_cbranch_execz .LBB6_2220
.LBB6_2219:                             ;   in Loop: Header=BB6_130 Depth=2
	v_bfe_u32 v45, v112, 24, 3
	v_bfe_u32 v58, v112, 27, 4
	v_ffbh_u32_e32 v47, v45
	v_cmp_eq_u32_e32 vcc_lo, 0, v58
	v_min_u32_e32 v47, 32, v47
	v_subrev_nc_u32_e32 v57, 28, v47
	v_sub_nc_u32_e32 v47, 29, v47
	v_lshlrev_b32_sdwa v57, v57, v112 dst_sel:DWORD dst_unused:UNUSED_PAD src0_sel:DWORD src1_sel:BYTE_3
	v_cndmask_b32_e32 v47, v58, v47, vcc_lo
	v_and_b32_e32 v112, 0x80000000, v112
	v_and_b32_e32 v57, 7, v57
	v_lshl_add_u32 v47, v47, 23, 0x3b800000
	v_cndmask_b32_e32 v45, v45, v57, vcc_lo
	v_lshlrev_b32_e32 v45, 20, v45
	v_or3_b32 v45, v112, v47, v45
.LBB6_2220:                             ;   in Loop: Header=BB6_130 Depth=2
	s_or_b32 exec_lo, exec_lo, s40
	v_cmp_gt_i16_sdwa s40, v12, v113 src0_sel:BYTE_3 src1_sel:DWORD
	s_mov_b32 s13, 0
	s_and_saveexec_b32 s41, s40
	s_xor_b32 s40, exec_lo, s41
	s_cbranch_execz .LBB6_2678
; %bb.2221:                             ;   in Loop: Header=BB6_130 Depth=2
	v_cmp_eq_u16_sdwa s42, v12, v114 src0_sel:BYTE_3 src1_sel:DWORD
	s_mov_b32 s13, -1
	s_and_saveexec_b32 s41, s42
; %bb.2222:                             ;   in Loop: Header=BB6_130 Depth=2
	s_xor_b32 s13, exec_lo, -1
; %bb.2223:                             ;   in Loop: Header=BB6_130 Depth=2
	s_or_b32 exec_lo, exec_lo, s41
	s_and_b32 s13, s13, exec_lo
	s_or_saveexec_b32 s40, s40
	v_mov_b32_e32 v112, 0x7f800001
	s_xor_b32 exec_lo, exec_lo, s40
	s_cbranch_execnz .LBB6_2679
.LBB6_2224:                             ;   in Loop: Header=BB6_130 Depth=2
	s_or_b32 exec_lo, exec_lo, s40
	s_and_saveexec_b32 s40, s13
	s_cbranch_execz .LBB6_2226
.LBB6_2225:                             ;   in Loop: Header=BB6_130 Depth=2
	v_bfe_u32 v112, v12, 24, 3
	v_bfe_u32 v58, v12, 27, 4
	v_ffbh_u32_e32 v47, v112
	v_cmp_eq_u32_e32 vcc_lo, 0, v58
	v_min_u32_e32 v47, 32, v47
	v_subrev_nc_u32_e32 v57, 28, v47
	v_sub_nc_u32_e32 v47, 29, v47
	v_lshlrev_b32_sdwa v57, v57, v12 dst_sel:DWORD dst_unused:UNUSED_PAD src0_sel:DWORD src1_sel:BYTE_3
	v_cndmask_b32_e32 v47, v58, v47, vcc_lo
	v_and_b32_e32 v12, 0x80000000, v12
	v_and_b32_e32 v57, 7, v57
	v_lshl_add_u32 v47, v47, 23, 0x3b800000
	v_cndmask_b32_e32 v112, v112, v57, vcc_lo
	v_lshlrev_b32_e32 v112, 20, v112
	v_or3_b32 v112, v12, v47, v112
.LBB6_2226:                             ;   in Loop: Header=BB6_130 Depth=2
	s_or_b32 exec_lo, exec_lo, s40
	v_add_f32_e32 v112, v45, v112
	v_and_b32_e32 v12, 0x7f800000, v112
	v_cmp_ne_u32_e32 vcc_lo, 0x7f800000, v12
	v_mov_b32_e32 v12, 0x8000
	s_and_saveexec_b32 s40, vcc_lo
	s_cbranch_execz .LBB6_2234
; %bb.2227:                             ;   in Loop: Header=BB6_130 Depth=2
	v_mov_b32_e32 v12, 0
	s_mov_b32 s41, exec_lo
	v_cmpx_ne_u32_e32 0, v112
	s_cbranch_execz .LBB6_2233
; %bb.2228:                             ;   in Loop: Header=BB6_130 Depth=2
	v_bfe_u32 v45, v112, 23, 8
	v_and_b32_e32 v12, 0x7fffff, v112
	v_cmp_gt_u32_e64 s13, 0x79, v45
	v_sub_nc_u32_e32 v47, 0x78, v45
	v_cmp_eq_u32_e32 vcc_lo, 0, v45
	v_or_b32_e32 v57, 0x800000, v12
	v_cndmask_b32_e64 v47, 0, v47, s13
	v_cndmask_b32_e32 v12, v57, v12, vcc_lo
	v_cndmask_b32_e64 v47, v47, 0x77, vcc_lo
	v_lshl_add_u32 v57, 0x100000, v47, -1
	v_lshlrev_b32_e64 v58, v47, 0x80000
	v_and_b32_e32 v57, v57, v12
	v_cmp_eq_u32_e64 s13, v57, v58
	v_lshrrev_b32_e32 v57, v47, v12
	v_add_nc_u32_e32 v12, 0xffffff89, v45
	v_lshrrev_b32_e32 v45, 23, v57
	v_cndmask_b32_e64 v12, v12, 0xffffff8a, vcc_lo
	v_xor_b32_e32 v45, 1, v45
	v_add_nc_u32_e32 v12, v47, v12
	v_bfe_u32 v47, v57, 20, 1
	v_add_nc_u32_e32 v47, -1, v47
	v_cndmask_b32_e64 v47, 0, v47, s13
	s_mov_b32 s13, exec_lo
	v_add_nc_u32_e32 v47, v47, v57
	v_and_b32_e32 v47, 0xfffff, v47
	v_add_nc_u32_e32 v47, v47, v57
                                        ; implicit-def: $vgpr57
	v_cmpx_ne_u32_e64 v12, v45
	s_xor_b32 s13, exec_lo, s13
; %bb.2229:                             ;   in Loop: Header=BB6_130 Depth=2
	v_cmp_lt_u32_e32 vcc_lo, 0xffffff, v47
	v_sub_nc_u32_e32 v12, v12, v45
	v_cndmask_b32_e64 v45, 0, 1, vcc_lo
	v_add_co_ci_u32_e64 v57, null, 0, v12, vcc_lo
	v_lshrrev_b32_e32 v47, v45, v47
; %bb.2230:                             ;   in Loop: Header=BB6_130 Depth=2
	s_andn2_saveexec_b32 s13, s13
; %bb.2231:                             ;   in Loop: Header=BB6_130 Depth=2
	v_bfe_u32 v57, v47, 23, 1
; %bb.2232:                             ;   in Loop: Header=BB6_130 Depth=2
	s_or_b32 exec_lo, exec_lo, s13
	v_and_b32_sdwa v12, v112, v114 dst_sel:DWORD dst_unused:UNUSED_PAD src0_sel:BYTE_3 src1_sel:DWORD
	v_lshrrev_b32_e32 v112, 20, v47
	v_min_i32_e32 v45, 15, v57
	v_cmp_gt_i32_e32 vcc_lo, 16, v57
	v_lshlrev_b32_e32 v45, 3, v45
	v_cndmask_b32_e32 v112, 7, v112, vcc_lo
	v_and_b32_e32 v45, 0xf8, v45
	v_or_b32_e32 v47, v57, v112
	v_and_b32_e32 v112, 7, v112
	v_cmp_ne_u32_e32 vcc_lo, 0, v47
	v_or3_b32 v12, v12, v45, v112
	v_lshlrev_b32_e32 v12, 8, v12
	v_cndmask_b32_e32 v12, 0, v12, vcc_lo
.LBB6_2233:                             ;   in Loop: Header=BB6_130 Depth=2
	s_or_b32 exec_lo, exec_lo, s41
.LBB6_2234:                             ;   in Loop: Header=BB6_130 Depth=2
	s_or_b32 exec_lo, exec_lo, s40
	v_or_b32_e32 v45, v46, v42
	s_mov_b32 s40, 0
	v_cmp_gt_i16_sdwa s13, v45, v113 src0_sel:BYTE_0 src1_sel:DWORD
	s_and_saveexec_b32 s41, s13
	s_xor_b32 s13, exec_lo, s41
	s_cbranch_execz .LBB6_2680
; %bb.2235:                             ;   in Loop: Header=BB6_130 Depth=2
	v_cmp_eq_u16_sdwa s42, v45, v114 src0_sel:BYTE_0 src1_sel:DWORD
	s_mov_b32 s40, -1
	s_and_saveexec_b32 s41, s42
; %bb.2236:                             ;   in Loop: Header=BB6_130 Depth=2
	s_xor_b32 s40, exec_lo, -1
; %bb.2237:                             ;   in Loop: Header=BB6_130 Depth=2
	s_or_b32 exec_lo, exec_lo, s41
	s_and_b32 s40, s40, exec_lo
	s_or_saveexec_b32 s13, s13
	v_mov_b32_e32 v112, 0x7f800001
	s_xor_b32 exec_lo, exec_lo, s13
	s_cbranch_execnz .LBB6_2681
.LBB6_2238:                             ;   in Loop: Header=BB6_130 Depth=2
	s_or_b32 exec_lo, exec_lo, s13
	s_and_saveexec_b32 s13, s40
	s_cbranch_execz .LBB6_2240
.LBB6_2239:                             ;   in Loop: Header=BB6_130 Depth=2
	v_and_b32_e32 v112, 7, v45
	v_bfe_u32 v42, v45, 3, 4
	v_ffbh_u32_e32 v46, v112
	v_cmp_eq_u32_e32 vcc_lo, 0, v42
	v_min_u32_e32 v46, 32, v46
	v_subrev_nc_u32_e32 v47, 28, v46
	v_sub_nc_u32_e32 v46, 29, v46
	v_lshlrev_b32_e32 v47, v47, v45
	v_cndmask_b32_e32 v42, v42, v46, vcc_lo
	v_lshlrev_b32_e32 v46, 24, v45
	v_and_b32_e32 v47, 7, v47
	v_lshl_add_u32 v42, v42, 23, 0x3b800000
	v_and_b32_e32 v46, 0x80000000, v46
	v_cndmask_b32_e32 v112, v112, v47, vcc_lo
	v_lshlrev_b32_e32 v112, 20, v112
	v_or3_b32 v112, v46, v42, v112
.LBB6_2240:                             ;   in Loop: Header=BB6_130 Depth=2
	s_or_b32 exec_lo, exec_lo, s13
	v_cmp_gt_i16_sdwa s13, v13, v113 src0_sel:BYTE_0 src1_sel:DWORD
	s_mov_b32 s40, 0
	s_and_saveexec_b32 s41, s13
	s_xor_b32 s13, exec_lo, s41
	s_cbranch_execz .LBB6_2682
; %bb.2241:                             ;   in Loop: Header=BB6_130 Depth=2
	v_cmp_eq_u16_sdwa s42, v13, v114 src0_sel:BYTE_0 src1_sel:DWORD
	s_mov_b32 s40, -1
	s_and_saveexec_b32 s41, s42
; %bb.2242:                             ;   in Loop: Header=BB6_130 Depth=2
	s_xor_b32 s40, exec_lo, -1
; %bb.2243:                             ;   in Loop: Header=BB6_130 Depth=2
	s_or_b32 exec_lo, exec_lo, s41
	s_and_b32 s40, s40, exec_lo
	s_or_saveexec_b32 s13, s13
	v_mov_b32_e32 v42, 0x7f800001
	s_xor_b32 exec_lo, exec_lo, s13
	s_cbranch_execnz .LBB6_2683
.LBB6_2244:                             ;   in Loop: Header=BB6_130 Depth=2
	s_or_b32 exec_lo, exec_lo, s13
	s_and_saveexec_b32 s13, s40
	s_cbranch_execz .LBB6_2246
.LBB6_2245:                             ;   in Loop: Header=BB6_130 Depth=2
	v_and_b32_e32 v42, 7, v13
	v_bfe_u32 v46, v13, 3, 4
	v_ffbh_u32_e32 v47, v42
	v_cmp_eq_u32_e32 vcc_lo, 0, v46
	v_min_u32_e32 v47, 32, v47
	v_subrev_nc_u32_e32 v57, 28, v47
	v_sub_nc_u32_e32 v47, 29, v47
	v_lshlrev_b32_e32 v57, v57, v13
	v_cndmask_b32_e32 v46, v46, v47, vcc_lo
	v_lshlrev_b32_e32 v47, 24, v13
	v_and_b32_e32 v57, 7, v57
	v_lshl_add_u32 v46, v46, 23, 0x3b800000
	v_and_b32_e32 v47, 0x80000000, v47
	v_cndmask_b32_e32 v42, v42, v57, vcc_lo
	v_lshlrev_b32_e32 v42, 20, v42
	v_or3_b32 v42, v47, v46, v42
.LBB6_2246:                             ;   in Loop: Header=BB6_130 Depth=2
	s_or_b32 exec_lo, exec_lo, s13
	v_add_f32_e32 v42, v112, v42
	v_and_b32_e32 v112, 0x7f800000, v42
	v_cmp_ne_u32_e32 vcc_lo, 0x7f800000, v112
	v_mov_b32_e32 v112, 0x80
	s_and_saveexec_b32 s40, vcc_lo
	s_cbranch_execz .LBB6_2254
; %bb.2247:                             ;   in Loop: Header=BB6_130 Depth=2
	v_mov_b32_e32 v112, 0
	s_mov_b32 s41, exec_lo
	v_cmpx_ne_u32_e32 0, v42
	s_cbranch_execz .LBB6_2253
; %bb.2248:                             ;   in Loop: Header=BB6_130 Depth=2
	v_bfe_u32 v46, v42, 23, 8
	v_and_b32_e32 v112, 0x7fffff, v42
	v_cmp_gt_u32_e64 s13, 0x79, v46
	v_sub_nc_u32_e32 v47, 0x78, v46
	v_cmp_eq_u32_e32 vcc_lo, 0, v46
	v_or_b32_e32 v57, 0x800000, v112
	v_cndmask_b32_e64 v47, 0, v47, s13
	v_cndmask_b32_e32 v112, v57, v112, vcc_lo
	v_cndmask_b32_e64 v47, v47, 0x77, vcc_lo
	v_lshl_add_u32 v57, 0x100000, v47, -1
	v_lshlrev_b32_e64 v58, v47, 0x80000
	v_and_b32_e32 v57, v57, v112
	v_cmp_eq_u32_e64 s13, v57, v58
	v_lshrrev_b32_e32 v57, v47, v112
	v_add_nc_u32_e32 v112, 0xffffff89, v46
	v_lshrrev_b32_e32 v46, 23, v57
	v_cndmask_b32_e64 v112, v112, 0xffffff8a, vcc_lo
	v_xor_b32_e32 v46, 1, v46
	v_add_nc_u32_e32 v112, v47, v112
	v_bfe_u32 v47, v57, 20, 1
	v_add_nc_u32_e32 v47, -1, v47
	v_cndmask_b32_e64 v47, 0, v47, s13
	s_mov_b32 s13, exec_lo
	v_add_nc_u32_e32 v47, v47, v57
	v_and_b32_e32 v47, 0xfffff, v47
	v_add_nc_u32_e32 v47, v47, v57
                                        ; implicit-def: $vgpr57
	v_cmpx_ne_u32_e64 v112, v46
	s_xor_b32 s13, exec_lo, s13
; %bb.2249:                             ;   in Loop: Header=BB6_130 Depth=2
	v_cmp_lt_u32_e32 vcc_lo, 0xffffff, v47
	v_sub_nc_u32_e32 v112, v112, v46
	v_cndmask_b32_e64 v46, 0, 1, vcc_lo
	v_add_co_ci_u32_e64 v57, null, 0, v112, vcc_lo
	v_lshrrev_b32_e32 v47, v46, v47
; %bb.2250:                             ;   in Loop: Header=BB6_130 Depth=2
	s_andn2_saveexec_b32 s13, s13
; %bb.2251:                             ;   in Loop: Header=BB6_130 Depth=2
	v_bfe_u32 v57, v47, 23, 1
; %bb.2252:                             ;   in Loop: Header=BB6_130 Depth=2
	s_or_b32 exec_lo, exec_lo, s13
	v_and_b32_sdwa v112, v42, v114 dst_sel:DWORD dst_unused:UNUSED_PAD src0_sel:BYTE_3 src1_sel:DWORD
	v_lshrrev_b32_e32 v42, 20, v47
	v_min_i32_e32 v46, 15, v57
	v_cmp_gt_i32_e32 vcc_lo, 16, v57
	v_lshlrev_b32_e32 v46, 3, v46
	v_cndmask_b32_e32 v42, 7, v42, vcc_lo
	v_and_b32_e32 v46, 0xf8, v46
	v_or_b32_e32 v47, v57, v42
	v_and_b32_e32 v42, 7, v42
	v_cmp_ne_u32_e32 vcc_lo, 0, v47
	v_or3_b32 v112, v46, v112, v42
	v_cndmask_b32_e32 v112, 0, v112, vcc_lo
.LBB6_2253:                             ;   in Loop: Header=BB6_130 Depth=2
	s_or_b32 exec_lo, exec_lo, s41
.LBB6_2254:                             ;   in Loop: Header=BB6_130 Depth=2
	s_or_b32 exec_lo, exec_lo, s40
	v_cmp_gt_i16_sdwa s40, v45, v113 src0_sel:BYTE_1 src1_sel:DWORD
	s_mov_b32 s13, 0
	s_and_saveexec_b32 s41, s40
	s_xor_b32 s40, exec_lo, s41
	s_cbranch_execz .LBB6_2684
; %bb.2255:                             ;   in Loop: Header=BB6_130 Depth=2
	v_cmp_eq_u16_sdwa s42, v45, v114 src0_sel:BYTE_1 src1_sel:DWORD
	s_mov_b32 s13, -1
	s_and_saveexec_b32 s41, s42
; %bb.2256:                             ;   in Loop: Header=BB6_130 Depth=2
	s_xor_b32 s13, exec_lo, -1
; %bb.2257:                             ;   in Loop: Header=BB6_130 Depth=2
	s_or_b32 exec_lo, exec_lo, s41
	s_and_b32 s13, s13, exec_lo
	s_or_saveexec_b32 s40, s40
	v_mov_b32_e32 v42, 0x7f800001
	s_xor_b32 exec_lo, exec_lo, s40
	s_cbranch_execnz .LBB6_2685
.LBB6_2258:                             ;   in Loop: Header=BB6_130 Depth=2
	s_or_b32 exec_lo, exec_lo, s40
	s_and_saveexec_b32 s40, s13
	s_cbranch_execz .LBB6_2260
.LBB6_2259:                             ;   in Loop: Header=BB6_130 Depth=2
	v_and_b32_sdwa v42, v115, v45 dst_sel:DWORD dst_unused:UNUSED_PAD src0_sel:DWORD src1_sel:BYTE_1
	v_and_b32_e32 v46, 7, v42
	v_bfe_u32 v58, v42, 3, 4
	v_ffbh_u32_e32 v47, v46
	v_cmp_eq_u32_e32 vcc_lo, 0, v58
	v_min_u32_e32 v47, 32, v47
	v_subrev_nc_u32_e32 v57, 28, v47
	v_sub_nc_u32_e32 v47, 29, v47
	v_lshlrev_b32_e32 v42, v57, v42
	v_lshlrev_b32_sdwa v57, v116, v45 dst_sel:DWORD dst_unused:UNUSED_PAD src0_sel:DWORD src1_sel:BYTE_1
	v_cndmask_b32_e32 v47, v58, v47, vcc_lo
	v_and_b32_e32 v42, 7, v42
	v_lshl_add_u32 v47, v47, 23, 0x3b800000
	v_cndmask_b32_e32 v42, v46, v42, vcc_lo
	v_and_b32_e32 v46, 0x80000000, v57
	v_lshlrev_b32_e32 v42, 20, v42
	v_or3_b32 v42, v46, v47, v42
.LBB6_2260:                             ;   in Loop: Header=BB6_130 Depth=2
	s_or_b32 exec_lo, exec_lo, s40
	v_cmp_gt_i16_sdwa s40, v13, v113 src0_sel:BYTE_1 src1_sel:DWORD
	s_mov_b32 s13, 0
	s_and_saveexec_b32 s41, s40
	s_xor_b32 s40, exec_lo, s41
	s_cbranch_execz .LBB6_2686
; %bb.2261:                             ;   in Loop: Header=BB6_130 Depth=2
	v_cmp_eq_u16_sdwa s42, v13, v114 src0_sel:BYTE_1 src1_sel:DWORD
	s_mov_b32 s13, -1
	s_and_saveexec_b32 s41, s42
; %bb.2262:                             ;   in Loop: Header=BB6_130 Depth=2
	s_xor_b32 s13, exec_lo, -1
; %bb.2263:                             ;   in Loop: Header=BB6_130 Depth=2
	s_or_b32 exec_lo, exec_lo, s41
	s_and_b32 s13, s13, exec_lo
	s_or_saveexec_b32 s40, s40
	v_mov_b32_e32 v46, 0x7f800001
	s_xor_b32 exec_lo, exec_lo, s40
	s_cbranch_execnz .LBB6_2687
.LBB6_2264:                             ;   in Loop: Header=BB6_130 Depth=2
	s_or_b32 exec_lo, exec_lo, s40
	s_and_saveexec_b32 s40, s13
	s_cbranch_execz .LBB6_2266
.LBB6_2265:                             ;   in Loop: Header=BB6_130 Depth=2
	v_and_b32_sdwa v46, v115, v13 dst_sel:DWORD dst_unused:UNUSED_PAD src0_sel:DWORD src1_sel:BYTE_1
	v_and_b32_e32 v47, 7, v46
	v_bfe_u32 v59, v46, 3, 4
	v_ffbh_u32_e32 v57, v47
	v_cmp_eq_u32_e32 vcc_lo, 0, v59
	v_min_u32_e32 v57, 32, v57
	v_subrev_nc_u32_e32 v58, 28, v57
	v_sub_nc_u32_e32 v57, 29, v57
	v_lshlrev_b32_e32 v46, v58, v46
	v_lshlrev_b32_sdwa v58, v116, v13 dst_sel:DWORD dst_unused:UNUSED_PAD src0_sel:DWORD src1_sel:BYTE_1
	v_cndmask_b32_e32 v57, v59, v57, vcc_lo
	v_and_b32_e32 v46, 7, v46
	v_lshl_add_u32 v57, v57, 23, 0x3b800000
	v_cndmask_b32_e32 v46, v47, v46, vcc_lo
	v_and_b32_e32 v47, 0x80000000, v58
	v_lshlrev_b32_e32 v46, 20, v46
	v_or3_b32 v46, v47, v57, v46
.LBB6_2266:                             ;   in Loop: Header=BB6_130 Depth=2
	s_or_b32 exec_lo, exec_lo, s40
	v_add_f32_e32 v46, v42, v46
	v_and_b32_e32 v42, 0x7f800000, v46
	v_cmp_ne_u32_e32 vcc_lo, 0x7f800000, v42
	v_mov_b32_e32 v42, 0x8000
	s_and_saveexec_b32 s40, vcc_lo
	s_cbranch_execz .LBB6_2274
; %bb.2267:                             ;   in Loop: Header=BB6_130 Depth=2
	v_mov_b32_e32 v42, 0
	s_mov_b32 s41, exec_lo
	v_cmpx_ne_u32_e32 0, v46
	s_cbranch_execz .LBB6_2273
; %bb.2268:                             ;   in Loop: Header=BB6_130 Depth=2
	v_bfe_u32 v47, v46, 23, 8
	v_and_b32_e32 v42, 0x7fffff, v46
	v_cmp_gt_u32_e64 s13, 0x79, v47
	v_sub_nc_u32_e32 v57, 0x78, v47
	v_cmp_eq_u32_e32 vcc_lo, 0, v47
	v_or_b32_e32 v58, 0x800000, v42
	v_cndmask_b32_e64 v57, 0, v57, s13
	v_cndmask_b32_e32 v42, v58, v42, vcc_lo
	v_cndmask_b32_e64 v57, v57, 0x77, vcc_lo
	v_lshl_add_u32 v58, 0x100000, v57, -1
	v_lshlrev_b32_e64 v59, v57, 0x80000
	v_and_b32_e32 v58, v58, v42
	v_cmp_eq_u32_e64 s13, v58, v59
	v_lshrrev_b32_e32 v58, v57, v42
	v_add_nc_u32_e32 v42, 0xffffff89, v47
	v_lshrrev_b32_e32 v47, 23, v58
	v_cndmask_b32_e64 v42, v42, 0xffffff8a, vcc_lo
	v_xor_b32_e32 v47, 1, v47
	v_add_nc_u32_e32 v42, v57, v42
	v_bfe_u32 v57, v58, 20, 1
	v_add_nc_u32_e32 v57, -1, v57
	v_cndmask_b32_e64 v57, 0, v57, s13
	s_mov_b32 s13, exec_lo
	v_add_nc_u32_e32 v57, v57, v58
	v_and_b32_e32 v57, 0xfffff, v57
	v_add_nc_u32_e32 v57, v57, v58
                                        ; implicit-def: $vgpr58
	v_cmpx_ne_u32_e64 v42, v47
	s_xor_b32 s13, exec_lo, s13
; %bb.2269:                             ;   in Loop: Header=BB6_130 Depth=2
	v_cmp_lt_u32_e32 vcc_lo, 0xffffff, v57
	v_sub_nc_u32_e32 v42, v42, v47
	v_cndmask_b32_e64 v47, 0, 1, vcc_lo
	v_add_co_ci_u32_e64 v58, null, 0, v42, vcc_lo
	v_lshrrev_b32_e32 v57, v47, v57
; %bb.2270:                             ;   in Loop: Header=BB6_130 Depth=2
	s_andn2_saveexec_b32 s13, s13
; %bb.2271:                             ;   in Loop: Header=BB6_130 Depth=2
	v_bfe_u32 v58, v57, 23, 1
; %bb.2272:                             ;   in Loop: Header=BB6_130 Depth=2
	s_or_b32 exec_lo, exec_lo, s13
	v_and_b32_sdwa v42, v46, v114 dst_sel:DWORD dst_unused:UNUSED_PAD src0_sel:BYTE_3 src1_sel:DWORD
	v_lshrrev_b32_e32 v46, 20, v57
	v_min_i32_e32 v47, 15, v58
	v_cmp_gt_i32_e32 vcc_lo, 16, v58
	v_lshlrev_b32_e32 v47, 3, v47
	v_cndmask_b32_e32 v46, 7, v46, vcc_lo
	v_and_b32_e32 v47, 0xf8, v47
	v_or_b32_e32 v57, v58, v46
	v_and_b32_e32 v46, 7, v46
	v_cmp_ne_u32_e32 vcc_lo, 0, v57
	v_or3_b32 v42, v42, v47, v46
	v_lshlrev_b32_e32 v42, 8, v42
	v_cndmask_b32_e32 v42, 0, v42, vcc_lo
.LBB6_2273:                             ;   in Loop: Header=BB6_130 Depth=2
	s_or_b32 exec_lo, exec_lo, s41
.LBB6_2274:                             ;   in Loop: Header=BB6_130 Depth=2
	s_or_b32 exec_lo, exec_lo, s40
	v_or_b32_e32 v44, v44, v41
	s_mov_b32 s40, 0
	v_cmp_gt_i16_sdwa s13, v44, v113 src0_sel:BYTE_0 src1_sel:DWORD
	s_and_saveexec_b32 s41, s13
	s_xor_b32 s13, exec_lo, s41
	s_cbranch_execz .LBB6_2688
; %bb.2275:                             ;   in Loop: Header=BB6_130 Depth=2
	v_cmp_eq_u16_sdwa s42, v44, v114 src0_sel:BYTE_0 src1_sel:DWORD
	s_mov_b32 s40, -1
	s_and_saveexec_b32 s41, s42
; %bb.2276:                             ;   in Loop: Header=BB6_130 Depth=2
	s_xor_b32 s40, exec_lo, -1
; %bb.2277:                             ;   in Loop: Header=BB6_130 Depth=2
	s_or_b32 exec_lo, exec_lo, s41
	s_and_b32 s40, s40, exec_lo
	s_or_saveexec_b32 s13, s13
	v_mov_b32_e32 v41, 0x7f800001
	s_xor_b32 exec_lo, exec_lo, s13
	s_cbranch_execnz .LBB6_2689
.LBB6_2278:                             ;   in Loop: Header=BB6_130 Depth=2
	s_or_b32 exec_lo, exec_lo, s13
	v_lshl_or_b32 v44, v44, 16, v45
	s_and_saveexec_b32 s13, s40
	s_cbranch_execz .LBB6_2280
.LBB6_2279:                             ;   in Loop: Header=BB6_130 Depth=2
	v_bfe_u32 v41, v44, 16, 3
	v_bfe_u32 v45, v44, 19, 4
	v_ffbh_u32_e32 v46, v41
	v_cmp_eq_u32_e32 vcc_lo, 0, v45
	v_min_u32_e32 v46, 32, v46
	v_subrev_nc_u32_e32 v47, 28, v46
	v_sub_nc_u32_e32 v46, 29, v46
	v_lshlrev_b32_sdwa v47, v47, v44 dst_sel:DWORD dst_unused:UNUSED_PAD src0_sel:DWORD src1_sel:WORD_1
	v_cndmask_b32_e32 v45, v45, v46, vcc_lo
	v_lshlrev_b32_e32 v46, 8, v44
	v_and_b32_e32 v47, 7, v47
	v_lshl_add_u32 v45, v45, 23, 0x3b800000
	v_and_b32_e32 v46, 0x80000000, v46
	v_cndmask_b32_e32 v41, v41, v47, vcc_lo
	v_lshlrev_b32_e32 v41, 20, v41
	v_or3_b32 v41, v46, v45, v41
.LBB6_2280:                             ;   in Loop: Header=BB6_130 Depth=2
	s_or_b32 exec_lo, exec_lo, s13
	v_and_b32_sdwa v46, v13, v117 dst_sel:DWORD dst_unused:UNUSED_PAD src0_sel:WORD_1 src1_sel:DWORD
	s_mov_b32 s40, 0
	s_mov_b32 s13, exec_lo
	v_cmpx_lt_i16_e32 0x7f, v46
	s_xor_b32 s13, exec_lo, s13
	s_cbranch_execz .LBB6_2690
; %bb.2281:                             ;   in Loop: Header=BB6_130 Depth=2
	s_mov_b32 s40, -1
	s_mov_b32 s41, exec_lo
	v_cmpx_eq_u16_e32 0x80, v46
; %bb.2282:                             ;   in Loop: Header=BB6_130 Depth=2
	s_xor_b32 s40, exec_lo, -1
; %bb.2283:                             ;   in Loop: Header=BB6_130 Depth=2
	s_or_b32 exec_lo, exec_lo, s41
	s_and_b32 s40, s40, exec_lo
                                        ; implicit-def: $vgpr46
	s_or_saveexec_b32 s13, s13
	v_mov_b32_e32 v45, 0x7f800001
	s_xor_b32 exec_lo, exec_lo, s13
	s_cbranch_execnz .LBB6_2691
.LBB6_2284:                             ;   in Loop: Header=BB6_130 Depth=2
	s_or_b32 exec_lo, exec_lo, s13
	s_and_saveexec_b32 s13, s40
	s_cbranch_execz .LBB6_2286
.LBB6_2285:                             ;   in Loop: Header=BB6_130 Depth=2
	v_bfe_u32 v45, v13, 16, 3
	v_bfe_u32 v46, v13, 19, 4
	v_ffbh_u32_e32 v47, v45
	v_cmp_eq_u32_e32 vcc_lo, 0, v46
	v_min_u32_e32 v47, 32, v47
	v_subrev_nc_u32_e32 v57, 28, v47
	v_sub_nc_u32_e32 v47, 29, v47
	v_lshlrev_b32_sdwa v57, v57, v13 dst_sel:DWORD dst_unused:UNUSED_PAD src0_sel:DWORD src1_sel:WORD_1
	v_cndmask_b32_e32 v46, v46, v47, vcc_lo
	v_lshlrev_b32_e32 v47, 8, v13
	v_and_b32_e32 v57, 7, v57
	v_lshl_add_u32 v46, v46, 23, 0x3b800000
	v_and_b32_e32 v47, 0x80000000, v47
	v_cndmask_b32_e32 v45, v45, v57, vcc_lo
	v_lshlrev_b32_e32 v45, 20, v45
	v_or3_b32 v45, v47, v46, v45
.LBB6_2286:                             ;   in Loop: Header=BB6_130 Depth=2
	s_or_b32 exec_lo, exec_lo, s13
	v_add_f32_e32 v45, v41, v45
	v_and_b32_e32 v41, 0x7f800000, v45
	v_cmp_ne_u32_e32 vcc_lo, 0x7f800000, v41
	v_mov_b32_e32 v41, 0x80
	s_and_saveexec_b32 s40, vcc_lo
	s_cbranch_execz .LBB6_2294
; %bb.2287:                             ;   in Loop: Header=BB6_130 Depth=2
	v_mov_b32_e32 v41, 0
	s_mov_b32 s41, exec_lo
	v_cmpx_ne_u32_e32 0, v45
	s_cbranch_execz .LBB6_2293
; %bb.2288:                             ;   in Loop: Header=BB6_130 Depth=2
	v_bfe_u32 v46, v45, 23, 8
	v_and_b32_e32 v41, 0x7fffff, v45
	v_cmp_gt_u32_e64 s13, 0x79, v46
	v_sub_nc_u32_e32 v47, 0x78, v46
	v_cmp_eq_u32_e32 vcc_lo, 0, v46
	v_or_b32_e32 v57, 0x800000, v41
	v_cndmask_b32_e64 v47, 0, v47, s13
	v_cndmask_b32_e32 v41, v57, v41, vcc_lo
	v_cndmask_b32_e64 v47, v47, 0x77, vcc_lo
	v_lshl_add_u32 v57, 0x100000, v47, -1
	v_lshlrev_b32_e64 v58, v47, 0x80000
	v_and_b32_e32 v57, v57, v41
	v_cmp_eq_u32_e64 s13, v57, v58
	v_lshrrev_b32_e32 v57, v47, v41
	v_add_nc_u32_e32 v41, 0xffffff89, v46
	v_lshrrev_b32_e32 v46, 23, v57
	v_cndmask_b32_e64 v41, v41, 0xffffff8a, vcc_lo
	v_xor_b32_e32 v46, 1, v46
	v_add_nc_u32_e32 v41, v47, v41
	v_bfe_u32 v47, v57, 20, 1
	v_add_nc_u32_e32 v47, -1, v47
	v_cndmask_b32_e64 v47, 0, v47, s13
	s_mov_b32 s13, exec_lo
	v_add_nc_u32_e32 v47, v47, v57
	v_and_b32_e32 v47, 0xfffff, v47
	v_add_nc_u32_e32 v47, v47, v57
                                        ; implicit-def: $vgpr57
	v_cmpx_ne_u32_e64 v41, v46
	s_xor_b32 s13, exec_lo, s13
; %bb.2289:                             ;   in Loop: Header=BB6_130 Depth=2
	v_cmp_lt_u32_e32 vcc_lo, 0xffffff, v47
	v_sub_nc_u32_e32 v41, v41, v46
	v_cndmask_b32_e64 v46, 0, 1, vcc_lo
	v_add_co_ci_u32_e64 v57, null, 0, v41, vcc_lo
	v_lshrrev_b32_e32 v47, v46, v47
; %bb.2290:                             ;   in Loop: Header=BB6_130 Depth=2
	s_andn2_saveexec_b32 s13, s13
; %bb.2291:                             ;   in Loop: Header=BB6_130 Depth=2
	v_bfe_u32 v57, v47, 23, 1
; %bb.2292:                             ;   in Loop: Header=BB6_130 Depth=2
	s_or_b32 exec_lo, exec_lo, s13
	v_and_b32_sdwa v41, v45, v114 dst_sel:DWORD dst_unused:UNUSED_PAD src0_sel:BYTE_3 src1_sel:DWORD
	v_lshrrev_b32_e32 v45, 20, v47
	v_min_i32_e32 v46, 15, v57
	v_cmp_gt_i32_e32 vcc_lo, 16, v57
	v_lshlrev_b32_e32 v46, 3, v46
	v_cndmask_b32_e32 v45, 7, v45, vcc_lo
	v_and_b32_e32 v46, 0xf8, v46
	v_or_b32_e32 v47, v57, v45
	v_and_b32_e32 v45, 7, v45
	v_cmp_ne_u32_e32 vcc_lo, 0, v47
	v_or3_b32 v41, v46, v41, v45
	v_cndmask_b32_e32 v41, 0, v41, vcc_lo
.LBB6_2293:                             ;   in Loop: Header=BB6_130 Depth=2
	s_or_b32 exec_lo, exec_lo, s41
.LBB6_2294:                             ;   in Loop: Header=BB6_130 Depth=2
	s_or_b32 exec_lo, exec_lo, s40
	v_cmp_gt_i16_sdwa s40, v44, v113 src0_sel:BYTE_3 src1_sel:DWORD
	s_mov_b32 s13, 0
	s_and_saveexec_b32 s41, s40
	s_xor_b32 s40, exec_lo, s41
	s_cbranch_execz .LBB6_2692
; %bb.2295:                             ;   in Loop: Header=BB6_130 Depth=2
	v_cmp_eq_u16_sdwa s42, v44, v114 src0_sel:BYTE_3 src1_sel:DWORD
	s_mov_b32 s13, -1
	s_and_saveexec_b32 s41, s42
; %bb.2296:                             ;   in Loop: Header=BB6_130 Depth=2
	s_xor_b32 s13, exec_lo, -1
; %bb.2297:                             ;   in Loop: Header=BB6_130 Depth=2
	s_or_b32 exec_lo, exec_lo, s41
	s_and_b32 s13, s13, exec_lo
	s_or_saveexec_b32 s40, s40
	v_mov_b32_e32 v45, 0x7f800001
	s_xor_b32 exec_lo, exec_lo, s40
	s_cbranch_execnz .LBB6_2693
.LBB6_2298:                             ;   in Loop: Header=BB6_130 Depth=2
	s_or_b32 exec_lo, exec_lo, s40
	s_and_saveexec_b32 s40, s13
	s_cbranch_execz .LBB6_2300
.LBB6_2299:                             ;   in Loop: Header=BB6_130 Depth=2
	v_bfe_u32 v45, v44, 24, 3
	v_bfe_u32 v57, v44, 27, 4
	v_ffbh_u32_e32 v46, v45
	v_cmp_eq_u32_e32 vcc_lo, 0, v57
	v_min_u32_e32 v46, 32, v46
	v_subrev_nc_u32_e32 v47, 28, v46
	v_sub_nc_u32_e32 v46, 29, v46
	v_lshlrev_b32_sdwa v47, v47, v44 dst_sel:DWORD dst_unused:UNUSED_PAD src0_sel:DWORD src1_sel:BYTE_3
	v_cndmask_b32_e32 v46, v57, v46, vcc_lo
	v_and_b32_e32 v44, 0x80000000, v44
	v_and_b32_e32 v47, 7, v47
	v_lshl_add_u32 v46, v46, 23, 0x3b800000
	v_cndmask_b32_e32 v45, v45, v47, vcc_lo
	v_lshlrev_b32_e32 v45, 20, v45
	v_or3_b32 v45, v44, v46, v45
.LBB6_2300:                             ;   in Loop: Header=BB6_130 Depth=2
	s_or_b32 exec_lo, exec_lo, s40
	v_cmp_gt_i16_sdwa s40, v13, v113 src0_sel:BYTE_3 src1_sel:DWORD
	s_mov_b32 s13, 0
	s_and_saveexec_b32 s41, s40
	s_xor_b32 s40, exec_lo, s41
	s_cbranch_execz .LBB6_2694
; %bb.2301:                             ;   in Loop: Header=BB6_130 Depth=2
	v_cmp_eq_u16_sdwa s42, v13, v114 src0_sel:BYTE_3 src1_sel:DWORD
	s_mov_b32 s13, -1
	s_and_saveexec_b32 s41, s42
; %bb.2302:                             ;   in Loop: Header=BB6_130 Depth=2
	s_xor_b32 s13, exec_lo, -1
; %bb.2303:                             ;   in Loop: Header=BB6_130 Depth=2
	s_or_b32 exec_lo, exec_lo, s41
	s_and_b32 s13, s13, exec_lo
	s_or_saveexec_b32 s40, s40
	v_mov_b32_e32 v44, 0x7f800001
	s_xor_b32 exec_lo, exec_lo, s40
	s_cbranch_execnz .LBB6_2695
.LBB6_2304:                             ;   in Loop: Header=BB6_130 Depth=2
	s_or_b32 exec_lo, exec_lo, s40
	s_and_saveexec_b32 s40, s13
	s_cbranch_execz .LBB6_2306
.LBB6_2305:                             ;   in Loop: Header=BB6_130 Depth=2
	v_bfe_u32 v44, v13, 24, 3
	v_bfe_u32 v57, v13, 27, 4
	v_ffbh_u32_e32 v46, v44
	v_cmp_eq_u32_e32 vcc_lo, 0, v57
	v_min_u32_e32 v46, 32, v46
	v_subrev_nc_u32_e32 v47, 28, v46
	v_sub_nc_u32_e32 v46, 29, v46
	v_lshlrev_b32_sdwa v47, v47, v13 dst_sel:DWORD dst_unused:UNUSED_PAD src0_sel:DWORD src1_sel:BYTE_3
	v_cndmask_b32_e32 v46, v57, v46, vcc_lo
	v_and_b32_e32 v13, 0x80000000, v13
	v_and_b32_e32 v47, 7, v47
	v_lshl_add_u32 v46, v46, 23, 0x3b800000
	v_cndmask_b32_e32 v44, v44, v47, vcc_lo
	v_lshlrev_b32_e32 v44, 20, v44
	v_or3_b32 v44, v13, v46, v44
.LBB6_2306:                             ;   in Loop: Header=BB6_130 Depth=2
	s_or_b32 exec_lo, exec_lo, s40
	v_add_f32_e32 v13, v45, v44
	v_and_b32_e32 v44, 0x7f800000, v13
	v_cmp_ne_u32_e32 vcc_lo, 0x7f800000, v44
	v_mov_b32_e32 v44, 0x8000
	s_and_saveexec_b32 s40, vcc_lo
	s_cbranch_execz .LBB6_129
; %bb.2307:                             ;   in Loop: Header=BB6_130 Depth=2
	v_mov_b32_e32 v44, 0
	s_mov_b32 s41, exec_lo
	v_cmpx_ne_u32_e32 0, v13
	s_cbranch_execz .LBB6_128
; %bb.2308:                             ;   in Loop: Header=BB6_130 Depth=2
	v_bfe_u32 v45, v13, 23, 8
	v_and_b32_e32 v44, 0x7fffff, v13
	v_cmp_gt_u32_e64 s13, 0x79, v45
	v_sub_nc_u32_e32 v46, 0x78, v45
	v_cmp_eq_u32_e32 vcc_lo, 0, v45
	v_or_b32_e32 v47, 0x800000, v44
	v_cndmask_b32_e64 v46, 0, v46, s13
	v_cndmask_b32_e32 v44, v47, v44, vcc_lo
	v_cndmask_b32_e64 v46, v46, 0x77, vcc_lo
	v_lshl_add_u32 v47, 0x100000, v46, -1
	v_lshlrev_b32_e64 v57, v46, 0x80000
	v_and_b32_e32 v47, v47, v44
	v_cmp_eq_u32_e64 s13, v47, v57
	v_lshrrev_b32_e32 v47, v46, v44
	v_add_nc_u32_e32 v44, 0xffffff89, v45
	v_lshrrev_b32_e32 v45, 23, v47
	v_cndmask_b32_e64 v44, v44, 0xffffff8a, vcc_lo
	v_xor_b32_e32 v45, 1, v45
	v_add_nc_u32_e32 v44, v46, v44
	v_bfe_u32 v46, v47, 20, 1
	v_add_nc_u32_e32 v46, -1, v46
	v_cndmask_b32_e64 v46, 0, v46, s13
	s_mov_b32 s13, exec_lo
	v_add_nc_u32_e32 v46, v46, v47
	v_and_b32_e32 v46, 0xfffff, v46
	v_add_nc_u32_e32 v46, v46, v47
                                        ; implicit-def: $vgpr47
	v_cmpx_ne_u32_e64 v44, v45
	s_xor_b32 s13, exec_lo, s13
; %bb.2309:                             ;   in Loop: Header=BB6_130 Depth=2
	v_cmp_lt_u32_e32 vcc_lo, 0xffffff, v46
	v_sub_nc_u32_e32 v44, v44, v45
	v_cndmask_b32_e64 v45, 0, 1, vcc_lo
	v_add_co_ci_u32_e64 v47, null, 0, v44, vcc_lo
	v_lshrrev_b32_e32 v46, v45, v46
; %bb.2310:                             ;   in Loop: Header=BB6_130 Depth=2
	s_andn2_saveexec_b32 s13, s13
	s_cbranch_execz .LBB6_127
; %bb.2311:                             ;   in Loop: Header=BB6_130 Depth=2
	v_bfe_u32 v47, v46, 23, 1
	s_branch .LBB6_127
.LBB6_2312:                             ;   in Loop: Header=BB6_130 Depth=2
	s_or_saveexec_b32 s41, s41
	v_mov_b32_e32 v0, 0x7f800001
	s_xor_b32 exec_lo, exec_lo, s41
	s_cbranch_execz .LBB6_142
.LBB6_2313:                             ;   in Loop: Header=BB6_130 Depth=2
	v_cmp_ne_u16_sdwa s42, v10, v52 src0_sel:BYTE_0 src1_sel:DWORD
	v_mov_b32_e32 v0, 0
	s_andn2_b32 s13, s13, exec_lo
	s_and_b32 s42, s42, exec_lo
	s_or_b32 s13, s13, s42
	s_or_b32 exec_lo, exec_lo, s41
	s_and_saveexec_b32 s41, s13
	s_cbranch_execnz .LBB6_143
	s_branch .LBB6_144
.LBB6_2314:                             ;   in Loop: Header=BB6_130 Depth=2
	s_or_saveexec_b32 s41, s41
	v_mov_b32_e32 v0, 0x7f800001
	s_xor_b32 exec_lo, exec_lo, s41
	s_cbranch_execz .LBB6_156
.LBB6_2315:                             ;   in Loop: Header=BB6_130 Depth=2
	v_cmp_ne_u16_sdwa s42, v10, v52 src0_sel:BYTE_1 src1_sel:DWORD
	v_mov_b32_e32 v0, 0
	s_andn2_b32 s13, s13, exec_lo
	s_and_b32 s42, s42, exec_lo
	s_or_b32 s13, s13, s42
	s_or_b32 exec_lo, exec_lo, s41
	s_and_saveexec_b32 s41, s13
	s_cbranch_execnz .LBB6_157
	s_branch .LBB6_158
.LBB6_2316:                             ;   in Loop: Header=BB6_130 Depth=2
	s_or_saveexec_b32 s41, s41
	v_mov_b32_e32 v0, 0x7f800001
	s_xor_b32 exec_lo, exec_lo, s41
	s_cbranch_execz .LBB6_170
.LBB6_2317:                             ;   in Loop: Header=BB6_130 Depth=2
	v_cmp_ne_u16_e32 vcc_lo, 0, v1
	v_mov_b32_e32 v0, 0
	s_andn2_b32 s13, s13, exec_lo
	s_and_b32 s42, vcc_lo, exec_lo
	s_or_b32 s13, s13, s42
	s_or_b32 exec_lo, exec_lo, s41
	s_and_saveexec_b32 s41, s13
	s_cbranch_execnz .LBB6_171
	s_branch .LBB6_172
.LBB6_2318:                             ;   in Loop: Header=BB6_130 Depth=2
	s_or_saveexec_b32 s41, s41
	v_mov_b32_e32 v0, 0x7f800001
	s_xor_b32 exec_lo, exec_lo, s41
	s_cbranch_execz .LBB6_184
.LBB6_2319:                             ;   in Loop: Header=BB6_130 Depth=2
	v_cmp_ne_u16_sdwa s42, v10, v52 src0_sel:BYTE_3 src1_sel:DWORD
	v_mov_b32_e32 v0, 0
	s_andn2_b32 s13, s13, exec_lo
	s_and_b32 s42, s42, exec_lo
	s_or_b32 s13, s13, s42
	s_or_b32 exec_lo, exec_lo, s41
	s_and_saveexec_b32 s41, s13
	s_cbranch_execnz .LBB6_185
	s_branch .LBB6_186
.LBB6_2320:                             ;   in Loop: Header=BB6_130 Depth=2
	s_or_saveexec_b32 s41, s41
	v_mov_b32_e32 v0, 0x7f800001
	s_xor_b32 exec_lo, exec_lo, s41
	s_cbranch_execz .LBB6_198
.LBB6_2321:                             ;   in Loop: Header=BB6_130 Depth=2
	v_cmp_ne_u16_sdwa s42, v11, v52 src0_sel:BYTE_0 src1_sel:DWORD
	v_mov_b32_e32 v0, 0
	s_andn2_b32 s13, s13, exec_lo
	s_and_b32 s42, s42, exec_lo
	s_or_b32 s13, s13, s42
	s_or_b32 exec_lo, exec_lo, s41
	s_and_saveexec_b32 s41, s13
	s_cbranch_execnz .LBB6_199
	s_branch .LBB6_200
.LBB6_2322:                             ;   in Loop: Header=BB6_130 Depth=2
	s_or_saveexec_b32 s41, s41
	v_mov_b32_e32 v0, 0x7f800001
	s_xor_b32 exec_lo, exec_lo, s41
	s_cbranch_execz .LBB6_212
.LBB6_2323:                             ;   in Loop: Header=BB6_130 Depth=2
	v_cmp_ne_u16_sdwa s42, v11, v52 src0_sel:BYTE_1 src1_sel:DWORD
	v_mov_b32_e32 v0, 0
	s_andn2_b32 s13, s13, exec_lo
	s_and_b32 s42, s42, exec_lo
	s_or_b32 s13, s13, s42
	s_or_b32 exec_lo, exec_lo, s41
	s_and_saveexec_b32 s41, s13
	s_cbranch_execnz .LBB6_213
	s_branch .LBB6_214
.LBB6_2324:                             ;   in Loop: Header=BB6_130 Depth=2
	s_or_saveexec_b32 s41, s41
	v_mov_b32_e32 v0, 0x7f800001
	s_xor_b32 exec_lo, exec_lo, s41
	s_cbranch_execz .LBB6_226
.LBB6_2325:                             ;   in Loop: Header=BB6_130 Depth=2
	v_cmp_ne_u16_e32 vcc_lo, 0, v1
	v_mov_b32_e32 v0, 0
	s_andn2_b32 s13, s13, exec_lo
	s_and_b32 s42, vcc_lo, exec_lo
	s_or_b32 s13, s13, s42
	s_or_b32 exec_lo, exec_lo, s41
	s_and_saveexec_b32 s41, s13
	s_cbranch_execnz .LBB6_227
	s_branch .LBB6_228
.LBB6_2326:                             ;   in Loop: Header=BB6_130 Depth=2
	s_or_saveexec_b32 s41, s41
	v_mov_b32_e32 v0, 0x7f800001
	s_xor_b32 exec_lo, exec_lo, s41
	s_cbranch_execz .LBB6_240
.LBB6_2327:                             ;   in Loop: Header=BB6_130 Depth=2
	v_cmp_ne_u16_sdwa s42, v11, v52 src0_sel:BYTE_3 src1_sel:DWORD
	v_mov_b32_e32 v0, 0
	s_andn2_b32 s13, s13, exec_lo
	s_and_b32 s42, s42, exec_lo
	s_or_b32 s13, s13, s42
	s_or_b32 exec_lo, exec_lo, s41
	s_and_saveexec_b32 s41, s13
	s_cbranch_execnz .LBB6_241
	s_branch .LBB6_242
.LBB6_2328:                             ;   in Loop: Header=BB6_130 Depth=2
	s_or_saveexec_b32 s41, s41
	v_mov_b32_e32 v0, 0x7f800001
	s_xor_b32 exec_lo, exec_lo, s41
	s_cbranch_execz .LBB6_254
.LBB6_2329:                             ;   in Loop: Header=BB6_130 Depth=2
	v_cmp_ne_u16_sdwa s42, v12, v52 src0_sel:BYTE_0 src1_sel:DWORD
	v_mov_b32_e32 v0, 0
	s_andn2_b32 s13, s13, exec_lo
	s_and_b32 s42, s42, exec_lo
	s_or_b32 s13, s13, s42
	s_or_b32 exec_lo, exec_lo, s41
	s_and_saveexec_b32 s41, s13
	s_cbranch_execnz .LBB6_255
	s_branch .LBB6_256
.LBB6_2330:                             ;   in Loop: Header=BB6_130 Depth=2
	s_or_saveexec_b32 s41, s41
	v_mov_b32_e32 v0, 0x7f800001
	s_xor_b32 exec_lo, exec_lo, s41
	s_cbranch_execz .LBB6_268
.LBB6_2331:                             ;   in Loop: Header=BB6_130 Depth=2
	v_cmp_ne_u16_sdwa s42, v12, v52 src0_sel:BYTE_1 src1_sel:DWORD
	v_mov_b32_e32 v0, 0
	s_andn2_b32 s13, s13, exec_lo
	s_and_b32 s42, s42, exec_lo
	s_or_b32 s13, s13, s42
	s_or_b32 exec_lo, exec_lo, s41
	s_and_saveexec_b32 s41, s13
	s_cbranch_execnz .LBB6_269
	s_branch .LBB6_270
.LBB6_2332:                             ;   in Loop: Header=BB6_130 Depth=2
	s_or_saveexec_b32 s41, s41
	v_mov_b32_e32 v2, 0x7f800001
	s_xor_b32 exec_lo, exec_lo, s41
	s_cbranch_execz .LBB6_282
.LBB6_2333:                             ;   in Loop: Header=BB6_130 Depth=2
	v_cmp_ne_u16_e32 vcc_lo, 0, v3
	v_mov_b32_e32 v2, 0
	s_andn2_b32 s13, s13, exec_lo
	s_and_b32 s42, vcc_lo, exec_lo
	s_or_b32 s13, s13, s42
	s_or_b32 exec_lo, exec_lo, s41
	s_and_saveexec_b32 s41, s13
	s_cbranch_execnz .LBB6_283
	s_branch .LBB6_284
.LBB6_2334:                             ;   in Loop: Header=BB6_130 Depth=2
	s_or_saveexec_b32 s41, s41
	v_mov_b32_e32 v2, 0x7f800001
	s_xor_b32 exec_lo, exec_lo, s41
	s_cbranch_execz .LBB6_296
.LBB6_2335:                             ;   in Loop: Header=BB6_130 Depth=2
	v_cmp_ne_u16_sdwa s42, v12, v52 src0_sel:BYTE_3 src1_sel:DWORD
	v_mov_b32_e32 v2, 0
	s_andn2_b32 s13, s13, exec_lo
	s_and_b32 s42, s42, exec_lo
	s_or_b32 s13, s13, s42
	s_or_b32 exec_lo, exec_lo, s41
	s_and_saveexec_b32 s41, s13
	s_cbranch_execnz .LBB6_297
	s_branch .LBB6_298
.LBB6_2336:                             ;   in Loop: Header=BB6_130 Depth=2
	s_or_saveexec_b32 s41, s41
	v_mov_b32_e32 v2, 0x7f800001
	s_xor_b32 exec_lo, exec_lo, s41
	s_cbranch_execz .LBB6_310
.LBB6_2337:                             ;   in Loop: Header=BB6_130 Depth=2
	v_cmp_ne_u16_sdwa s42, v13, v52 src0_sel:BYTE_0 src1_sel:DWORD
	v_mov_b32_e32 v2, 0
	s_andn2_b32 s13, s13, exec_lo
	s_and_b32 s42, s42, exec_lo
	s_or_b32 s13, s13, s42
	s_or_b32 exec_lo, exec_lo, s41
	s_and_saveexec_b32 s41, s13
	s_cbranch_execnz .LBB6_311
	s_branch .LBB6_312
.LBB6_2338:                             ;   in Loop: Header=BB6_130 Depth=2
	s_or_saveexec_b32 s41, s41
	v_mov_b32_e32 v2, 0x7f800001
	s_xor_b32 exec_lo, exec_lo, s41
	s_cbranch_execz .LBB6_324
.LBB6_2339:                             ;   in Loop: Header=BB6_130 Depth=2
	v_cmp_ne_u16_sdwa s42, v13, v52 src0_sel:BYTE_1 src1_sel:DWORD
	v_mov_b32_e32 v2, 0
	s_andn2_b32 s13, s13, exec_lo
	s_and_b32 s42, s42, exec_lo
	s_or_b32 s13, s13, s42
	s_or_b32 exec_lo, exec_lo, s41
	s_and_saveexec_b32 s41, s13
	s_cbranch_execnz .LBB6_325
	s_branch .LBB6_326
.LBB6_2340:                             ;   in Loop: Header=BB6_130 Depth=2
	s_or_saveexec_b32 s41, s41
	v_mov_b32_e32 v2, 0x7f800001
	s_xor_b32 exec_lo, exec_lo, s41
	s_cbranch_execz .LBB6_338
.LBB6_2341:                             ;   in Loop: Header=BB6_130 Depth=2
	v_cmp_ne_u16_e32 vcc_lo, 0, v3
	v_mov_b32_e32 v2, 0
	s_andn2_b32 s13, s13, exec_lo
	s_and_b32 s42, vcc_lo, exec_lo
	s_or_b32 s13, s13, s42
	s_or_b32 exec_lo, exec_lo, s41
	s_and_saveexec_b32 s41, s13
	s_cbranch_execnz .LBB6_339
	s_branch .LBB6_340
.LBB6_2342:                             ;   in Loop: Header=BB6_130 Depth=2
	s_or_saveexec_b32 s41, s41
	v_mov_b32_e32 v2, 0x7f800001
	s_xor_b32 exec_lo, exec_lo, s41
	s_cbranch_execz .LBB6_352
.LBB6_2343:                             ;   in Loop: Header=BB6_130 Depth=2
	v_cmp_ne_u16_sdwa s42, v13, v52 src0_sel:BYTE_3 src1_sel:DWORD
	v_mov_b32_e32 v2, 0
	s_andn2_b32 s13, s13, exec_lo
	s_and_b32 s42, s42, exec_lo
	s_or_b32 s13, s13, s42
	s_or_b32 exec_lo, exec_lo, s41
	s_and_saveexec_b32 s41, s13
	s_cbranch_execnz .LBB6_353
	s_branch .LBB6_354
.LBB6_2344:                             ;   in Loop: Header=BB6_130 Depth=2
	s_or_saveexec_b32 s41, s41
	v_mov_b32_e32 v2, 0x7f800001
	s_xor_b32 exec_lo, exec_lo, s41
	s_cbranch_execz .LBB6_366
.LBB6_2345:                             ;   in Loop: Header=BB6_130 Depth=2
	v_cmp_ne_u16_sdwa s42, v10, v52 src0_sel:BYTE_0 src1_sel:DWORD
	v_mov_b32_e32 v2, 0
	s_andn2_b32 s13, s13, exec_lo
	s_and_b32 s42, s42, exec_lo
	s_or_b32 s13, s13, s42
	s_or_b32 exec_lo, exec_lo, s41
	s_and_saveexec_b32 s41, s13
	s_cbranch_execnz .LBB6_367
	s_branch .LBB6_368
.LBB6_2346:                             ;   in Loop: Header=BB6_130 Depth=2
	s_or_saveexec_b32 s41, s41
	v_mov_b32_e32 v2, 0x7f800001
	s_xor_b32 exec_lo, exec_lo, s41
	s_cbranch_execz .LBB6_380
.LBB6_2347:                             ;   in Loop: Header=BB6_130 Depth=2
	v_cmp_ne_u16_sdwa s42, v10, v52 src0_sel:BYTE_1 src1_sel:DWORD
	v_mov_b32_e32 v2, 0
	s_andn2_b32 s13, s13, exec_lo
	s_and_b32 s42, s42, exec_lo
	s_or_b32 s13, s13, s42
	s_or_b32 exec_lo, exec_lo, s41
	s_and_saveexec_b32 s41, s13
	s_cbranch_execnz .LBB6_381
	s_branch .LBB6_382
.LBB6_2348:                             ;   in Loop: Header=BB6_130 Depth=2
	s_or_saveexec_b32 s41, s41
	v_mov_b32_e32 v2, 0x7f800001
	s_xor_b32 exec_lo, exec_lo, s41
	s_cbranch_execz .LBB6_394
.LBB6_2349:                             ;   in Loop: Header=BB6_130 Depth=2
	v_cmp_ne_u16_e32 vcc_lo, 0, v3
	v_mov_b32_e32 v2, 0
	s_andn2_b32 s13, s13, exec_lo
	s_and_b32 s42, vcc_lo, exec_lo
	s_or_b32 s13, s13, s42
	s_or_b32 exec_lo, exec_lo, s41
	s_and_saveexec_b32 s41, s13
	s_cbranch_execnz .LBB6_395
	s_branch .LBB6_396
.LBB6_2350:                             ;   in Loop: Header=BB6_130 Depth=2
	s_or_saveexec_b32 s41, s41
	v_mov_b32_e32 v2, 0x7f800001
	s_xor_b32 exec_lo, exec_lo, s41
	s_cbranch_execz .LBB6_408
.LBB6_2351:                             ;   in Loop: Header=BB6_130 Depth=2
	v_cmp_ne_u16_sdwa s42, v10, v52 src0_sel:BYTE_3 src1_sel:DWORD
	v_mov_b32_e32 v2, 0
	s_andn2_b32 s13, s13, exec_lo
	s_and_b32 s42, s42, exec_lo
	s_or_b32 s13, s13, s42
	s_or_b32 exec_lo, exec_lo, s41
	s_and_saveexec_b32 s41, s13
	s_cbranch_execnz .LBB6_409
	s_branch .LBB6_410
.LBB6_2352:                             ;   in Loop: Header=BB6_130 Depth=2
	s_or_saveexec_b32 s41, s41
	v_mov_b32_e32 v2, 0x7f800001
	s_xor_b32 exec_lo, exec_lo, s41
	s_cbranch_execz .LBB6_422
.LBB6_2353:                             ;   in Loop: Header=BB6_130 Depth=2
	v_cmp_ne_u16_sdwa s42, v11, v52 src0_sel:BYTE_0 src1_sel:DWORD
	v_mov_b32_e32 v2, 0
	s_andn2_b32 s13, s13, exec_lo
	s_and_b32 s42, s42, exec_lo
	s_or_b32 s13, s13, s42
	s_or_b32 exec_lo, exec_lo, s41
	s_and_saveexec_b32 s41, s13
	s_cbranch_execnz .LBB6_423
	s_branch .LBB6_424
.LBB6_2354:                             ;   in Loop: Header=BB6_130 Depth=2
	s_or_saveexec_b32 s41, s41
	v_mov_b32_e32 v2, 0x7f800001
	s_xor_b32 exec_lo, exec_lo, s41
	s_cbranch_execz .LBB6_436
.LBB6_2355:                             ;   in Loop: Header=BB6_130 Depth=2
	v_cmp_ne_u16_sdwa s42, v11, v52 src0_sel:BYTE_1 src1_sel:DWORD
	v_mov_b32_e32 v2, 0
	s_andn2_b32 s13, s13, exec_lo
	s_and_b32 s42, s42, exec_lo
	s_or_b32 s13, s13, s42
	s_or_b32 exec_lo, exec_lo, s41
	s_and_saveexec_b32 s41, s13
	s_cbranch_execnz .LBB6_437
	s_branch .LBB6_438
.LBB6_2356:                             ;   in Loop: Header=BB6_130 Depth=2
	s_or_saveexec_b32 s41, s41
	v_mov_b32_e32 v2, 0x7f800001
	s_xor_b32 exec_lo, exec_lo, s41
	s_cbranch_execz .LBB6_450
.LBB6_2357:                             ;   in Loop: Header=BB6_130 Depth=2
	v_cmp_ne_u16_e32 vcc_lo, 0, v3
	v_mov_b32_e32 v2, 0
	s_andn2_b32 s13, s13, exec_lo
	s_and_b32 s42, vcc_lo, exec_lo
	s_or_b32 s13, s13, s42
	s_or_b32 exec_lo, exec_lo, s41
	s_and_saveexec_b32 s41, s13
	s_cbranch_execnz .LBB6_451
	s_branch .LBB6_452
.LBB6_2358:                             ;   in Loop: Header=BB6_130 Depth=2
	s_or_saveexec_b32 s41, s41
	v_mov_b32_e32 v2, 0x7f800001
	s_xor_b32 exec_lo, exec_lo, s41
	s_cbranch_execz .LBB6_464
.LBB6_2359:                             ;   in Loop: Header=BB6_130 Depth=2
	v_cmp_ne_u16_sdwa s42, v11, v52 src0_sel:BYTE_3 src1_sel:DWORD
	v_mov_b32_e32 v2, 0
	s_andn2_b32 s13, s13, exec_lo
	s_and_b32 s42, s42, exec_lo
	s_or_b32 s13, s13, s42
	s_or_b32 exec_lo, exec_lo, s41
	s_and_saveexec_b32 s41, s13
	s_cbranch_execnz .LBB6_465
	s_branch .LBB6_466
.LBB6_2360:                             ;   in Loop: Header=BB6_130 Depth=2
	s_or_saveexec_b32 s41, s41
	v_mov_b32_e32 v2, 0x7f800001
	s_xor_b32 exec_lo, exec_lo, s41
	s_cbranch_execz .LBB6_478
.LBB6_2361:                             ;   in Loop: Header=BB6_130 Depth=2
	v_cmp_ne_u16_sdwa s42, v12, v52 src0_sel:BYTE_0 src1_sel:DWORD
	v_mov_b32_e32 v2, 0
	s_andn2_b32 s13, s13, exec_lo
	s_and_b32 s42, s42, exec_lo
	s_or_b32 s13, s13, s42
	s_or_b32 exec_lo, exec_lo, s41
	s_and_saveexec_b32 s41, s13
	s_cbranch_execnz .LBB6_479
	s_branch .LBB6_480
.LBB6_2362:                             ;   in Loop: Header=BB6_130 Depth=2
	s_or_saveexec_b32 s41, s41
	v_mov_b32_e32 v2, 0x7f800001
	s_xor_b32 exec_lo, exec_lo, s41
	s_cbranch_execz .LBB6_492
.LBB6_2363:                             ;   in Loop: Header=BB6_130 Depth=2
	v_cmp_ne_u16_sdwa s42, v12, v52 src0_sel:BYTE_1 src1_sel:DWORD
	v_mov_b32_e32 v2, 0
	s_andn2_b32 s13, s13, exec_lo
	s_and_b32 s42, s42, exec_lo
	s_or_b32 s13, s13, s42
	s_or_b32 exec_lo, exec_lo, s41
	s_and_saveexec_b32 s41, s13
	s_cbranch_execnz .LBB6_493
	s_branch .LBB6_494
.LBB6_2364:                             ;   in Loop: Header=BB6_130 Depth=2
	s_or_saveexec_b32 s41, s41
	v_mov_b32_e32 v2, 0x7f800001
	s_xor_b32 exec_lo, exec_lo, s41
	s_cbranch_execz .LBB6_506
.LBB6_2365:                             ;   in Loop: Header=BB6_130 Depth=2
	v_cmp_ne_u16_e32 vcc_lo, 0, v3
	v_mov_b32_e32 v2, 0
	s_andn2_b32 s13, s13, exec_lo
	s_and_b32 s42, vcc_lo, exec_lo
	s_or_b32 s13, s13, s42
	s_or_b32 exec_lo, exec_lo, s41
	s_and_saveexec_b32 s41, s13
	s_cbranch_execnz .LBB6_507
	s_branch .LBB6_508
.LBB6_2366:                             ;   in Loop: Header=BB6_130 Depth=2
	s_or_saveexec_b32 s41, s41
	v_mov_b32_e32 v2, 0x7f800001
	s_xor_b32 exec_lo, exec_lo, s41
	s_cbranch_execz .LBB6_520
.LBB6_2367:                             ;   in Loop: Header=BB6_130 Depth=2
	v_cmp_ne_u16_sdwa s42, v12, v52 src0_sel:BYTE_3 src1_sel:DWORD
	v_mov_b32_e32 v2, 0
	s_andn2_b32 s13, s13, exec_lo
	s_and_b32 s42, s42, exec_lo
	s_or_b32 s13, s13, s42
	s_or_b32 exec_lo, exec_lo, s41
	s_and_saveexec_b32 s41, s13
	s_cbranch_execnz .LBB6_521
	s_branch .LBB6_522
.LBB6_2368:                             ;   in Loop: Header=BB6_130 Depth=2
	s_or_saveexec_b32 s41, s41
	v_mov_b32_e32 v2, 0x7f800001
	s_xor_b32 exec_lo, exec_lo, s41
	s_cbranch_execz .LBB6_534
.LBB6_2369:                             ;   in Loop: Header=BB6_130 Depth=2
	v_cmp_ne_u16_sdwa s42, v13, v52 src0_sel:BYTE_0 src1_sel:DWORD
	v_mov_b32_e32 v2, 0
	s_andn2_b32 s13, s13, exec_lo
	s_and_b32 s42, s42, exec_lo
	s_or_b32 s13, s13, s42
	s_or_b32 exec_lo, exec_lo, s41
	s_and_saveexec_b32 s41, s13
	s_cbranch_execnz .LBB6_535
	s_branch .LBB6_536
.LBB6_2370:                             ;   in Loop: Header=BB6_130 Depth=2
	s_or_saveexec_b32 s41, s41
	v_mov_b32_e32 v2, 0x7f800001
	s_xor_b32 exec_lo, exec_lo, s41
	s_cbranch_execz .LBB6_548
.LBB6_2371:                             ;   in Loop: Header=BB6_130 Depth=2
	v_cmp_ne_u16_sdwa s42, v13, v52 src0_sel:BYTE_1 src1_sel:DWORD
	v_mov_b32_e32 v2, 0
	s_andn2_b32 s13, s13, exec_lo
	s_and_b32 s42, s42, exec_lo
	s_or_b32 s13, s13, s42
	s_or_b32 exec_lo, exec_lo, s41
	s_and_saveexec_b32 s41, s13
	s_cbranch_execnz .LBB6_549
	s_branch .LBB6_550
.LBB6_2372:                             ;   in Loop: Header=BB6_130 Depth=2
	s_or_saveexec_b32 s41, s41
	v_mov_b32_e32 v2, 0x7f800001
	s_xor_b32 exec_lo, exec_lo, s41
	s_cbranch_execz .LBB6_562
.LBB6_2373:                             ;   in Loop: Header=BB6_130 Depth=2
	v_cmp_ne_u16_e32 vcc_lo, 0, v4
	v_mov_b32_e32 v2, 0
	s_andn2_b32 s13, s13, exec_lo
	s_and_b32 s42, vcc_lo, exec_lo
	s_or_b32 s13, s13, s42
	s_or_b32 exec_lo, exec_lo, s41
	s_and_saveexec_b32 s41, s13
	s_cbranch_execnz .LBB6_563
	s_branch .LBB6_564
.LBB6_2374:                             ;   in Loop: Header=BB6_130 Depth=2
	s_or_saveexec_b32 s41, s41
	v_mov_b32_e32 v2, 0x7f800001
	s_xor_b32 exec_lo, exec_lo, s41
	s_cbranch_execz .LBB6_576
.LBB6_2375:                             ;   in Loop: Header=BB6_130 Depth=2
	v_cmp_ne_u16_sdwa s42, v13, v52 src0_sel:BYTE_3 src1_sel:DWORD
	v_mov_b32_e32 v2, 0
	s_andn2_b32 s13, s13, exec_lo
	s_and_b32 s42, s42, exec_lo
	s_or_b32 s13, s13, s42
	s_or_b32 exec_lo, exec_lo, s41
	s_and_saveexec_b32 s41, s13
	s_cbranch_execnz .LBB6_577
	s_branch .LBB6_578
.LBB6_2376:                             ;   in Loop: Header=BB6_130 Depth=2
	s_or_saveexec_b32 s41, s41
	v_mov_b32_e32 v4, 0x7f800001
	s_xor_b32 exec_lo, exec_lo, s41
	s_cbranch_execz .LBB6_590
.LBB6_2377:                             ;   in Loop: Header=BB6_130 Depth=2
	v_cmp_ne_u16_sdwa s42, v10, v52 src0_sel:BYTE_0 src1_sel:DWORD
	v_mov_b32_e32 v4, 0
	s_andn2_b32 s13, s13, exec_lo
	s_and_b32 s42, s42, exec_lo
	s_or_b32 s13, s13, s42
	s_or_b32 exec_lo, exec_lo, s41
	s_and_saveexec_b32 s41, s13
	s_cbranch_execnz .LBB6_591
	s_branch .LBB6_592
.LBB6_2378:                             ;   in Loop: Header=BB6_130 Depth=2
	s_or_saveexec_b32 s41, s41
	v_mov_b32_e32 v4, 0x7f800001
	s_xor_b32 exec_lo, exec_lo, s41
	s_cbranch_execz .LBB6_604
.LBB6_2379:                             ;   in Loop: Header=BB6_130 Depth=2
	v_cmp_ne_u16_sdwa s42, v10, v52 src0_sel:BYTE_1 src1_sel:DWORD
	v_mov_b32_e32 v4, 0
	s_andn2_b32 s13, s13, exec_lo
	s_and_b32 s42, s42, exec_lo
	s_or_b32 s13, s13, s42
	s_or_b32 exec_lo, exec_lo, s41
	s_and_saveexec_b32 s41, s13
	s_cbranch_execnz .LBB6_605
	s_branch .LBB6_606
.LBB6_2380:                             ;   in Loop: Header=BB6_130 Depth=2
	s_or_saveexec_b32 s41, s41
	v_mov_b32_e32 v4, 0x7f800001
	s_xor_b32 exec_lo, exec_lo, s41
	s_cbranch_execz .LBB6_618
.LBB6_2381:                             ;   in Loop: Header=BB6_130 Depth=2
	v_cmp_ne_u16_e32 vcc_lo, 0, v5
	v_mov_b32_e32 v4, 0
	s_andn2_b32 s13, s13, exec_lo
	s_and_b32 s42, vcc_lo, exec_lo
	s_or_b32 s13, s13, s42
	s_or_b32 exec_lo, exec_lo, s41
	s_and_saveexec_b32 s41, s13
	s_cbranch_execnz .LBB6_619
	s_branch .LBB6_620
.LBB6_2382:                             ;   in Loop: Header=BB6_130 Depth=2
	s_or_saveexec_b32 s41, s41
	v_mov_b32_e32 v4, 0x7f800001
	s_xor_b32 exec_lo, exec_lo, s41
	s_cbranch_execz .LBB6_632
.LBB6_2383:                             ;   in Loop: Header=BB6_130 Depth=2
	v_cmp_ne_u16_sdwa s42, v10, v52 src0_sel:BYTE_3 src1_sel:DWORD
	v_mov_b32_e32 v4, 0
	s_andn2_b32 s13, s13, exec_lo
	s_and_b32 s42, s42, exec_lo
	s_or_b32 s13, s13, s42
	s_or_b32 exec_lo, exec_lo, s41
	s_and_saveexec_b32 s41, s13
	s_cbranch_execnz .LBB6_633
	s_branch .LBB6_634
.LBB6_2384:                             ;   in Loop: Header=BB6_130 Depth=2
	s_or_saveexec_b32 s41, s41
	v_mov_b32_e32 v4, 0x7f800001
	s_xor_b32 exec_lo, exec_lo, s41
	s_cbranch_execz .LBB6_646
.LBB6_2385:                             ;   in Loop: Header=BB6_130 Depth=2
	v_cmp_ne_u16_sdwa s42, v11, v52 src0_sel:BYTE_0 src1_sel:DWORD
	v_mov_b32_e32 v4, 0
	s_andn2_b32 s13, s13, exec_lo
	s_and_b32 s42, s42, exec_lo
	s_or_b32 s13, s13, s42
	s_or_b32 exec_lo, exec_lo, s41
	s_and_saveexec_b32 s41, s13
	s_cbranch_execnz .LBB6_647
	s_branch .LBB6_648
.LBB6_2386:                             ;   in Loop: Header=BB6_130 Depth=2
	s_or_saveexec_b32 s41, s41
	v_mov_b32_e32 v4, 0x7f800001
	s_xor_b32 exec_lo, exec_lo, s41
	s_cbranch_execz .LBB6_660
.LBB6_2387:                             ;   in Loop: Header=BB6_130 Depth=2
	v_cmp_ne_u16_sdwa s42, v11, v52 src0_sel:BYTE_1 src1_sel:DWORD
	v_mov_b32_e32 v4, 0
	s_andn2_b32 s13, s13, exec_lo
	s_and_b32 s42, s42, exec_lo
	s_or_b32 s13, s13, s42
	s_or_b32 exec_lo, exec_lo, s41
	s_and_saveexec_b32 s41, s13
	s_cbranch_execnz .LBB6_661
	s_branch .LBB6_662
.LBB6_2388:                             ;   in Loop: Header=BB6_130 Depth=2
	s_or_saveexec_b32 s41, s41
	v_mov_b32_e32 v4, 0x7f800001
	s_xor_b32 exec_lo, exec_lo, s41
	s_cbranch_execz .LBB6_674
.LBB6_2389:                             ;   in Loop: Header=BB6_130 Depth=2
	v_cmp_ne_u16_e32 vcc_lo, 0, v5
	v_mov_b32_e32 v4, 0
	s_andn2_b32 s13, s13, exec_lo
	s_and_b32 s42, vcc_lo, exec_lo
	s_or_b32 s13, s13, s42
	s_or_b32 exec_lo, exec_lo, s41
	s_and_saveexec_b32 s41, s13
	s_cbranch_execnz .LBB6_675
	s_branch .LBB6_676
.LBB6_2390:                             ;   in Loop: Header=BB6_130 Depth=2
	s_or_saveexec_b32 s41, s41
	v_mov_b32_e32 v4, 0x7f800001
	s_xor_b32 exec_lo, exec_lo, s41
	s_cbranch_execz .LBB6_688
.LBB6_2391:                             ;   in Loop: Header=BB6_130 Depth=2
	v_cmp_ne_u16_sdwa s42, v11, v52 src0_sel:BYTE_3 src1_sel:DWORD
	v_mov_b32_e32 v4, 0
	s_andn2_b32 s13, s13, exec_lo
	s_and_b32 s42, s42, exec_lo
	s_or_b32 s13, s13, s42
	s_or_b32 exec_lo, exec_lo, s41
	s_and_saveexec_b32 s41, s13
	s_cbranch_execnz .LBB6_689
	s_branch .LBB6_690
.LBB6_2392:                             ;   in Loop: Header=BB6_130 Depth=2
	s_or_saveexec_b32 s41, s41
	v_mov_b32_e32 v4, 0x7f800001
	s_xor_b32 exec_lo, exec_lo, s41
	s_cbranch_execz .LBB6_702
.LBB6_2393:                             ;   in Loop: Header=BB6_130 Depth=2
	v_cmp_ne_u16_sdwa s42, v12, v52 src0_sel:BYTE_0 src1_sel:DWORD
	v_mov_b32_e32 v4, 0
	s_andn2_b32 s13, s13, exec_lo
	s_and_b32 s42, s42, exec_lo
	s_or_b32 s13, s13, s42
	s_or_b32 exec_lo, exec_lo, s41
	s_and_saveexec_b32 s41, s13
	s_cbranch_execnz .LBB6_703
	s_branch .LBB6_704
.LBB6_2394:                             ;   in Loop: Header=BB6_130 Depth=2
	s_or_saveexec_b32 s41, s41
	v_mov_b32_e32 v4, 0x7f800001
	s_xor_b32 exec_lo, exec_lo, s41
	s_cbranch_execz .LBB6_716
.LBB6_2395:                             ;   in Loop: Header=BB6_130 Depth=2
	v_cmp_ne_u16_sdwa s42, v12, v52 src0_sel:BYTE_1 src1_sel:DWORD
	v_mov_b32_e32 v4, 0
	s_andn2_b32 s13, s13, exec_lo
	s_and_b32 s42, s42, exec_lo
	s_or_b32 s13, s13, s42
	s_or_b32 exec_lo, exec_lo, s41
	s_and_saveexec_b32 s41, s13
	s_cbranch_execnz .LBB6_717
	s_branch .LBB6_718
.LBB6_2396:                             ;   in Loop: Header=BB6_130 Depth=2
	s_or_saveexec_b32 s41, s41
	v_mov_b32_e32 v4, 0x7f800001
	s_xor_b32 exec_lo, exec_lo, s41
	s_cbranch_execz .LBB6_730
.LBB6_2397:                             ;   in Loop: Header=BB6_130 Depth=2
	v_cmp_ne_u16_e32 vcc_lo, 0, v5
	v_mov_b32_e32 v4, 0
	s_andn2_b32 s13, s13, exec_lo
	s_and_b32 s42, vcc_lo, exec_lo
	s_or_b32 s13, s13, s42
	s_or_b32 exec_lo, exec_lo, s41
	s_and_saveexec_b32 s41, s13
	s_cbranch_execnz .LBB6_731
	s_branch .LBB6_732
.LBB6_2398:                             ;   in Loop: Header=BB6_130 Depth=2
	s_or_saveexec_b32 s41, s41
	v_mov_b32_e32 v4, 0x7f800001
	s_xor_b32 exec_lo, exec_lo, s41
	s_cbranch_execz .LBB6_744
.LBB6_2399:                             ;   in Loop: Header=BB6_130 Depth=2
	v_cmp_ne_u16_sdwa s42, v12, v52 src0_sel:BYTE_3 src1_sel:DWORD
	v_mov_b32_e32 v4, 0
	s_andn2_b32 s13, s13, exec_lo
	s_and_b32 s42, s42, exec_lo
	s_or_b32 s13, s13, s42
	s_or_b32 exec_lo, exec_lo, s41
	s_and_saveexec_b32 s41, s13
	s_cbranch_execnz .LBB6_745
	s_branch .LBB6_746
.LBB6_2400:                             ;   in Loop: Header=BB6_130 Depth=2
	s_or_saveexec_b32 s41, s41
	v_mov_b32_e32 v4, 0x7f800001
	s_xor_b32 exec_lo, exec_lo, s41
	s_cbranch_execz .LBB6_758
.LBB6_2401:                             ;   in Loop: Header=BB6_130 Depth=2
	v_cmp_ne_u16_sdwa s42, v13, v52 src0_sel:BYTE_0 src1_sel:DWORD
	v_mov_b32_e32 v4, 0
	s_andn2_b32 s13, s13, exec_lo
	s_and_b32 s42, s42, exec_lo
	s_or_b32 s13, s13, s42
	s_or_b32 exec_lo, exec_lo, s41
	s_and_saveexec_b32 s41, s13
	s_cbranch_execnz .LBB6_759
	s_branch .LBB6_760
.LBB6_2402:                             ;   in Loop: Header=BB6_130 Depth=2
	s_or_saveexec_b32 s41, s41
	v_mov_b32_e32 v4, 0x7f800001
	s_xor_b32 exec_lo, exec_lo, s41
	s_cbranch_execz .LBB6_772
.LBB6_2403:                             ;   in Loop: Header=BB6_130 Depth=2
	v_cmp_ne_u16_sdwa s42, v13, v52 src0_sel:BYTE_1 src1_sel:DWORD
	v_mov_b32_e32 v4, 0
	s_andn2_b32 s13, s13, exec_lo
	s_and_b32 s42, s42, exec_lo
	s_or_b32 s13, s13, s42
	s_or_b32 exec_lo, exec_lo, s41
	s_and_saveexec_b32 s41, s13
	s_cbranch_execnz .LBB6_773
	s_branch .LBB6_774
.LBB6_2404:                             ;   in Loop: Header=BB6_130 Depth=2
	s_or_saveexec_b32 s41, s41
	v_mov_b32_e32 v4, 0x7f800001
	s_xor_b32 exec_lo, exec_lo, s41
	s_cbranch_execz .LBB6_786
.LBB6_2405:                             ;   in Loop: Header=BB6_130 Depth=2
	v_cmp_ne_u16_e32 vcc_lo, 0, v5
	v_mov_b32_e32 v4, 0
	s_andn2_b32 s13, s13, exec_lo
	s_and_b32 s42, vcc_lo, exec_lo
	s_or_b32 s13, s13, s42
	s_or_b32 exec_lo, exec_lo, s41
	s_and_saveexec_b32 s41, s13
	s_cbranch_execnz .LBB6_787
	s_branch .LBB6_788
.LBB6_2406:                             ;   in Loop: Header=BB6_130 Depth=2
	s_or_saveexec_b32 s41, s41
	v_mov_b32_e32 v4, 0x7f800001
	s_xor_b32 exec_lo, exec_lo, s41
	s_cbranch_execz .LBB6_800
.LBB6_2407:                             ;   in Loop: Header=BB6_130 Depth=2
	v_cmp_ne_u16_sdwa s42, v13, v52 src0_sel:BYTE_3 src1_sel:DWORD
	v_mov_b32_e32 v4, 0
	s_andn2_b32 s13, s13, exec_lo
	s_and_b32 s42, s42, exec_lo
	s_or_b32 s13, s13, s42
	s_or_b32 exec_lo, exec_lo, s41
	s_and_saveexec_b32 s41, s13
	s_cbranch_execnz .LBB6_801
	s_branch .LBB6_802
.LBB6_2408:                             ;   in Loop: Header=BB6_130 Depth=2
	s_or_saveexec_b32 s41, s41
	v_mov_b32_e32 v4, 0x7f800001
	s_xor_b32 exec_lo, exec_lo, s41
	s_cbranch_execz .LBB6_814
.LBB6_2409:                             ;   in Loop: Header=BB6_130 Depth=2
	v_cmp_ne_u16_sdwa s42, v10, v52 src0_sel:BYTE_0 src1_sel:DWORD
	v_mov_b32_e32 v4, 0
	s_andn2_b32 s13, s13, exec_lo
	s_and_b32 s42, s42, exec_lo
	s_or_b32 s13, s13, s42
	s_or_b32 exec_lo, exec_lo, s41
	s_and_saveexec_b32 s41, s13
	s_cbranch_execnz .LBB6_815
	s_branch .LBB6_816
.LBB6_2410:                             ;   in Loop: Header=BB6_130 Depth=2
	s_or_saveexec_b32 s41, s41
	v_mov_b32_e32 v4, 0x7f800001
	s_xor_b32 exec_lo, exec_lo, s41
	s_cbranch_execz .LBB6_828
.LBB6_2411:                             ;   in Loop: Header=BB6_130 Depth=2
	v_cmp_ne_u16_sdwa s42, v10, v52 src0_sel:BYTE_1 src1_sel:DWORD
	v_mov_b32_e32 v4, 0
	s_andn2_b32 s13, s13, exec_lo
	s_and_b32 s42, s42, exec_lo
	s_or_b32 s13, s13, s42
	s_or_b32 exec_lo, exec_lo, s41
	s_and_saveexec_b32 s41, s13
	s_cbranch_execnz .LBB6_829
	s_branch .LBB6_830
.LBB6_2412:                             ;   in Loop: Header=BB6_130 Depth=2
	s_or_saveexec_b32 s41, s41
	v_mov_b32_e32 v4, 0x7f800001
	s_xor_b32 exec_lo, exec_lo, s41
	s_cbranch_execz .LBB6_842
.LBB6_2413:                             ;   in Loop: Header=BB6_130 Depth=2
	v_cmp_ne_u16_e32 vcc_lo, 0, v5
	v_mov_b32_e32 v4, 0
	s_andn2_b32 s13, s13, exec_lo
	s_and_b32 s42, vcc_lo, exec_lo
	s_or_b32 s13, s13, s42
	s_or_b32 exec_lo, exec_lo, s41
	s_and_saveexec_b32 s41, s13
	s_cbranch_execnz .LBB6_843
	s_branch .LBB6_844
.LBB6_2414:                             ;   in Loop: Header=BB6_130 Depth=2
	s_or_saveexec_b32 s41, s41
	v_mov_b32_e32 v4, 0x7f800001
	s_xor_b32 exec_lo, exec_lo, s41
	s_cbranch_execz .LBB6_856
.LBB6_2415:                             ;   in Loop: Header=BB6_130 Depth=2
	v_cmp_ne_u16_sdwa s42, v10, v52 src0_sel:BYTE_3 src1_sel:DWORD
	v_mov_b32_e32 v4, 0
	s_andn2_b32 s13, s13, exec_lo
	s_and_b32 s42, s42, exec_lo
	s_or_b32 s13, s13, s42
	s_or_b32 exec_lo, exec_lo, s41
	s_and_saveexec_b32 s41, s13
	s_cbranch_execnz .LBB6_857
	s_branch .LBB6_858
.LBB6_2416:                             ;   in Loop: Header=BB6_130 Depth=2
	s_or_saveexec_b32 s41, s41
	v_mov_b32_e32 v4, 0x7f800001
	s_xor_b32 exec_lo, exec_lo, s41
	s_cbranch_execz .LBB6_870
.LBB6_2417:                             ;   in Loop: Header=BB6_130 Depth=2
	v_cmp_ne_u16_sdwa s42, v11, v52 src0_sel:BYTE_0 src1_sel:DWORD
	v_mov_b32_e32 v4, 0
	s_andn2_b32 s13, s13, exec_lo
	s_and_b32 s42, s42, exec_lo
	s_or_b32 s13, s13, s42
	s_or_b32 exec_lo, exec_lo, s41
	s_and_saveexec_b32 s41, s13
	s_cbranch_execnz .LBB6_871
	s_branch .LBB6_872
.LBB6_2418:                             ;   in Loop: Header=BB6_130 Depth=2
	s_or_saveexec_b32 s41, s41
	v_mov_b32_e32 v4, 0x7f800001
	s_xor_b32 exec_lo, exec_lo, s41
	s_cbranch_execz .LBB6_884
.LBB6_2419:                             ;   in Loop: Header=BB6_130 Depth=2
	v_cmp_ne_u16_sdwa s42, v11, v52 src0_sel:BYTE_1 src1_sel:DWORD
	v_mov_b32_e32 v4, 0
	s_andn2_b32 s13, s13, exec_lo
	s_and_b32 s42, s42, exec_lo
	s_or_b32 s13, s13, s42
	s_or_b32 exec_lo, exec_lo, s41
	s_and_saveexec_b32 s41, s13
	s_cbranch_execnz .LBB6_885
	s_branch .LBB6_886
.LBB6_2420:                             ;   in Loop: Header=BB6_130 Depth=2
	s_or_saveexec_b32 s41, s41
	v_mov_b32_e32 v4, 0x7f800001
	s_xor_b32 exec_lo, exec_lo, s41
	s_cbranch_execz .LBB6_898
.LBB6_2421:                             ;   in Loop: Header=BB6_130 Depth=2
	v_cmp_ne_u16_e32 vcc_lo, 0, v5
	v_mov_b32_e32 v4, 0
	s_andn2_b32 s13, s13, exec_lo
	s_and_b32 s42, vcc_lo, exec_lo
	s_or_b32 s13, s13, s42
	s_or_b32 exec_lo, exec_lo, s41
	s_and_saveexec_b32 s41, s13
	s_cbranch_execnz .LBB6_899
	s_branch .LBB6_900
.LBB6_2422:                             ;   in Loop: Header=BB6_130 Depth=2
	s_or_saveexec_b32 s41, s41
	v_mov_b32_e32 v4, 0x7f800001
	s_xor_b32 exec_lo, exec_lo, s41
	s_cbranch_execz .LBB6_912
.LBB6_2423:                             ;   in Loop: Header=BB6_130 Depth=2
	v_cmp_ne_u16_sdwa s42, v11, v52 src0_sel:BYTE_3 src1_sel:DWORD
	v_mov_b32_e32 v4, 0
	s_andn2_b32 s13, s13, exec_lo
	s_and_b32 s42, s42, exec_lo
	s_or_b32 s13, s13, s42
	s_or_b32 exec_lo, exec_lo, s41
	s_and_saveexec_b32 s41, s13
	s_cbranch_execnz .LBB6_913
	s_branch .LBB6_914
.LBB6_2424:                             ;   in Loop: Header=BB6_130 Depth=2
	s_or_saveexec_b32 s41, s41
	v_mov_b32_e32 v4, 0x7f800001
	s_xor_b32 exec_lo, exec_lo, s41
	s_cbranch_execz .LBB6_926
.LBB6_2425:                             ;   in Loop: Header=BB6_130 Depth=2
	v_cmp_ne_u16_sdwa s42, v12, v52 src0_sel:BYTE_0 src1_sel:DWORD
	v_mov_b32_e32 v4, 0
	s_andn2_b32 s13, s13, exec_lo
	s_and_b32 s42, s42, exec_lo
	s_or_b32 s13, s13, s42
	s_or_b32 exec_lo, exec_lo, s41
	s_and_saveexec_b32 s41, s13
	s_cbranch_execnz .LBB6_927
	s_branch .LBB6_928
.LBB6_2426:                             ;   in Loop: Header=BB6_130 Depth=2
	s_or_saveexec_b32 s41, s41
	v_mov_b32_e32 v4, 0x7f800001
	s_xor_b32 exec_lo, exec_lo, s41
	s_cbranch_execz .LBB6_940
.LBB6_2427:                             ;   in Loop: Header=BB6_130 Depth=2
	v_cmp_ne_u16_sdwa s42, v12, v52 src0_sel:BYTE_1 src1_sel:DWORD
	v_mov_b32_e32 v4, 0
	s_andn2_b32 s13, s13, exec_lo
	s_and_b32 s42, s42, exec_lo
	s_or_b32 s13, s13, s42
	s_or_b32 exec_lo, exec_lo, s41
	s_and_saveexec_b32 s41, s13
	s_cbranch_execnz .LBB6_941
	s_branch .LBB6_942
.LBB6_2428:                             ;   in Loop: Header=BB6_130 Depth=2
	s_or_saveexec_b32 s13, s13
	v_mov_b32_e32 v4, 0x7f800001
	s_xor_b32 exec_lo, exec_lo, s13
	s_cbranch_execz .LBB6_954
.LBB6_2429:                             ;   in Loop: Header=BB6_130 Depth=2
	v_cmp_ne_u16_e32 vcc_lo, 0, v5
	v_mov_b32_e32 v4, 0
	s_andn2_b32 s41, s41, exec_lo
	s_and_b32 s42, vcc_lo, exec_lo
	s_or_b32 s41, s41, s42
	s_or_b32 exec_lo, exec_lo, s13
	s_and_saveexec_b32 s13, s41
	s_cbranch_execnz .LBB6_955
	s_branch .LBB6_956
.LBB6_2430:                             ;   in Loop: Header=BB6_130 Depth=2
	s_or_saveexec_b32 s41, s41
	v_mov_b32_e32 v4, 0x7f800001
	s_xor_b32 exec_lo, exec_lo, s41
	s_cbranch_execz .LBB6_968
.LBB6_2431:                             ;   in Loop: Header=BB6_130 Depth=2
	v_cmp_ne_u16_sdwa s42, v12, v52 src0_sel:BYTE_3 src1_sel:DWORD
	v_mov_b32_e32 v4, 0
	s_andn2_b32 s13, s13, exec_lo
	s_and_b32 s42, s42, exec_lo
	s_or_b32 s13, s13, s42
	s_or_b32 exec_lo, exec_lo, s41
	s_and_saveexec_b32 s41, s13
	s_cbranch_execnz .LBB6_969
	s_branch .LBB6_970
.LBB6_2432:                             ;   in Loop: Header=BB6_130 Depth=2
	s_or_saveexec_b32 s13, s13
	v_mov_b32_e32 v4, 0x7f800001
	s_xor_b32 exec_lo, exec_lo, s13
	s_cbranch_execz .LBB6_982
.LBB6_2433:                             ;   in Loop: Header=BB6_130 Depth=2
	v_cmp_ne_u16_sdwa s42, v13, v52 src0_sel:BYTE_0 src1_sel:DWORD
	v_mov_b32_e32 v4, 0
	s_andn2_b32 s41, s41, exec_lo
	s_and_b32 s42, s42, exec_lo
	s_or_b32 s41, s41, s42
	s_or_b32 exec_lo, exec_lo, s13
	s_and_saveexec_b32 s13, s41
	s_cbranch_execnz .LBB6_983
	s_branch .LBB6_984
.LBB6_2434:                             ;   in Loop: Header=BB6_130 Depth=2
	s_or_saveexec_b32 s41, s41
	v_mov_b32_e32 v4, 0x7f800001
	s_xor_b32 exec_lo, exec_lo, s41
	s_cbranch_execz .LBB6_996
.LBB6_2435:                             ;   in Loop: Header=BB6_130 Depth=2
	v_cmp_ne_u16_sdwa s42, v13, v52 src0_sel:BYTE_1 src1_sel:DWORD
	v_mov_b32_e32 v4, 0
	s_andn2_b32 s13, s13, exec_lo
	s_and_b32 s42, s42, exec_lo
	s_or_b32 s13, s13, s42
	s_or_b32 exec_lo, exec_lo, s41
	s_and_saveexec_b32 s41, s13
	s_cbranch_execnz .LBB6_997
	s_branch .LBB6_998
.LBB6_2436:                             ;   in Loop: Header=BB6_130 Depth=2
	s_or_saveexec_b32 s13, s13
	v_mov_b32_e32 v4, 0x7f800001
	s_xor_b32 exec_lo, exec_lo, s13
	s_cbranch_execz .LBB6_1010
.LBB6_2437:                             ;   in Loop: Header=BB6_130 Depth=2
	v_cmp_ne_u16_e32 vcc_lo, 0, v5
	v_mov_b32_e32 v4, 0
	s_andn2_b32 s41, s41, exec_lo
	s_and_b32 s42, vcc_lo, exec_lo
	s_or_b32 s41, s41, s42
	s_or_b32 exec_lo, exec_lo, s13
	s_and_saveexec_b32 s13, s41
	s_cbranch_execnz .LBB6_1011
	s_branch .LBB6_1012
.LBB6_2438:                             ;   in Loop: Header=BB6_130 Depth=2
	s_or_saveexec_b32 s41, s41
	v_mov_b32_e32 v4, 0x7f800001
	s_xor_b32 exec_lo, exec_lo, s41
	s_cbranch_execz .LBB6_1024
.LBB6_2439:                             ;   in Loop: Header=BB6_130 Depth=2
	v_cmp_ne_u16_sdwa s42, v13, v52 src0_sel:BYTE_3 src1_sel:DWORD
	v_mov_b32_e32 v4, 0
	s_andn2_b32 s13, s13, exec_lo
	s_and_b32 s42, s42, exec_lo
	s_or_b32 s13, s13, s42
	s_or_b32 exec_lo, exec_lo, s41
	s_and_saveexec_b32 s41, s13
	s_cbranch_execnz .LBB6_1025
	s_branch .LBB6_1026
.LBB6_2440:                             ;   in Loop: Header=BB6_130 Depth=2
	s_or_saveexec_b32 s13, s13
	v_mov_b32_e32 v5, 0x7f800001
	s_xor_b32 exec_lo, exec_lo, s13
	s_cbranch_execz .LBB6_1038
.LBB6_2441:                             ;   in Loop: Header=BB6_130 Depth=2
	v_cmp_ne_u16_sdwa s41, v4, v52 src0_sel:BYTE_0 src1_sel:DWORD
	v_mov_b32_e32 v5, 0
	s_andn2_b32 s40, s40, exec_lo
	s_and_b32 s41, s41, exec_lo
	s_or_b32 s40, s40, s41
	s_or_b32 exec_lo, exec_lo, s13
	s_and_saveexec_b32 s13, s40
	s_cbranch_execnz .LBB6_1039
	s_branch .LBB6_1040
.LBB6_2442:                             ;   in Loop: Header=BB6_130 Depth=2
	s_or_saveexec_b32 s13, s13
	v_mov_b32_e32 v6, 0x7f800001
	s_xor_b32 exec_lo, exec_lo, s13
	s_cbranch_execz .LBB6_1044
.LBB6_2443:                             ;   in Loop: Header=BB6_130 Depth=2
	v_cmp_ne_u16_sdwa s41, v22, v52 src0_sel:BYTE_0 src1_sel:DWORD
	v_mov_b32_e32 v6, 0
	s_andn2_b32 s40, s40, exec_lo
	s_and_b32 s41, s41, exec_lo
	s_or_b32 s40, s40, s41
	s_or_b32 exec_lo, exec_lo, s13
	s_and_saveexec_b32 s13, s40
	s_cbranch_execnz .LBB6_1045
	s_branch .LBB6_1046
.LBB6_2444:                             ;   in Loop: Header=BB6_130 Depth=2
	s_or_saveexec_b32 s13, s13
	v_mov_b32_e32 v5, 0x7f800001
	s_xor_b32 exec_lo, exec_lo, s13
	s_cbranch_execz .LBB6_1058
.LBB6_2445:                             ;   in Loop: Header=BB6_130 Depth=2
	v_cmp_ne_u16_sdwa s41, v4, v52 src0_sel:BYTE_1 src1_sel:DWORD
	v_mov_b32_e32 v5, 0
	s_andn2_b32 s40, s40, exec_lo
	s_and_b32 s41, s41, exec_lo
	s_or_b32 s40, s40, s41
	s_or_b32 exec_lo, exec_lo, s13
	s_and_saveexec_b32 s13, s40
	s_cbranch_execnz .LBB6_1059
	s_branch .LBB6_1060
.LBB6_2446:                             ;   in Loop: Header=BB6_130 Depth=2
	s_or_saveexec_b32 s13, s13
	v_mov_b32_e32 v6, 0x7f800001
	s_xor_b32 exec_lo, exec_lo, s13
	s_cbranch_execz .LBB6_1064
.LBB6_2447:                             ;   in Loop: Header=BB6_130 Depth=2
	v_cmp_ne_u16_sdwa s41, v22, v52 src0_sel:BYTE_1 src1_sel:DWORD
	v_mov_b32_e32 v6, 0
	s_andn2_b32 s40, s40, exec_lo
	s_and_b32 s41, s41, exec_lo
	s_or_b32 s40, s40, s41
	s_or_b32 exec_lo, exec_lo, s13
	s_and_saveexec_b32 s13, s40
	s_cbranch_execnz .LBB6_1065
	s_branch .LBB6_1066
.LBB6_2448:                             ;   in Loop: Header=BB6_130 Depth=2
	s_or_saveexec_b32 s13, s13
	v_mov_b32_e32 v5, 0x7f800001
	s_xor_b32 exec_lo, exec_lo, s13
	s_cbranch_execz .LBB6_1078
.LBB6_2449:                             ;   in Loop: Header=BB6_130 Depth=2
	v_cmp_ne_u16_sdwa s41, v6, v52 src0_sel:BYTE_0 src1_sel:DWORD
	v_mov_b32_e32 v5, 0
	s_andn2_b32 s40, s40, exec_lo
	s_and_b32 s41, s41, exec_lo
	s_or_b32 s40, s40, s41
	s_or_b32 exec_lo, exec_lo, s13
	v_lshl_or_b32 v4, v6, 16, v4
	s_and_saveexec_b32 s13, s40
	s_cbranch_execnz .LBB6_1079
	s_branch .LBB6_1080
.LBB6_2450:                             ;   in Loop: Header=BB6_130 Depth=2
	s_or_saveexec_b32 s13, s13
	v_mov_b32_e32 v6, 0x7f800001
	s_xor_b32 exec_lo, exec_lo, s13
	s_cbranch_execz .LBB6_1084
.LBB6_2451:                             ;   in Loop: Header=BB6_130 Depth=2
	v_cmp_ne_u16_e32 vcc_lo, 0, v7
	v_mov_b32_e32 v6, 0
	s_andn2_b32 s40, s40, exec_lo
	s_and_b32 s41, vcc_lo, exec_lo
	s_or_b32 s40, s40, s41
	s_or_b32 exec_lo, exec_lo, s13
	s_and_saveexec_b32 s13, s40
	s_cbranch_execnz .LBB6_1085
	s_branch .LBB6_1086
.LBB6_2452:                             ;   in Loop: Header=BB6_130 Depth=2
	s_or_saveexec_b32 s13, s13
	v_mov_b32_e32 v5, 0x7f800001
	s_xor_b32 exec_lo, exec_lo, s13
	s_cbranch_execz .LBB6_1098
.LBB6_2453:                             ;   in Loop: Header=BB6_130 Depth=2
	v_cmp_ne_u16_sdwa s41, v4, v52 src0_sel:BYTE_3 src1_sel:DWORD
	v_mov_b32_e32 v5, 0
	s_andn2_b32 s40, s40, exec_lo
	s_and_b32 s41, s41, exec_lo
	s_or_b32 s40, s40, s41
	s_or_b32 exec_lo, exec_lo, s13
	s_and_saveexec_b32 s13, s40
	s_cbranch_execnz .LBB6_1099
	s_branch .LBB6_1100
.LBB6_2454:                             ;   in Loop: Header=BB6_130 Depth=2
	s_or_saveexec_b32 s13, s13
	v_mov_b32_e32 v4, 0x7f800001
	s_xor_b32 exec_lo, exec_lo, s13
	s_cbranch_execz .LBB6_1104
.LBB6_2455:                             ;   in Loop: Header=BB6_130 Depth=2
	v_cmp_ne_u16_sdwa s41, v22, v52 src0_sel:BYTE_3 src1_sel:DWORD
	v_mov_b32_e32 v4, 0
	s_andn2_b32 s40, s40, exec_lo
	s_and_b32 s41, s41, exec_lo
	s_or_b32 s40, s40, s41
	s_or_b32 exec_lo, exec_lo, s13
	s_and_saveexec_b32 s13, s40
	s_cbranch_execnz .LBB6_1105
	s_branch .LBB6_1106
.LBB6_2456:                             ;   in Loop: Header=BB6_130 Depth=2
	s_or_saveexec_b32 s13, s13
	v_mov_b32_e32 v5, 0x7f800001
	s_xor_b32 exec_lo, exec_lo, s13
	s_cbranch_execz .LBB6_1118
.LBB6_2457:                             ;   in Loop: Header=BB6_130 Depth=2
	v_cmp_ne_u16_sdwa s41, v4, v52 src0_sel:BYTE_0 src1_sel:DWORD
	v_mov_b32_e32 v5, 0
	s_andn2_b32 s40, s40, exec_lo
	s_and_b32 s41, s41, exec_lo
	s_or_b32 s40, s40, s41
	s_or_b32 exec_lo, exec_lo, s13
	s_and_saveexec_b32 s13, s40
	s_cbranch_execnz .LBB6_1119
	s_branch .LBB6_1120
.LBB6_2458:                             ;   in Loop: Header=BB6_130 Depth=2
	s_or_saveexec_b32 s13, s13
	v_mov_b32_e32 v6, 0x7f800001
	s_xor_b32 exec_lo, exec_lo, s13
	s_cbranch_execz .LBB6_1124
.LBB6_2459:                             ;   in Loop: Header=BB6_130 Depth=2
	v_cmp_ne_u16_sdwa s41, v23, v52 src0_sel:BYTE_0 src1_sel:DWORD
	v_mov_b32_e32 v6, 0
	s_andn2_b32 s40, s40, exec_lo
	s_and_b32 s41, s41, exec_lo
	s_or_b32 s40, s40, s41
	s_or_b32 exec_lo, exec_lo, s13
	s_and_saveexec_b32 s13, s40
	s_cbranch_execnz .LBB6_1125
	s_branch .LBB6_1126
.LBB6_2460:                             ;   in Loop: Header=BB6_130 Depth=2
	s_or_saveexec_b32 s13, s13
	v_mov_b32_e32 v5, 0x7f800001
	s_xor_b32 exec_lo, exec_lo, s13
	s_cbranch_execz .LBB6_1138
.LBB6_2461:                             ;   in Loop: Header=BB6_130 Depth=2
	v_cmp_ne_u16_sdwa s41, v4, v52 src0_sel:BYTE_1 src1_sel:DWORD
	v_mov_b32_e32 v5, 0
	s_andn2_b32 s40, s40, exec_lo
	s_and_b32 s41, s41, exec_lo
	s_or_b32 s40, s40, s41
	s_or_b32 exec_lo, exec_lo, s13
	s_and_saveexec_b32 s13, s40
	s_cbranch_execnz .LBB6_1139
	s_branch .LBB6_1140
.LBB6_2462:                             ;   in Loop: Header=BB6_130 Depth=2
	s_or_saveexec_b32 s13, s13
	v_mov_b32_e32 v6, 0x7f800001
	s_xor_b32 exec_lo, exec_lo, s13
	s_cbranch_execz .LBB6_1144
.LBB6_2463:                             ;   in Loop: Header=BB6_130 Depth=2
	v_cmp_ne_u16_sdwa s41, v23, v52 src0_sel:BYTE_1 src1_sel:DWORD
	v_mov_b32_e32 v6, 0
	s_andn2_b32 s40, s40, exec_lo
	s_and_b32 s41, s41, exec_lo
	s_or_b32 s40, s40, s41
	s_or_b32 exec_lo, exec_lo, s13
	s_and_saveexec_b32 s13, s40
	s_cbranch_execnz .LBB6_1145
	s_branch .LBB6_1146
.LBB6_2464:                             ;   in Loop: Header=BB6_130 Depth=2
	s_or_saveexec_b32 s13, s13
	v_mov_b32_e32 v5, 0x7f800001
	s_xor_b32 exec_lo, exec_lo, s13
	s_cbranch_execz .LBB6_1158
.LBB6_2465:                             ;   in Loop: Header=BB6_130 Depth=2
	v_cmp_ne_u16_sdwa s41, v1, v52 src0_sel:BYTE_0 src1_sel:DWORD
	v_mov_b32_e32 v5, 0
	s_andn2_b32 s40, s40, exec_lo
	s_and_b32 s41, s41, exec_lo
	s_or_b32 s40, s40, s41
	s_or_b32 exec_lo, exec_lo, s13
	v_lshl_or_b32 v1, v1, 16, v4
	s_and_saveexec_b32 s13, s40
	s_cbranch_execnz .LBB6_1159
	s_branch .LBB6_1160
.LBB6_2466:                             ;   in Loop: Header=BB6_130 Depth=2
	s_or_saveexec_b32 s13, s13
	v_mov_b32_e32 v4, 0x7f800001
	s_xor_b32 exec_lo, exec_lo, s13
	s_cbranch_execz .LBB6_1164
.LBB6_2467:                             ;   in Loop: Header=BB6_130 Depth=2
	v_cmp_ne_u16_e32 vcc_lo, 0, v6
	v_mov_b32_e32 v4, 0
	s_andn2_b32 s40, s40, exec_lo
	s_and_b32 s41, vcc_lo, exec_lo
	s_or_b32 s40, s40, s41
	s_or_b32 exec_lo, exec_lo, s13
	s_and_saveexec_b32 s13, s40
	s_cbranch_execnz .LBB6_1165
	s_branch .LBB6_1166
.LBB6_2468:                             ;   in Loop: Header=BB6_130 Depth=2
	s_or_saveexec_b32 s13, s13
	v_mov_b32_e32 v4, 0x7f800001
	s_xor_b32 exec_lo, exec_lo, s13
	s_cbranch_execz .LBB6_1178
.LBB6_2469:                             ;   in Loop: Header=BB6_130 Depth=2
	v_cmp_ne_u16_sdwa s41, v1, v52 src0_sel:BYTE_3 src1_sel:DWORD
	v_mov_b32_e32 v4, 0
	s_andn2_b32 s40, s40, exec_lo
	s_and_b32 s41, s41, exec_lo
	s_or_b32 s40, s40, s41
	s_or_b32 exec_lo, exec_lo, s13
	s_and_saveexec_b32 s13, s40
	s_cbranch_execnz .LBB6_1179
	s_branch .LBB6_1180
.LBB6_2470:                             ;   in Loop: Header=BB6_130 Depth=2
	s_or_saveexec_b32 s13, s13
	v_mov_b32_e32 v1, 0x7f800001
	s_xor_b32 exec_lo, exec_lo, s13
	s_cbranch_execz .LBB6_1184
.LBB6_2471:                             ;   in Loop: Header=BB6_130 Depth=2
	v_cmp_ne_u16_sdwa s41, v23, v52 src0_sel:BYTE_3 src1_sel:DWORD
	v_mov_b32_e32 v1, 0
	s_andn2_b32 s40, s40, exec_lo
	s_and_b32 s41, s41, exec_lo
	s_or_b32 s40, s40, s41
	s_or_b32 exec_lo, exec_lo, s13
	s_and_saveexec_b32 s13, s40
	s_cbranch_execnz .LBB6_1185
	s_branch .LBB6_1186
.LBB6_2472:                             ;   in Loop: Header=BB6_130 Depth=2
	s_or_saveexec_b32 s13, s13
	v_mov_b32_e32 v1, 0x7f800001
	s_xor_b32 exec_lo, exec_lo, s13
	s_cbranch_execz .LBB6_1198
.LBB6_2473:                             ;   in Loop: Header=BB6_130 Depth=2
	v_cmp_ne_u16_sdwa s41, v0, v52 src0_sel:BYTE_0 src1_sel:DWORD
	v_mov_b32_e32 v1, 0
	s_andn2_b32 s40, s40, exec_lo
	s_and_b32 s41, s41, exec_lo
	s_or_b32 s40, s40, s41
	s_or_b32 exec_lo, exec_lo, s13
	s_and_saveexec_b32 s13, s40
	s_cbranch_execnz .LBB6_1199
	s_branch .LBB6_1200
.LBB6_2474:                             ;   in Loop: Header=BB6_130 Depth=2
	s_or_saveexec_b32 s13, s13
	v_mov_b32_e32 v4, 0x7f800001
	s_xor_b32 exec_lo, exec_lo, s13
	s_cbranch_execz .LBB6_1204
.LBB6_2475:                             ;   in Loop: Header=BB6_130 Depth=2
	v_cmp_ne_u16_sdwa s41, v24, v52 src0_sel:BYTE_0 src1_sel:DWORD
	v_mov_b32_e32 v4, 0
	s_andn2_b32 s40, s40, exec_lo
	s_and_b32 s41, s41, exec_lo
	s_or_b32 s40, s40, s41
	s_or_b32 exec_lo, exec_lo, s13
	s_and_saveexec_b32 s13, s40
	s_cbranch_execnz .LBB6_1205
	s_branch .LBB6_1206
.LBB6_2476:                             ;   in Loop: Header=BB6_130 Depth=2
	s_or_saveexec_b32 s13, s13
	v_mov_b32_e32 v1, 0x7f800001
	s_xor_b32 exec_lo, exec_lo, s13
	s_cbranch_execz .LBB6_1218
.LBB6_2477:                             ;   in Loop: Header=BB6_130 Depth=2
	v_cmp_ne_u16_sdwa s41, v0, v52 src0_sel:BYTE_1 src1_sel:DWORD
	v_mov_b32_e32 v1, 0
	s_andn2_b32 s40, s40, exec_lo
	s_and_b32 s41, s41, exec_lo
	s_or_b32 s40, s40, s41
	s_or_b32 exec_lo, exec_lo, s13
	s_and_saveexec_b32 s13, s40
	s_cbranch_execnz .LBB6_1219
	s_branch .LBB6_1220
.LBB6_2478:                             ;   in Loop: Header=BB6_130 Depth=2
	s_or_saveexec_b32 s13, s13
	v_mov_b32_e32 v4, 0x7f800001
	s_xor_b32 exec_lo, exec_lo, s13
	s_cbranch_execz .LBB6_1224
.LBB6_2479:                             ;   in Loop: Header=BB6_130 Depth=2
	v_cmp_ne_u16_sdwa s41, v24, v52 src0_sel:BYTE_1 src1_sel:DWORD
	v_mov_b32_e32 v4, 0
	s_andn2_b32 s40, s40, exec_lo
	s_and_b32 s41, s41, exec_lo
	s_or_b32 s40, s40, s41
	s_or_b32 exec_lo, exec_lo, s13
	s_and_saveexec_b32 s13, s40
	s_cbranch_execnz .LBB6_1225
	s_branch .LBB6_1226
.LBB6_2480:                             ;   in Loop: Header=BB6_130 Depth=2
	s_or_saveexec_b32 s13, s13
	v_mov_b32_e32 v1, 0x7f800001
	s_xor_b32 exec_lo, exec_lo, s13
	s_cbranch_execz .LBB6_1238
.LBB6_2481:                             ;   in Loop: Header=BB6_130 Depth=2
	v_cmp_ne_u16_sdwa s41, v4, v52 src0_sel:BYTE_0 src1_sel:DWORD
	v_mov_b32_e32 v1, 0
	s_andn2_b32 s40, s40, exec_lo
	s_and_b32 s41, s41, exec_lo
	s_or_b32 s40, s40, s41
	s_or_b32 exec_lo, exec_lo, s13
	v_lshl_or_b32 v0, v4, 16, v0
	s_and_saveexec_b32 s13, s40
	s_cbranch_execnz .LBB6_1239
	s_branch .LBB6_1240
.LBB6_2482:                             ;   in Loop: Header=BB6_130 Depth=2
	s_or_saveexec_b32 s13, s13
	v_mov_b32_e32 v4, 0x7f800001
	s_xor_b32 exec_lo, exec_lo, s13
	s_cbranch_execz .LBB6_1244
.LBB6_2483:                             ;   in Loop: Header=BB6_130 Depth=2
	v_cmp_ne_u16_e32 vcc_lo, 0, v5
	v_mov_b32_e32 v4, 0
	s_andn2_b32 s40, s40, exec_lo
	s_and_b32 s41, vcc_lo, exec_lo
	s_or_b32 s40, s40, s41
	s_or_b32 exec_lo, exec_lo, s13
	s_and_saveexec_b32 s13, s40
	s_cbranch_execnz .LBB6_1245
	s_branch .LBB6_1246
.LBB6_2484:                             ;   in Loop: Header=BB6_130 Depth=2
	s_or_saveexec_b32 s13, s13
	v_mov_b32_e32 v1, 0x7f800001
	s_xor_b32 exec_lo, exec_lo, s13
	s_cbranch_execz .LBB6_1258
.LBB6_2485:                             ;   in Loop: Header=BB6_130 Depth=2
	v_cmp_ne_u16_sdwa s41, v0, v52 src0_sel:BYTE_3 src1_sel:DWORD
	v_mov_b32_e32 v1, 0
	s_andn2_b32 s40, s40, exec_lo
	s_and_b32 s41, s41, exec_lo
	s_or_b32 s40, s40, s41
	s_or_b32 exec_lo, exec_lo, s13
	s_and_saveexec_b32 s13, s40
	s_cbranch_execnz .LBB6_1259
	s_branch .LBB6_1260
.LBB6_2486:                             ;   in Loop: Header=BB6_130 Depth=2
	s_or_saveexec_b32 s13, s13
	v_mov_b32_e32 v0, 0x7f800001
	s_xor_b32 exec_lo, exec_lo, s13
	s_cbranch_execz .LBB6_1264
.LBB6_2487:                             ;   in Loop: Header=BB6_130 Depth=2
	v_cmp_ne_u16_sdwa s41, v24, v52 src0_sel:BYTE_3 src1_sel:DWORD
	v_mov_b32_e32 v0, 0
	s_andn2_b32 s40, s40, exec_lo
	s_and_b32 s41, s41, exec_lo
	s_or_b32 s40, s40, s41
	s_or_b32 exec_lo, exec_lo, s13
	s_and_saveexec_b32 s13, s40
	s_cbranch_execnz .LBB6_1265
	s_branch .LBB6_1266
.LBB6_2488:                             ;   in Loop: Header=BB6_130 Depth=2
	s_or_saveexec_b32 s13, s13
	v_mov_b32_e32 v1, 0x7f800001
	s_xor_b32 exec_lo, exec_lo, s13
	s_cbranch_execz .LBB6_1278
.LBB6_2489:                             ;   in Loop: Header=BB6_130 Depth=2
	v_cmp_ne_u16_sdwa s41, v0, v52 src0_sel:BYTE_0 src1_sel:DWORD
	v_mov_b32_e32 v1, 0
	s_andn2_b32 s40, s40, exec_lo
	s_and_b32 s41, s41, exec_lo
	s_or_b32 s40, s40, s41
	s_or_b32 exec_lo, exec_lo, s13
	s_and_saveexec_b32 s13, s40
	s_cbranch_execnz .LBB6_1279
	s_branch .LBB6_1280
.LBB6_2490:                             ;   in Loop: Header=BB6_130 Depth=2
	s_or_saveexec_b32 s13, s13
	v_mov_b32_e32 v4, 0x7f800001
	s_xor_b32 exec_lo, exec_lo, s13
	s_cbranch_execz .LBB6_1284
.LBB6_2491:                             ;   in Loop: Header=BB6_130 Depth=2
	v_cmp_ne_u16_sdwa s41, v25, v52 src0_sel:BYTE_0 src1_sel:DWORD
	v_mov_b32_e32 v4, 0
	s_andn2_b32 s40, s40, exec_lo
	s_and_b32 s41, s41, exec_lo
	s_or_b32 s40, s40, s41
	s_or_b32 exec_lo, exec_lo, s13
	s_and_saveexec_b32 s13, s40
	s_cbranch_execnz .LBB6_1285
	s_branch .LBB6_1286
.LBB6_2492:                             ;   in Loop: Header=BB6_130 Depth=2
	s_or_saveexec_b32 s13, s13
	v_mov_b32_e32 v1, 0x7f800001
	s_xor_b32 exec_lo, exec_lo, s13
	s_cbranch_execz .LBB6_1298
.LBB6_2493:                             ;   in Loop: Header=BB6_130 Depth=2
	v_cmp_ne_u16_sdwa s41, v0, v52 src0_sel:BYTE_1 src1_sel:DWORD
	v_mov_b32_e32 v1, 0
	s_andn2_b32 s40, s40, exec_lo
	s_and_b32 s41, s41, exec_lo
	s_or_b32 s40, s40, s41
	s_or_b32 exec_lo, exec_lo, s13
	s_and_saveexec_b32 s13, s40
	s_cbranch_execnz .LBB6_1299
	s_branch .LBB6_1300
.LBB6_2494:                             ;   in Loop: Header=BB6_130 Depth=2
	s_or_saveexec_b32 s13, s13
	v_mov_b32_e32 v4, 0x7f800001
	s_xor_b32 exec_lo, exec_lo, s13
	s_cbranch_execz .LBB6_1304
.LBB6_2495:                             ;   in Loop: Header=BB6_130 Depth=2
	v_cmp_ne_u16_sdwa s41, v25, v52 src0_sel:BYTE_1 src1_sel:DWORD
	v_mov_b32_e32 v4, 0
	s_andn2_b32 s40, s40, exec_lo
	s_and_b32 s41, s41, exec_lo
	s_or_b32 s40, s40, s41
	s_or_b32 exec_lo, exec_lo, s13
	s_and_saveexec_b32 s13, s40
	s_cbranch_execnz .LBB6_1305
	s_branch .LBB6_1306
.LBB6_2496:                             ;   in Loop: Header=BB6_130 Depth=2
	s_or_saveexec_b32 s13, s13
	v_mov_b32_e32 v1, 0x7f800001
	s_xor_b32 exec_lo, exec_lo, s13
	s_cbranch_execz .LBB6_1318
.LBB6_2497:                             ;   in Loop: Header=BB6_130 Depth=2
	v_cmp_ne_u16_sdwa s41, v4, v52 src0_sel:BYTE_0 src1_sel:DWORD
	v_mov_b32_e32 v1, 0
	s_andn2_b32 s40, s40, exec_lo
	s_and_b32 s41, s41, exec_lo
	s_or_b32 s40, s40, s41
	s_or_b32 exec_lo, exec_lo, s13
	v_lshl_or_b32 v0, v4, 16, v0
	s_and_saveexec_b32 s13, s40
	s_cbranch_execnz .LBB6_1319
	s_branch .LBB6_1320
.LBB6_2498:                             ;   in Loop: Header=BB6_130 Depth=2
	s_or_saveexec_b32 s13, s13
	v_mov_b32_e32 v4, 0x7f800001
	s_xor_b32 exec_lo, exec_lo, s13
	s_cbranch_execz .LBB6_1324
.LBB6_2499:                             ;   in Loop: Header=BB6_130 Depth=2
	v_cmp_ne_u16_e32 vcc_lo, 0, v5
	v_mov_b32_e32 v4, 0
	s_andn2_b32 s40, s40, exec_lo
	s_and_b32 s41, vcc_lo, exec_lo
	s_or_b32 s40, s40, s41
	s_or_b32 exec_lo, exec_lo, s13
	s_and_saveexec_b32 s13, s40
	s_cbranch_execnz .LBB6_1325
	s_branch .LBB6_1326
.LBB6_2500:                             ;   in Loop: Header=BB6_130 Depth=2
	s_or_saveexec_b32 s13, s13
	v_mov_b32_e32 v1, 0x7f800001
	s_xor_b32 exec_lo, exec_lo, s13
	s_cbranch_execz .LBB6_1338
.LBB6_2501:                             ;   in Loop: Header=BB6_130 Depth=2
	v_cmp_ne_u16_sdwa s41, v0, v52 src0_sel:BYTE_3 src1_sel:DWORD
	v_mov_b32_e32 v1, 0
	s_andn2_b32 s40, s40, exec_lo
	s_and_b32 s41, s41, exec_lo
	s_or_b32 s40, s40, s41
	s_or_b32 exec_lo, exec_lo, s13
	s_and_saveexec_b32 s13, s40
	s_cbranch_execnz .LBB6_1339
	s_branch .LBB6_1340
.LBB6_2502:                             ;   in Loop: Header=BB6_130 Depth=2
	s_or_saveexec_b32 s13, s13
	v_mov_b32_e32 v0, 0x7f800001
	s_xor_b32 exec_lo, exec_lo, s13
	s_cbranch_execz .LBB6_1344
.LBB6_2503:                             ;   in Loop: Header=BB6_130 Depth=2
	v_cmp_ne_u16_sdwa s41, v25, v52 src0_sel:BYTE_3 src1_sel:DWORD
	v_mov_b32_e32 v0, 0
	s_andn2_b32 s40, s40, exec_lo
	s_and_b32 s41, s41, exec_lo
	s_or_b32 s40, s40, s41
	s_or_b32 exec_lo, exec_lo, s13
	s_and_saveexec_b32 s13, s40
	s_cbranch_execnz .LBB6_1345
	s_branch .LBB6_1346
.LBB6_2504:                             ;   in Loop: Header=BB6_130 Depth=2
	s_or_saveexec_b32 s13, s13
	v_mov_b32_e32 v1, 0x7f800001
	s_xor_b32 exec_lo, exec_lo, s13
	s_cbranch_execz .LBB6_1358
.LBB6_2505:                             ;   in Loop: Header=BB6_130 Depth=2
	v_cmp_ne_u16_sdwa s41, v0, v52 src0_sel:BYTE_0 src1_sel:DWORD
	v_mov_b32_e32 v1, 0
	s_andn2_b32 s40, s40, exec_lo
	s_and_b32 s41, s41, exec_lo
	s_or_b32 s40, s40, s41
	s_or_b32 exec_lo, exec_lo, s13
	s_and_saveexec_b32 s13, s40
	s_cbranch_execnz .LBB6_1359
	s_branch .LBB6_1360
.LBB6_2506:                             ;   in Loop: Header=BB6_130 Depth=2
	s_or_saveexec_b32 s13, s13
	v_mov_b32_e32 v4, 0x7f800001
	s_xor_b32 exec_lo, exec_lo, s13
	s_cbranch_execz .LBB6_1364
.LBB6_2507:                             ;   in Loop: Header=BB6_130 Depth=2
	v_cmp_ne_u16_sdwa s41, v18, v52 src0_sel:BYTE_0 src1_sel:DWORD
	v_mov_b32_e32 v4, 0
	s_andn2_b32 s40, s40, exec_lo
	s_and_b32 s41, s41, exec_lo
	s_or_b32 s40, s40, s41
	s_or_b32 exec_lo, exec_lo, s13
	s_and_saveexec_b32 s13, s40
	s_cbranch_execnz .LBB6_1365
	s_branch .LBB6_1366
.LBB6_2508:                             ;   in Loop: Header=BB6_130 Depth=2
	s_or_saveexec_b32 s40, s40
	v_mov_b32_e32 v1, 0x7f800001
	s_xor_b32 exec_lo, exec_lo, s40
	s_cbranch_execz .LBB6_1378
.LBB6_2509:                             ;   in Loop: Header=BB6_130 Depth=2
	v_cmp_ne_u16_sdwa s41, v0, v52 src0_sel:BYTE_1 src1_sel:DWORD
	v_mov_b32_e32 v1, 0
	s_andn2_b32 s13, s13, exec_lo
	s_and_b32 s41, s41, exec_lo
	s_or_b32 s13, s13, s41
	s_or_b32 exec_lo, exec_lo, s40
	s_and_saveexec_b32 s40, s13
	s_cbranch_execnz .LBB6_1379
	s_branch .LBB6_1380
.LBB6_2510:                             ;   in Loop: Header=BB6_130 Depth=2
	s_or_saveexec_b32 s40, s40
	v_mov_b32_e32 v4, 0x7f800001
	s_xor_b32 exec_lo, exec_lo, s40
	s_cbranch_execz .LBB6_1384
.LBB6_2511:                             ;   in Loop: Header=BB6_130 Depth=2
	v_cmp_ne_u16_sdwa s41, v18, v52 src0_sel:BYTE_1 src1_sel:DWORD
	v_mov_b32_e32 v4, 0
	s_andn2_b32 s13, s13, exec_lo
	s_and_b32 s41, s41, exec_lo
	s_or_b32 s13, s13, s41
	s_or_b32 exec_lo, exec_lo, s40
	s_and_saveexec_b32 s40, s13
	s_cbranch_execnz .LBB6_1385
	s_branch .LBB6_1386
.LBB6_2512:                             ;   in Loop: Header=BB6_130 Depth=2
	s_or_saveexec_b32 s13, s13
	v_mov_b32_e32 v1, 0x7f800001
	s_xor_b32 exec_lo, exec_lo, s13
	s_cbranch_execz .LBB6_1398
.LBB6_2513:                             ;   in Loop: Header=BB6_130 Depth=2
	v_cmp_ne_u16_sdwa s41, v4, v52 src0_sel:BYTE_0 src1_sel:DWORD
	v_mov_b32_e32 v1, 0
	s_andn2_b32 s40, s40, exec_lo
	s_and_b32 s41, s41, exec_lo
	s_or_b32 s40, s40, s41
	s_or_b32 exec_lo, exec_lo, s13
	v_lshl_or_b32 v0, v4, 16, v0
	s_and_saveexec_b32 s13, s40
	s_cbranch_execnz .LBB6_1399
	s_branch .LBB6_1400
.LBB6_2514:                             ;   in Loop: Header=BB6_130 Depth=2
	s_or_saveexec_b32 s13, s13
	v_mov_b32_e32 v4, 0x7f800001
	s_xor_b32 exec_lo, exec_lo, s13
	s_cbranch_execz .LBB6_1404
.LBB6_2515:                             ;   in Loop: Header=BB6_130 Depth=2
	v_cmp_ne_u16_e32 vcc_lo, 0, v5
	v_mov_b32_e32 v4, 0
	s_andn2_b32 s40, s40, exec_lo
	s_and_b32 s41, vcc_lo, exec_lo
	s_or_b32 s40, s40, s41
	s_or_b32 exec_lo, exec_lo, s13
	s_and_saveexec_b32 s13, s40
	s_cbranch_execnz .LBB6_1405
	s_branch .LBB6_1406
.LBB6_2516:                             ;   in Loop: Header=BB6_130 Depth=2
	s_or_saveexec_b32 s40, s40
	v_mov_b32_e32 v1, 0x7f800001
	s_xor_b32 exec_lo, exec_lo, s40
	s_cbranch_execz .LBB6_1418
.LBB6_2517:                             ;   in Loop: Header=BB6_130 Depth=2
	v_cmp_ne_u16_sdwa s41, v0, v52 src0_sel:BYTE_3 src1_sel:DWORD
	v_mov_b32_e32 v1, 0
	s_andn2_b32 s13, s13, exec_lo
	s_and_b32 s41, s41, exec_lo
	s_or_b32 s13, s13, s41
	s_or_b32 exec_lo, exec_lo, s40
	s_and_saveexec_b32 s40, s13
	s_cbranch_execnz .LBB6_1419
	s_branch .LBB6_1420
.LBB6_2518:                             ;   in Loop: Header=BB6_130 Depth=2
	s_or_saveexec_b32 s40, s40
	v_mov_b32_e32 v0, 0x7f800001
	s_xor_b32 exec_lo, exec_lo, s40
	s_cbranch_execz .LBB6_1424
.LBB6_2519:                             ;   in Loop: Header=BB6_130 Depth=2
	v_cmp_ne_u16_sdwa s41, v18, v52 src0_sel:BYTE_3 src1_sel:DWORD
	v_mov_b32_e32 v0, 0
	s_andn2_b32 s13, s13, exec_lo
	s_and_b32 s41, s41, exec_lo
	s_or_b32 s13, s13, s41
	s_or_b32 exec_lo, exec_lo, s40
	s_and_saveexec_b32 s40, s13
	s_cbranch_execnz .LBB6_1425
	s_branch .LBB6_1426
.LBB6_2520:                             ;   in Loop: Header=BB6_130 Depth=2
	s_or_saveexec_b32 s13, s13
	v_mov_b32_e32 v1, 0x7f800001
	s_xor_b32 exec_lo, exec_lo, s13
	s_cbranch_execz .LBB6_1438
.LBB6_2521:                             ;   in Loop: Header=BB6_130 Depth=2
	v_cmp_ne_u16_sdwa s41, v0, v52 src0_sel:BYTE_0 src1_sel:DWORD
	v_mov_b32_e32 v1, 0
	s_andn2_b32 s40, s40, exec_lo
	s_and_b32 s41, s41, exec_lo
	s_or_b32 s40, s40, s41
	s_or_b32 exec_lo, exec_lo, s13
	s_and_saveexec_b32 s13, s40
	s_cbranch_execnz .LBB6_1439
	s_branch .LBB6_1440
.LBB6_2522:                             ;   in Loop: Header=BB6_130 Depth=2
	s_or_saveexec_b32 s13, s13
	v_mov_b32_e32 v4, 0x7f800001
	s_xor_b32 exec_lo, exec_lo, s13
	s_cbranch_execz .LBB6_1444
.LBB6_2523:                             ;   in Loop: Header=BB6_130 Depth=2
	v_cmp_ne_u16_sdwa s41, v19, v52 src0_sel:BYTE_0 src1_sel:DWORD
	v_mov_b32_e32 v4, 0
	s_andn2_b32 s40, s40, exec_lo
	s_and_b32 s41, s41, exec_lo
	s_or_b32 s40, s40, s41
	s_or_b32 exec_lo, exec_lo, s13
	s_and_saveexec_b32 s13, s40
	s_cbranch_execnz .LBB6_1445
	s_branch .LBB6_1446
.LBB6_2524:                             ;   in Loop: Header=BB6_130 Depth=2
	s_or_saveexec_b32 s40, s40
	v_mov_b32_e32 v1, 0x7f800001
	s_xor_b32 exec_lo, exec_lo, s40
	s_cbranch_execz .LBB6_1458
.LBB6_2525:                             ;   in Loop: Header=BB6_130 Depth=2
	v_cmp_ne_u16_sdwa s41, v0, v52 src0_sel:BYTE_1 src1_sel:DWORD
	v_mov_b32_e32 v1, 0
	s_andn2_b32 s13, s13, exec_lo
	s_and_b32 s41, s41, exec_lo
	s_or_b32 s13, s13, s41
	s_or_b32 exec_lo, exec_lo, s40
	s_and_saveexec_b32 s40, s13
	s_cbranch_execnz .LBB6_1459
	s_branch .LBB6_1460
.LBB6_2526:                             ;   in Loop: Header=BB6_130 Depth=2
	s_or_saveexec_b32 s40, s40
	v_mov_b32_e32 v4, 0x7f800001
	s_xor_b32 exec_lo, exec_lo, s40
	s_cbranch_execz .LBB6_1464
.LBB6_2527:                             ;   in Loop: Header=BB6_130 Depth=2
	v_cmp_ne_u16_sdwa s41, v19, v52 src0_sel:BYTE_1 src1_sel:DWORD
	v_mov_b32_e32 v4, 0
	s_andn2_b32 s13, s13, exec_lo
	s_and_b32 s41, s41, exec_lo
	s_or_b32 s13, s13, s41
	s_or_b32 exec_lo, exec_lo, s40
	s_and_saveexec_b32 s40, s13
	s_cbranch_execnz .LBB6_1465
	s_branch .LBB6_1466
.LBB6_2528:                             ;   in Loop: Header=BB6_130 Depth=2
	s_or_saveexec_b32 s13, s13
	v_mov_b32_e32 v1, 0x7f800001
	s_xor_b32 exec_lo, exec_lo, s13
	s_cbranch_execz .LBB6_1478
.LBB6_2529:                             ;   in Loop: Header=BB6_130 Depth=2
	v_cmp_ne_u16_sdwa s41, v4, v52 src0_sel:BYTE_0 src1_sel:DWORD
	v_mov_b32_e32 v1, 0
	s_andn2_b32 s40, s40, exec_lo
	s_and_b32 s41, s41, exec_lo
	s_or_b32 s40, s40, s41
	s_or_b32 exec_lo, exec_lo, s13
	v_lshl_or_b32 v0, v4, 16, v0
	s_and_saveexec_b32 s13, s40
	s_cbranch_execnz .LBB6_1479
	s_branch .LBB6_1480
.LBB6_2530:                             ;   in Loop: Header=BB6_130 Depth=2
	s_or_saveexec_b32 s13, s13
	v_mov_b32_e32 v4, 0x7f800001
	s_xor_b32 exec_lo, exec_lo, s13
	s_cbranch_execz .LBB6_1484
.LBB6_2531:                             ;   in Loop: Header=BB6_130 Depth=2
	v_cmp_ne_u16_e32 vcc_lo, 0, v5
	v_mov_b32_e32 v4, 0
	s_andn2_b32 s40, s40, exec_lo
	s_and_b32 s41, vcc_lo, exec_lo
	s_or_b32 s40, s40, s41
	s_or_b32 exec_lo, exec_lo, s13
	s_and_saveexec_b32 s13, s40
	s_cbranch_execnz .LBB6_1485
	s_branch .LBB6_1486
.LBB6_2532:                             ;   in Loop: Header=BB6_130 Depth=2
	s_or_saveexec_b32 s40, s40
	v_mov_b32_e32 v1, 0x7f800001
	s_xor_b32 exec_lo, exec_lo, s40
	s_cbranch_execz .LBB6_1498
.LBB6_2533:                             ;   in Loop: Header=BB6_130 Depth=2
	v_cmp_ne_u16_sdwa s41, v0, v52 src0_sel:BYTE_3 src1_sel:DWORD
	v_mov_b32_e32 v1, 0
	s_andn2_b32 s13, s13, exec_lo
	s_and_b32 s41, s41, exec_lo
	s_or_b32 s13, s13, s41
	s_or_b32 exec_lo, exec_lo, s40
	s_and_saveexec_b32 s40, s13
	s_cbranch_execnz .LBB6_1499
	s_branch .LBB6_1500
.LBB6_2534:                             ;   in Loop: Header=BB6_130 Depth=2
	s_or_saveexec_b32 s40, s40
	v_mov_b32_e32 v0, 0x7f800001
	s_xor_b32 exec_lo, exec_lo, s40
	s_cbranch_execz .LBB6_1504
.LBB6_2535:                             ;   in Loop: Header=BB6_130 Depth=2
	v_cmp_ne_u16_sdwa s41, v19, v52 src0_sel:BYTE_3 src1_sel:DWORD
	v_mov_b32_e32 v0, 0
	s_andn2_b32 s13, s13, exec_lo
	s_and_b32 s41, s41, exec_lo
	s_or_b32 s13, s13, s41
	s_or_b32 exec_lo, exec_lo, s40
	s_and_saveexec_b32 s40, s13
	s_cbranch_execnz .LBB6_1505
	s_branch .LBB6_1506
.LBB6_2536:                             ;   in Loop: Header=BB6_130 Depth=2
	s_or_saveexec_b32 s13, s13
	v_mov_b32_e32 v0, 0x7f800001
	s_xor_b32 exec_lo, exec_lo, s13
	s_cbranch_execz .LBB6_1518
.LBB6_2537:                             ;   in Loop: Header=BB6_130 Depth=2
	v_cmp_ne_u16_sdwa s41, v1, v52 src0_sel:BYTE_0 src1_sel:DWORD
	v_mov_b32_e32 v0, 0
	s_andn2_b32 s40, s40, exec_lo
	s_and_b32 s41, s41, exec_lo
	s_or_b32 s40, s40, s41
	s_or_b32 exec_lo, exec_lo, s13
	s_and_saveexec_b32 s13, s40
	s_cbranch_execnz .LBB6_1519
	s_branch .LBB6_1520
.LBB6_2538:                             ;   in Loop: Header=BB6_130 Depth=2
	s_or_saveexec_b32 s13, s13
	v_mov_b32_e32 v4, 0x7f800001
	s_xor_b32 exec_lo, exec_lo, s13
	s_cbranch_execz .LBB6_1524
.LBB6_2539:                             ;   in Loop: Header=BB6_130 Depth=2
	v_cmp_ne_u16_sdwa s41, v20, v52 src0_sel:BYTE_0 src1_sel:DWORD
	v_mov_b32_e32 v4, 0
	s_andn2_b32 s40, s40, exec_lo
	s_and_b32 s41, s41, exec_lo
	s_or_b32 s40, s40, s41
	s_or_b32 exec_lo, exec_lo, s13
	s_and_saveexec_b32 s13, s40
	s_cbranch_execnz .LBB6_1525
	s_branch .LBB6_1526
.LBB6_2540:                             ;   in Loop: Header=BB6_130 Depth=2
	s_or_saveexec_b32 s40, s40
	v_mov_b32_e32 v0, 0x7f800001
	s_xor_b32 exec_lo, exec_lo, s40
	s_cbranch_execz .LBB6_1538
.LBB6_2541:                             ;   in Loop: Header=BB6_130 Depth=2
	v_cmp_ne_u16_sdwa s41, v1, v52 src0_sel:BYTE_1 src1_sel:DWORD
	v_mov_b32_e32 v0, 0
	s_andn2_b32 s13, s13, exec_lo
	s_and_b32 s41, s41, exec_lo
	s_or_b32 s13, s13, s41
	s_or_b32 exec_lo, exec_lo, s40
	s_and_saveexec_b32 s40, s13
	s_cbranch_execnz .LBB6_1539
	s_branch .LBB6_1540
.LBB6_2542:                             ;   in Loop: Header=BB6_130 Depth=2
	s_or_saveexec_b32 s40, s40
	v_mov_b32_e32 v4, 0x7f800001
	s_xor_b32 exec_lo, exec_lo, s40
	s_cbranch_execz .LBB6_1544
.LBB6_2543:                             ;   in Loop: Header=BB6_130 Depth=2
	v_cmp_ne_u16_sdwa s41, v20, v52 src0_sel:BYTE_1 src1_sel:DWORD
	v_mov_b32_e32 v4, 0
	s_andn2_b32 s13, s13, exec_lo
	s_and_b32 s41, s41, exec_lo
	s_or_b32 s13, s13, s41
	s_or_b32 exec_lo, exec_lo, s40
	s_and_saveexec_b32 s40, s13
	s_cbranch_execnz .LBB6_1545
	s_branch .LBB6_1546
.LBB6_2544:                             ;   in Loop: Header=BB6_130 Depth=2
	s_or_saveexec_b32 s13, s13
	v_mov_b32_e32 v5, 0x7f800001
	s_xor_b32 exec_lo, exec_lo, s13
	s_cbranch_execz .LBB6_1558
.LBB6_2545:                             ;   in Loop: Header=BB6_130 Depth=2
	v_cmp_ne_u16_sdwa s41, v4, v52 src0_sel:BYTE_0 src1_sel:DWORD
	v_mov_b32_e32 v5, 0
	s_andn2_b32 s40, s40, exec_lo
	s_and_b32 s41, s41, exec_lo
	s_or_b32 s40, s40, s41
	s_or_b32 exec_lo, exec_lo, s13
	v_lshl_or_b32 v4, v4, 16, v1
	s_and_saveexec_b32 s13, s40
	s_cbranch_execnz .LBB6_1559
	s_branch .LBB6_1560
.LBB6_2546:                             ;   in Loop: Header=BB6_130 Depth=2
	s_or_saveexec_b32 s13, s13
	v_mov_b32_e32 v1, 0x7f800001
	s_xor_b32 exec_lo, exec_lo, s13
	s_cbranch_execz .LBB6_1564
.LBB6_2547:                             ;   in Loop: Header=BB6_130 Depth=2
	v_cmp_ne_u16_e32 vcc_lo, 0, v6
	v_mov_b32_e32 v1, 0
	s_andn2_b32 s40, s40, exec_lo
	s_and_b32 s41, vcc_lo, exec_lo
	s_or_b32 s40, s40, s41
	s_or_b32 exec_lo, exec_lo, s13
	s_and_saveexec_b32 s13, s40
	s_cbranch_execnz .LBB6_1565
	s_branch .LBB6_1566
.LBB6_2548:                             ;   in Loop: Header=BB6_130 Depth=2
	s_or_saveexec_b32 s40, s40
	v_mov_b32_e32 v5, 0x7f800001
	s_xor_b32 exec_lo, exec_lo, s40
	s_cbranch_execz .LBB6_1578
.LBB6_2549:                             ;   in Loop: Header=BB6_130 Depth=2
	v_cmp_ne_u16_sdwa s41, v4, v52 src0_sel:BYTE_3 src1_sel:DWORD
	v_mov_b32_e32 v5, 0
	s_andn2_b32 s13, s13, exec_lo
	s_and_b32 s41, s41, exec_lo
	s_or_b32 s13, s13, s41
	s_or_b32 exec_lo, exec_lo, s40
	s_and_saveexec_b32 s40, s13
	s_cbranch_execnz .LBB6_1579
	s_branch .LBB6_1580
.LBB6_2550:                             ;   in Loop: Header=BB6_130 Depth=2
	s_or_saveexec_b32 s40, s40
	v_mov_b32_e32 v4, 0x7f800001
	s_xor_b32 exec_lo, exec_lo, s40
	s_cbranch_execz .LBB6_1584
.LBB6_2551:                             ;   in Loop: Header=BB6_130 Depth=2
	v_cmp_ne_u16_sdwa s41, v20, v52 src0_sel:BYTE_3 src1_sel:DWORD
	v_mov_b32_e32 v4, 0
	s_andn2_b32 s13, s13, exec_lo
	s_and_b32 s41, s41, exec_lo
	s_or_b32 s13, s13, s41
	s_or_b32 exec_lo, exec_lo, s40
	s_and_saveexec_b32 s40, s13
	s_cbranch_execnz .LBB6_1585
	s_branch .LBB6_1586
.LBB6_2552:                             ;   in Loop: Header=BB6_130 Depth=2
	s_or_saveexec_b32 s13, s13
	v_mov_b32_e32 v3, 0x7f800001
	s_xor_b32 exec_lo, exec_lo, s13
	s_cbranch_execz .LBB6_1598
.LBB6_2553:                             ;   in Loop: Header=BB6_130 Depth=2
	v_cmp_ne_u16_sdwa s41, v4, v52 src0_sel:BYTE_0 src1_sel:DWORD
	v_mov_b32_e32 v3, 0
	s_andn2_b32 s40, s40, exec_lo
	s_and_b32 s41, s41, exec_lo
	s_or_b32 s40, s40, s41
	s_or_b32 exec_lo, exec_lo, s13
	s_and_saveexec_b32 s13, s40
	s_cbranch_execnz .LBB6_1599
	s_branch .LBB6_1600
.LBB6_2554:                             ;   in Loop: Header=BB6_130 Depth=2
	s_or_saveexec_b32 s13, s13
	v_mov_b32_e32 v5, 0x7f800001
	s_xor_b32 exec_lo, exec_lo, s13
	s_cbranch_execz .LBB6_1604
.LBB6_2555:                             ;   in Loop: Header=BB6_130 Depth=2
	v_cmp_ne_u16_sdwa s41, v21, v52 src0_sel:BYTE_0 src1_sel:DWORD
	v_mov_b32_e32 v5, 0
	s_andn2_b32 s40, s40, exec_lo
	s_and_b32 s41, s41, exec_lo
	s_or_b32 s40, s40, s41
	s_or_b32 exec_lo, exec_lo, s13
	s_and_saveexec_b32 s13, s40
	s_cbranch_execnz .LBB6_1605
	s_branch .LBB6_1606
.LBB6_2556:                             ;   in Loop: Header=BB6_130 Depth=2
	s_or_saveexec_b32 s40, s40
	v_mov_b32_e32 v5, 0x7f800001
	s_xor_b32 exec_lo, exec_lo, s40
	s_cbranch_execz .LBB6_1618
.LBB6_2557:                             ;   in Loop: Header=BB6_130 Depth=2
	v_cmp_ne_u16_sdwa s41, v4, v52 src0_sel:BYTE_1 src1_sel:DWORD
	v_mov_b32_e32 v5, 0
	s_andn2_b32 s13, s13, exec_lo
	s_and_b32 s41, s41, exec_lo
	s_or_b32 s13, s13, s41
	s_or_b32 exec_lo, exec_lo, s40
	s_and_saveexec_b32 s40, s13
	s_cbranch_execnz .LBB6_1619
	s_branch .LBB6_1620
.LBB6_2558:                             ;   in Loop: Header=BB6_130 Depth=2
	s_or_saveexec_b32 s40, s40
	v_mov_b32_e32 v6, 0x7f800001
	s_xor_b32 exec_lo, exec_lo, s40
	s_cbranch_execz .LBB6_1624
.LBB6_2559:                             ;   in Loop: Header=BB6_130 Depth=2
	v_cmp_ne_u16_sdwa s41, v21, v52 src0_sel:BYTE_1 src1_sel:DWORD
	v_mov_b32_e32 v6, 0
	s_andn2_b32 s13, s13, exec_lo
	s_and_b32 s41, s41, exec_lo
	s_or_b32 s13, s13, s41
	s_or_b32 exec_lo, exec_lo, s40
	s_and_saveexec_b32 s40, s13
	s_cbranch_execnz .LBB6_1625
	s_branch .LBB6_1626
.LBB6_2560:                             ;   in Loop: Header=BB6_130 Depth=2
	s_or_saveexec_b32 s13, s13
	v_mov_b32_e32 v2, 0x7f800001
	s_xor_b32 exec_lo, exec_lo, s13
	s_cbranch_execz .LBB6_1638
.LBB6_2561:                             ;   in Loop: Header=BB6_130 Depth=2
	v_cmp_ne_u16_sdwa s41, v5, v52 src0_sel:BYTE_0 src1_sel:DWORD
	v_mov_b32_e32 v2, 0
	s_andn2_b32 s40, s40, exec_lo
	s_and_b32 s41, s41, exec_lo
	s_or_b32 s40, s40, s41
	s_or_b32 exec_lo, exec_lo, s13
	v_lshl_or_b32 v4, v5, 16, v4
	s_and_saveexec_b32 s13, s40
	s_cbranch_execnz .LBB6_1639
	s_branch .LBB6_1640
.LBB6_2562:                             ;   in Loop: Header=BB6_130 Depth=2
	s_or_saveexec_b32 s13, s13
	v_mov_b32_e32 v5, 0x7f800001
	s_xor_b32 exec_lo, exec_lo, s13
	s_cbranch_execz .LBB6_1644
.LBB6_2563:                             ;   in Loop: Header=BB6_130 Depth=2
	v_cmp_ne_u16_e32 vcc_lo, 0, v6
	v_mov_b32_e32 v5, 0
	s_andn2_b32 s40, s40, exec_lo
	s_and_b32 s41, vcc_lo, exec_lo
	s_or_b32 s40, s40, s41
	s_or_b32 exec_lo, exec_lo, s13
	s_and_saveexec_b32 s13, s40
	s_cbranch_execnz .LBB6_1645
	s_branch .LBB6_1646
.LBB6_2564:                             ;   in Loop: Header=BB6_130 Depth=2
	s_or_saveexec_b32 s40, s40
	v_mov_b32_e32 v5, 0x7f800001
	s_xor_b32 exec_lo, exec_lo, s40
	s_cbranch_execz .LBB6_1658
.LBB6_2565:                             ;   in Loop: Header=BB6_130 Depth=2
	v_cmp_ne_u16_sdwa s41, v4, v52 src0_sel:BYTE_3 src1_sel:DWORD
	v_mov_b32_e32 v5, 0
	s_andn2_b32 s13, s13, exec_lo
	s_and_b32 s41, s41, exec_lo
	s_or_b32 s13, s13, s41
	s_or_b32 exec_lo, exec_lo, s40
	s_and_saveexec_b32 s40, s13
	s_cbranch_execnz .LBB6_1659
	s_branch .LBB6_1660
.LBB6_2566:                             ;   in Loop: Header=BB6_130 Depth=2
	s_or_saveexec_b32 s40, s40
	v_mov_b32_e32 v4, 0x7f800001
	s_xor_b32 exec_lo, exec_lo, s40
	s_cbranch_execz .LBB6_1664
.LBB6_2567:                             ;   in Loop: Header=BB6_130 Depth=2
	v_cmp_ne_u16_sdwa s41, v21, v52 src0_sel:BYTE_3 src1_sel:DWORD
	v_mov_b32_e32 v4, 0
	s_andn2_b32 s13, s13, exec_lo
	s_and_b32 s41, s41, exec_lo
	s_or_b32 s13, s13, s41
	s_or_b32 exec_lo, exec_lo, s40
	s_and_saveexec_b32 s40, s13
	s_cbranch_execnz .LBB6_1665
	s_branch .LBB6_1666
.LBB6_2568:                             ;   in Loop: Header=BB6_130 Depth=2
	s_or_saveexec_b32 s13, s13
	v_mov_b32_e32 v5, 0x7f800001
	s_xor_b32 exec_lo, exec_lo, s13
	s_cbranch_execz .LBB6_1678
.LBB6_2569:                             ;   in Loop: Header=BB6_130 Depth=2
	v_cmp_ne_u16_sdwa s41, v4, v52 src0_sel:BYTE_0 src1_sel:DWORD
	v_mov_b32_e32 v5, 0
	s_andn2_b32 s40, s40, exec_lo
	s_and_b32 s41, s41, exec_lo
	s_or_b32 s40, s40, s41
	s_or_b32 exec_lo, exec_lo, s13
	s_and_saveexec_b32 s13, s40
	s_cbranch_execnz .LBB6_1679
	s_branch .LBB6_1680
.LBB6_2570:                             ;   in Loop: Header=BB6_130 Depth=2
	s_or_saveexec_b32 s13, s13
	v_mov_b32_e32 v6, 0x7f800001
	s_xor_b32 exec_lo, exec_lo, s13
	s_cbranch_execz .LBB6_1684
.LBB6_2571:                             ;   in Loop: Header=BB6_130 Depth=2
	v_cmp_ne_u16_sdwa s41, v14, v52 src0_sel:BYTE_0 src1_sel:DWORD
	v_mov_b32_e32 v6, 0
	s_andn2_b32 s40, s40, exec_lo
	s_and_b32 s41, s41, exec_lo
	s_or_b32 s40, s40, s41
	s_or_b32 exec_lo, exec_lo, s13
	s_and_saveexec_b32 s13, s40
	s_cbranch_execnz .LBB6_1685
	s_branch .LBB6_1686
.LBB6_2572:                             ;   in Loop: Header=BB6_130 Depth=2
	s_or_saveexec_b32 s40, s40
	v_mov_b32_e32 v5, 0x7f800001
	s_xor_b32 exec_lo, exec_lo, s40
	s_cbranch_execz .LBB6_1698
.LBB6_2573:                             ;   in Loop: Header=BB6_130 Depth=2
	v_cmp_ne_u16_sdwa s41, v4, v52 src0_sel:BYTE_1 src1_sel:DWORD
	v_mov_b32_e32 v5, 0
	s_andn2_b32 s13, s13, exec_lo
	s_and_b32 s41, s41, exec_lo
	s_or_b32 s13, s13, s41
	s_or_b32 exec_lo, exec_lo, s40
	s_and_saveexec_b32 s40, s13
	s_cbranch_execnz .LBB6_1699
	s_branch .LBB6_1700
.LBB6_2574:                             ;   in Loop: Header=BB6_130 Depth=2
	s_or_saveexec_b32 s40, s40
	v_mov_b32_e32 v6, 0x7f800001
	s_xor_b32 exec_lo, exec_lo, s40
	s_cbranch_execz .LBB6_1704
.LBB6_2575:                             ;   in Loop: Header=BB6_130 Depth=2
	v_cmp_ne_u16_sdwa s41, v14, v52 src0_sel:BYTE_1 src1_sel:DWORD
	v_mov_b32_e32 v6, 0
	s_andn2_b32 s13, s13, exec_lo
	s_and_b32 s41, s41, exec_lo
	s_or_b32 s13, s13, s41
	s_or_b32 exec_lo, exec_lo, s40
	s_and_saveexec_b32 s40, s13
	s_cbranch_execnz .LBB6_1705
	s_branch .LBB6_1706
.LBB6_2576:                             ;   in Loop: Header=BB6_130 Depth=2
	s_or_saveexec_b32 s13, s13
	v_mov_b32_e32 v6, 0x7f800001
	s_xor_b32 exec_lo, exec_lo, s13
	s_cbranch_execz .LBB6_1718
.LBB6_2577:                             ;   in Loop: Header=BB6_130 Depth=2
	v_cmp_ne_u16_sdwa s41, v5, v52 src0_sel:BYTE_0 src1_sel:DWORD
	v_mov_b32_e32 v6, 0
	s_andn2_b32 s40, s40, exec_lo
	s_and_b32 s41, s41, exec_lo
	s_or_b32 s40, s40, s41
	s_or_b32 exec_lo, exec_lo, s13
	v_lshl_or_b32 v5, v5, 16, v4
	s_and_saveexec_b32 s13, s40
	s_cbranch_execnz .LBB6_1719
	s_branch .LBB6_1720
.LBB6_2578:                             ;   in Loop: Header=BB6_130 Depth=2
	s_or_saveexec_b32 s13, s13
	v_mov_b32_e32 v4, 0x7f800001
	s_xor_b32 exec_lo, exec_lo, s13
	s_cbranch_execz .LBB6_1724
.LBB6_2579:                             ;   in Loop: Header=BB6_130 Depth=2
	v_cmp_ne_u16_e32 vcc_lo, 0, v7
	v_mov_b32_e32 v4, 0
	s_andn2_b32 s40, s40, exec_lo
	s_and_b32 s41, vcc_lo, exec_lo
	s_or_b32 s40, s40, s41
	s_or_b32 exec_lo, exec_lo, s13
	s_and_saveexec_b32 s13, s40
	s_cbranch_execnz .LBB6_1725
	s_branch .LBB6_1726
.LBB6_2580:                             ;   in Loop: Header=BB6_130 Depth=2
	s_or_saveexec_b32 s40, s40
	v_mov_b32_e32 v6, 0x7f800001
	s_xor_b32 exec_lo, exec_lo, s40
	s_cbranch_execz .LBB6_1738
.LBB6_2581:                             ;   in Loop: Header=BB6_130 Depth=2
	v_cmp_ne_u16_sdwa s41, v5, v52 src0_sel:BYTE_3 src1_sel:DWORD
	v_mov_b32_e32 v6, 0
	s_andn2_b32 s13, s13, exec_lo
	s_and_b32 s41, s41, exec_lo
	s_or_b32 s13, s13, s41
	s_or_b32 exec_lo, exec_lo, s40
	s_and_saveexec_b32 s40, s13
	s_cbranch_execnz .LBB6_1739
	s_branch .LBB6_1740
.LBB6_2582:                             ;   in Loop: Header=BB6_130 Depth=2
	s_or_saveexec_b32 s40, s40
	v_mov_b32_e32 v5, 0x7f800001
	s_xor_b32 exec_lo, exec_lo, s40
	s_cbranch_execz .LBB6_1744
.LBB6_2583:                             ;   in Loop: Header=BB6_130 Depth=2
	v_cmp_ne_u16_sdwa s41, v14, v52 src0_sel:BYTE_3 src1_sel:DWORD
	v_mov_b32_e32 v5, 0
	s_andn2_b32 s13, s13, exec_lo
	s_and_b32 s41, s41, exec_lo
	s_or_b32 s13, s13, s41
	s_or_b32 exec_lo, exec_lo, s40
	s_and_saveexec_b32 s40, s13
	s_cbranch_execnz .LBB6_1745
	s_branch .LBB6_1746
.LBB6_2584:                             ;   in Loop: Header=BB6_130 Depth=2
	s_or_saveexec_b32 s13, s13
	v_mov_b32_e32 v7, 0x7f800001
	s_xor_b32 exec_lo, exec_lo, s13
	s_cbranch_execz .LBB6_1758
.LBB6_2585:                             ;   in Loop: Header=BB6_130 Depth=2
	v_cmp_ne_u16_sdwa s41, v6, v52 src0_sel:BYTE_0 src1_sel:DWORD
	v_mov_b32_e32 v7, 0
	s_andn2_b32 s40, s40, exec_lo
	s_and_b32 s41, s41, exec_lo
	s_or_b32 s40, s40, s41
	s_or_b32 exec_lo, exec_lo, s13
	s_and_saveexec_b32 s13, s40
	s_cbranch_execnz .LBB6_1759
	s_branch .LBB6_1760
.LBB6_2586:                             ;   in Loop: Header=BB6_130 Depth=2
	s_or_saveexec_b32 s13, s13
	v_mov_b32_e32 v8, 0x7f800001
	s_xor_b32 exec_lo, exec_lo, s13
	s_cbranch_execz .LBB6_1764
.LBB6_2587:                             ;   in Loop: Header=BB6_130 Depth=2
	v_cmp_ne_u16_sdwa s41, v15, v52 src0_sel:BYTE_0 src1_sel:DWORD
	v_mov_b32_e32 v8, 0
	s_andn2_b32 s40, s40, exec_lo
	s_and_b32 s41, s41, exec_lo
	s_or_b32 s40, s40, s41
	s_or_b32 exec_lo, exec_lo, s13
	s_and_saveexec_b32 s13, s40
	s_cbranch_execnz .LBB6_1765
	s_branch .LBB6_1766
.LBB6_2588:                             ;   in Loop: Header=BB6_130 Depth=2
	s_or_saveexec_b32 s40, s40
	v_mov_b32_e32 v7, 0x7f800001
	s_xor_b32 exec_lo, exec_lo, s40
	s_cbranch_execz .LBB6_1778
.LBB6_2589:                             ;   in Loop: Header=BB6_130 Depth=2
	v_cmp_ne_u16_sdwa s41, v6, v52 src0_sel:BYTE_1 src1_sel:DWORD
	v_mov_b32_e32 v7, 0
	s_andn2_b32 s13, s13, exec_lo
	s_and_b32 s41, s41, exec_lo
	s_or_b32 s13, s13, s41
	s_or_b32 exec_lo, exec_lo, s40
	s_and_saveexec_b32 s40, s13
	s_cbranch_execnz .LBB6_1779
	s_branch .LBB6_1780
.LBB6_2590:                             ;   in Loop: Header=BB6_130 Depth=2
	s_or_saveexec_b32 s40, s40
	v_mov_b32_e32 v8, 0x7f800001
	s_xor_b32 exec_lo, exec_lo, s40
	s_cbranch_execz .LBB6_1784
.LBB6_2591:                             ;   in Loop: Header=BB6_130 Depth=2
	v_cmp_ne_u16_sdwa s41, v15, v52 src0_sel:BYTE_1 src1_sel:DWORD
	v_mov_b32_e32 v8, 0
	s_andn2_b32 s13, s13, exec_lo
	s_and_b32 s41, s41, exec_lo
	s_or_b32 s13, s13, s41
	s_or_b32 exec_lo, exec_lo, s40
	s_and_saveexec_b32 s40, s13
	s_cbranch_execnz .LBB6_1785
	s_branch .LBB6_1786
.LBB6_2592:                             ;   in Loop: Header=BB6_130 Depth=2
	s_or_saveexec_b32 s13, s13
	v_mov_b32_e32 v7, 0x7f800001
	s_xor_b32 exec_lo, exec_lo, s13
	s_cbranch_execz .LBB6_1798
.LBB6_2593:                             ;   in Loop: Header=BB6_130 Depth=2
	v_cmp_ne_u16_sdwa s41, v8, v52 src0_sel:BYTE_0 src1_sel:DWORD
	v_mov_b32_e32 v7, 0
	s_andn2_b32 s40, s40, exec_lo
	s_and_b32 s41, s41, exec_lo
	s_or_b32 s40, s40, s41
	s_or_b32 exec_lo, exec_lo, s13
	v_lshl_or_b32 v6, v8, 16, v6
	s_and_saveexec_b32 s13, s40
	s_cbranch_execnz .LBB6_1799
	s_branch .LBB6_1800
.LBB6_2594:                             ;   in Loop: Header=BB6_130 Depth=2
	s_or_saveexec_b32 s13, s13
	v_mov_b32_e32 v8, 0x7f800001
	s_xor_b32 exec_lo, exec_lo, s13
	s_cbranch_execz .LBB6_1804
.LBB6_2595:                             ;   in Loop: Header=BB6_130 Depth=2
	v_cmp_ne_u16_e32 vcc_lo, 0, v9
	v_mov_b32_e32 v8, 0
	s_andn2_b32 s40, s40, exec_lo
	s_and_b32 s41, vcc_lo, exec_lo
	s_or_b32 s40, s40, s41
	s_or_b32 exec_lo, exec_lo, s13
	s_and_saveexec_b32 s13, s40
	s_cbranch_execnz .LBB6_1805
	s_branch .LBB6_1806
.LBB6_2596:                             ;   in Loop: Header=BB6_130 Depth=2
	s_or_saveexec_b32 s40, s40
	v_mov_b32_e32 v7, 0x7f800001
	s_xor_b32 exec_lo, exec_lo, s40
	s_cbranch_execz .LBB6_1818
.LBB6_2597:                             ;   in Loop: Header=BB6_130 Depth=2
	v_cmp_ne_u16_sdwa s41, v6, v52 src0_sel:BYTE_3 src1_sel:DWORD
	v_mov_b32_e32 v7, 0
	s_andn2_b32 s13, s13, exec_lo
	s_and_b32 s41, s41, exec_lo
	s_or_b32 s13, s13, s41
	s_or_b32 exec_lo, exec_lo, s40
	s_and_saveexec_b32 s40, s13
	s_cbranch_execnz .LBB6_1819
	s_branch .LBB6_1820
.LBB6_2598:                             ;   in Loop: Header=BB6_130 Depth=2
	s_or_saveexec_b32 s40, s40
	v_mov_b32_e32 v6, 0x7f800001
	s_xor_b32 exec_lo, exec_lo, s40
	s_cbranch_execz .LBB6_1824
.LBB6_2599:                             ;   in Loop: Header=BB6_130 Depth=2
	v_cmp_ne_u16_sdwa s41, v15, v52 src0_sel:BYTE_3 src1_sel:DWORD
	v_mov_b32_e32 v6, 0
	s_andn2_b32 s13, s13, exec_lo
	s_and_b32 s41, s41, exec_lo
	s_or_b32 s13, s13, s41
	s_or_b32 exec_lo, exec_lo, s40
	s_and_saveexec_b32 s40, s13
	s_cbranch_execnz .LBB6_1825
	s_branch .LBB6_1826
.LBB6_2600:                             ;   in Loop: Header=BB6_130 Depth=2
	s_or_saveexec_b32 s13, s13
	v_mov_b32_e32 v7, 0x7f800001
	s_xor_b32 exec_lo, exec_lo, s13
	s_cbranch_execz .LBB6_1838
.LBB6_2601:                             ;   in Loop: Header=BB6_130 Depth=2
	v_cmp_ne_u16_sdwa s41, v9, v52 src0_sel:BYTE_0 src1_sel:DWORD
	v_mov_b32_e32 v7, 0
	s_andn2_b32 s40, s40, exec_lo
	s_and_b32 s41, s41, exec_lo
	s_or_b32 s40, s40, s41
	s_or_b32 exec_lo, exec_lo, s13
	s_and_saveexec_b32 s13, s40
	s_cbranch_execnz .LBB6_1839
	s_branch .LBB6_1840
.LBB6_2602:                             ;   in Loop: Header=BB6_130 Depth=2
	s_or_saveexec_b32 s13, s13
	v_mov_b32_e32 v8, 0x7f800001
	s_xor_b32 exec_lo, exec_lo, s13
	s_cbranch_execz .LBB6_1844
.LBB6_2603:                             ;   in Loop: Header=BB6_130 Depth=2
	v_cmp_ne_u16_sdwa s41, v16, v52 src0_sel:BYTE_0 src1_sel:DWORD
	v_mov_b32_e32 v8, 0
	s_andn2_b32 s40, s40, exec_lo
	s_and_b32 s41, s41, exec_lo
	s_or_b32 s40, s40, s41
	s_or_b32 exec_lo, exec_lo, s13
	s_and_saveexec_b32 s13, s40
	s_cbranch_execnz .LBB6_1845
	s_branch .LBB6_1846
.LBB6_2604:                             ;   in Loop: Header=BB6_130 Depth=2
	s_or_saveexec_b32 s40, s40
	v_mov_b32_e32 v8, 0x7f800001
	s_xor_b32 exec_lo, exec_lo, s40
	s_cbranch_execz .LBB6_1858
.LBB6_2605:                             ;   in Loop: Header=BB6_130 Depth=2
	v_cmp_ne_u16_sdwa s41, v9, v52 src0_sel:BYTE_1 src1_sel:DWORD
	v_mov_b32_e32 v8, 0
	s_andn2_b32 s13, s13, exec_lo
	s_and_b32 s41, s41, exec_lo
	s_or_b32 s13, s13, s41
	s_or_b32 exec_lo, exec_lo, s40
	s_and_saveexec_b32 s40, s13
	s_cbranch_execnz .LBB6_1859
	s_branch .LBB6_1860
.LBB6_2606:                             ;   in Loop: Header=BB6_130 Depth=2
	s_or_saveexec_b32 s40, s40
	v_mov_b32_e32 v15, 0x7f800001
	s_xor_b32 exec_lo, exec_lo, s40
	s_cbranch_execz .LBB6_1864
.LBB6_2607:                             ;   in Loop: Header=BB6_130 Depth=2
	v_cmp_ne_u16_sdwa s41, v16, v52 src0_sel:BYTE_1 src1_sel:DWORD
	v_mov_b32_e32 v15, 0
	s_andn2_b32 s13, s13, exec_lo
	s_and_b32 s41, s41, exec_lo
	s_or_b32 s13, s13, s41
	s_or_b32 exec_lo, exec_lo, s40
	s_and_saveexec_b32 s40, s13
	s_cbranch_execnz .LBB6_1865
	s_branch .LBB6_1866
.LBB6_2608:                             ;   in Loop: Header=BB6_130 Depth=2
	s_or_saveexec_b32 s13, s13
	v_mov_b32_e32 v32, 0x7f800001
	s_xor_b32 exec_lo, exec_lo, s13
	s_cbranch_execz .LBB6_1878
.LBB6_2609:                             ;   in Loop: Header=BB6_130 Depth=2
	v_cmp_ne_u16_sdwa s41, v15, v52 src0_sel:BYTE_0 src1_sel:DWORD
	v_mov_b32_e32 v32, 0
	s_andn2_b32 s40, s40, exec_lo
	s_and_b32 s41, s41, exec_lo
	s_or_b32 s40, s40, s41
	s_or_b32 exec_lo, exec_lo, s13
	v_lshl_or_b32 v15, v15, 16, v9
	s_and_saveexec_b32 s13, s40
	s_cbranch_execnz .LBB6_1879
	s_branch .LBB6_1880
.LBB6_2610:                             ;   in Loop: Header=BB6_130 Depth=2
	s_or_saveexec_b32 s13, s13
	v_mov_b32_e32 v9, 0x7f800001
	s_xor_b32 exec_lo, exec_lo, s13
	s_cbranch_execz .LBB6_1884
.LBB6_2611:                             ;   in Loop: Header=BB6_130 Depth=2
	v_cmp_ne_u16_e32 vcc_lo, 0, v33
	v_mov_b32_e32 v9, 0
	s_andn2_b32 s40, s40, exec_lo
	s_and_b32 s41, vcc_lo, exec_lo
	s_or_b32 s40, s40, s41
	s_or_b32 exec_lo, exec_lo, s13
	s_and_saveexec_b32 s13, s40
	s_cbranch_execnz .LBB6_1885
	s_branch .LBB6_1886
.LBB6_2612:                             ;   in Loop: Header=BB6_130 Depth=2
	s_or_saveexec_b32 s40, s40
	v_mov_b32_e32 v32, 0x7f800001
	s_xor_b32 exec_lo, exec_lo, s40
	s_cbranch_execz .LBB6_1898
.LBB6_2613:                             ;   in Loop: Header=BB6_130 Depth=2
	v_cmp_ne_u16_sdwa s41, v15, v52 src0_sel:BYTE_3 src1_sel:DWORD
	v_mov_b32_e32 v32, 0
	s_andn2_b32 s13, s13, exec_lo
	s_and_b32 s41, s41, exec_lo
	s_or_b32 s13, s13, s41
	s_or_b32 exec_lo, exec_lo, s40
	s_and_saveexec_b32 s40, s13
	s_cbranch_execnz .LBB6_1899
	s_branch .LBB6_1900
.LBB6_2614:                             ;   in Loop: Header=BB6_130 Depth=2
	s_or_saveexec_b32 s40, s40
	v_mov_b32_e32 v15, 0x7f800001
	s_xor_b32 exec_lo, exec_lo, s40
	s_cbranch_execz .LBB6_1904
.LBB6_2615:                             ;   in Loop: Header=BB6_130 Depth=2
	v_cmp_ne_u16_sdwa s41, v16, v52 src0_sel:BYTE_3 src1_sel:DWORD
	v_mov_b32_e32 v15, 0
	s_andn2_b32 s13, s13, exec_lo
	s_and_b32 s41, s41, exec_lo
	s_or_b32 s13, s13, s41
	s_or_b32 exec_lo, exec_lo, s40
	s_and_saveexec_b32 s40, s13
	s_cbranch_execnz .LBB6_1905
	s_branch .LBB6_1906
.LBB6_2616:                             ;   in Loop: Header=BB6_130 Depth=2
	s_or_saveexec_b32 s13, s13
	v_mov_b32_e32 v16, 0x7f800001
	s_xor_b32 exec_lo, exec_lo, s13
	s_cbranch_execz .LBB6_1918
.LBB6_2617:                             ;   in Loop: Header=BB6_130 Depth=2
	v_cmp_ne_u16_sdwa s41, v33, v52 src0_sel:BYTE_0 src1_sel:DWORD
	v_mov_b32_e32 v16, 0
	s_andn2_b32 s40, s40, exec_lo
	s_and_b32 s41, s41, exec_lo
	s_or_b32 s40, s40, s41
	s_or_b32 exec_lo, exec_lo, s13
	s_and_saveexec_b32 s13, s40
	s_cbranch_execnz .LBB6_1919
	s_branch .LBB6_1920
.LBB6_2618:                             ;   in Loop: Header=BB6_130 Depth=2
	s_or_saveexec_b32 s13, s13
	v_mov_b32_e32 v32, 0x7f800001
	s_xor_b32 exec_lo, exec_lo, s13
	s_cbranch_execz .LBB6_1924
.LBB6_2619:                             ;   in Loop: Header=BB6_130 Depth=2
	v_cmp_ne_u16_sdwa s41, v17, v52 src0_sel:BYTE_0 src1_sel:DWORD
	v_mov_b32_e32 v32, 0
	s_andn2_b32 s40, s40, exec_lo
	s_and_b32 s41, s41, exec_lo
	s_or_b32 s40, s40, s41
	s_or_b32 exec_lo, exec_lo, s13
	s_and_saveexec_b32 s13, s40
	s_cbranch_execnz .LBB6_1925
	s_branch .LBB6_1926
.LBB6_2620:                             ;   in Loop: Header=BB6_130 Depth=2
	s_or_saveexec_b32 s40, s40
	v_mov_b32_e32 v32, 0x7f800001
	s_xor_b32 exec_lo, exec_lo, s40
	s_cbranch_execz .LBB6_1938
.LBB6_2621:                             ;   in Loop: Header=BB6_130 Depth=2
	v_cmp_ne_u16_sdwa s41, v33, v52 src0_sel:BYTE_1 src1_sel:DWORD
	v_mov_b32_e32 v32, 0
	s_andn2_b32 s13, s13, exec_lo
	s_and_b32 s41, s41, exec_lo
	s_or_b32 s13, s13, s41
	s_or_b32 exec_lo, exec_lo, s40
	s_and_saveexec_b32 s40, s13
	s_cbranch_execnz .LBB6_1939
	s_branch .LBB6_1940
.LBB6_2622:                             ;   in Loop: Header=BB6_130 Depth=2
	s_or_saveexec_b32 s40, s40
	v_mov_b32_e32 v48, 0x7f800001
	s_xor_b32 exec_lo, exec_lo, s40
	s_cbranch_execz .LBB6_1944
.LBB6_2623:                             ;   in Loop: Header=BB6_130 Depth=2
	v_cmp_ne_u16_sdwa s41, v17, v52 src0_sel:BYTE_1 src1_sel:DWORD
	v_mov_b32_e32 v48, 0
	s_andn2_b32 s13, s13, exec_lo
	s_and_b32 s41, s41, exec_lo
	s_or_b32 s13, s13, s41
	s_or_b32 exec_lo, exec_lo, s40
	s_and_saveexec_b32 s40, s13
	s_cbranch_execnz .LBB6_1945
	s_branch .LBB6_1946
.LBB6_2624:                             ;   in Loop: Header=BB6_130 Depth=2
	s_or_saveexec_b32 s13, s13
	v_mov_b32_e32 v49, 0x7f800001
	s_xor_b32 exec_lo, exec_lo, s13
	s_cbranch_execz .LBB6_1958
.LBB6_2625:                             ;   in Loop: Header=BB6_130 Depth=2
	v_cmp_ne_u16_sdwa s41, v48, v52 src0_sel:BYTE_0 src1_sel:DWORD
	v_mov_b32_e32 v49, 0
	s_andn2_b32 s40, s40, exec_lo
	s_and_b32 s41, s41, exec_lo
	s_or_b32 s40, s40, s41
	s_or_b32 exec_lo, exec_lo, s13
	v_lshl_or_b32 v48, v48, 16, v33
	s_and_saveexec_b32 s13, s40
	s_cbranch_execnz .LBB6_1959
	s_branch .LBB6_1960
.LBB6_2626:                             ;   in Loop: Header=BB6_130 Depth=2
	s_or_saveexec_b32 s13, s13
	v_mov_b32_e32 v33, 0x7f800001
	s_xor_b32 exec_lo, exec_lo, s13
	s_cbranch_execz .LBB6_1964
.LBB6_2627:                             ;   in Loop: Header=BB6_130 Depth=2
	v_cmp_ne_u16_e32 vcc_lo, 0, v51
	v_mov_b32_e32 v33, 0
	s_andn2_b32 s40, s40, exec_lo
	s_and_b32 s41, vcc_lo, exec_lo
	s_or_b32 s40, s40, s41
	s_or_b32 exec_lo, exec_lo, s13
	s_and_saveexec_b32 s13, s40
	s_cbranch_execnz .LBB6_1965
	s_branch .LBB6_1966
.LBB6_2628:                             ;   in Loop: Header=BB6_130 Depth=2
	s_or_saveexec_b32 s40, s40
	v_mov_b32_e32 v49, 0x7f800001
	s_xor_b32 exec_lo, exec_lo, s40
	s_cbranch_execz .LBB6_1978
.LBB6_2629:                             ;   in Loop: Header=BB6_130 Depth=2
	v_cmp_ne_u16_sdwa s41, v48, v52 src0_sel:BYTE_3 src1_sel:DWORD
	v_mov_b32_e32 v49, 0
	s_andn2_b32 s13, s13, exec_lo
	s_and_b32 s41, s41, exec_lo
	s_or_b32 s13, s13, s41
	s_or_b32 exec_lo, exec_lo, s40
	s_and_saveexec_b32 s40, s13
	s_cbranch_execnz .LBB6_1979
	s_branch .LBB6_1980
.LBB6_2630:                             ;   in Loop: Header=BB6_130 Depth=2
	s_or_saveexec_b32 s40, s40
	v_mov_b32_e32 v48, 0x7f800001
	s_xor_b32 exec_lo, exec_lo, s40
	s_cbranch_execz .LBB6_1984
.LBB6_2631:                             ;   in Loop: Header=BB6_130 Depth=2
	v_cmp_ne_u16_sdwa s41, v17, v52 src0_sel:BYTE_3 src1_sel:DWORD
	v_mov_b32_e32 v48, 0
	s_andn2_b32 s13, s13, exec_lo
	s_and_b32 s41, s41, exec_lo
	s_or_b32 s13, s13, s41
	s_or_b32 exec_lo, exec_lo, s40
	s_and_saveexec_b32 s40, s13
	s_cbranch_execnz .LBB6_1985
	s_branch .LBB6_1986
.LBB6_2632:                             ;   in Loop: Header=BB6_130 Depth=2
	s_or_saveexec_b32 s13, s13
	v_mov_b32_e32 v48, 0x7f800001
	s_xor_b32 exec_lo, exec_lo, s13
	s_cbranch_execz .LBB6_1998
.LBB6_2633:                             ;   in Loop: Header=BB6_130 Depth=2
	v_cmp_ne_u16_sdwa s41, v51, v52 src0_sel:BYTE_0 src1_sel:DWORD
	v_mov_b32_e32 v48, 0
	s_andn2_b32 s40, s40, exec_lo
	s_and_b32 s41, s41, exec_lo
	s_or_b32 s40, s40, s41
	s_or_b32 exec_lo, exec_lo, s13
	s_and_saveexec_b32 s13, s40
	s_cbranch_execnz .LBB6_1999
	s_branch .LBB6_2000
.LBB6_2634:                             ;   in Loop: Header=BB6_130 Depth=2
	s_or_saveexec_b32 s13, s13
	v_mov_b32_e32 v49, 0x7f800001
	s_xor_b32 exec_lo, exec_lo, s13
	s_cbranch_execz .LBB6_2004
.LBB6_2635:                             ;   in Loop: Header=BB6_130 Depth=2
	v_cmp_ne_u16_sdwa s41, v10, v52 src0_sel:BYTE_0 src1_sel:DWORD
	v_mov_b32_e32 v49, 0
	s_andn2_b32 s40, s40, exec_lo
	s_and_b32 s41, s41, exec_lo
	s_or_b32 s40, s40, s41
	s_or_b32 exec_lo, exec_lo, s13
	s_and_saveexec_b32 s13, s40
	s_cbranch_execnz .LBB6_2005
	s_branch .LBB6_2006
.LBB6_2636:                             ;   in Loop: Header=BB6_130 Depth=2
	s_or_saveexec_b32 s40, s40
	v_mov_b32_e32 v49, 0x7f800001
	s_xor_b32 exec_lo, exec_lo, s40
	s_cbranch_execz .LBB6_2018
.LBB6_2637:                             ;   in Loop: Header=BB6_130 Depth=2
	v_cmp_ne_u16_sdwa s41, v51, v52 src0_sel:BYTE_1 src1_sel:DWORD
	v_mov_b32_e32 v49, 0
	s_andn2_b32 s13, s13, exec_lo
	s_and_b32 s41, s41, exec_lo
	s_or_b32 s13, s13, s41
	s_or_b32 exec_lo, exec_lo, s40
	s_and_saveexec_b32 s40, s13
	s_cbranch_execnz .LBB6_2019
	s_branch .LBB6_2020
.LBB6_2638:                             ;   in Loop: Header=BB6_130 Depth=2
	s_or_saveexec_b32 s40, s40
	v_mov_b32_e32 v84, 0x7f800001
	s_xor_b32 exec_lo, exec_lo, s40
	s_cbranch_execz .LBB6_2024
.LBB6_2639:                             ;   in Loop: Header=BB6_130 Depth=2
	v_cmp_ne_u16_sdwa s41, v10, v52 src0_sel:BYTE_1 src1_sel:DWORD
	v_mov_b32_e32 v84, 0
	s_andn2_b32 s13, s13, exec_lo
	s_and_b32 s41, s41, exec_lo
	s_or_b32 s13, s13, s41
	s_or_b32 exec_lo, exec_lo, s40
	s_and_saveexec_b32 s40, s13
	s_cbranch_execnz .LBB6_2025
	s_branch .LBB6_2026
.LBB6_2640:                             ;   in Loop: Header=BB6_130 Depth=2
	s_or_saveexec_b32 s13, s13
	v_mov_b32_e32 v85, 0x7f800001
	s_xor_b32 exec_lo, exec_lo, s13
	s_cbranch_execz .LBB6_2038
.LBB6_2641:                             ;   in Loop: Header=BB6_130 Depth=2
	v_cmp_ne_u16_sdwa s41, v84, v52 src0_sel:BYTE_0 src1_sel:DWORD
	v_mov_b32_e32 v85, 0
	s_andn2_b32 s40, s40, exec_lo
	s_and_b32 s41, s41, exec_lo
	s_or_b32 s40, s40, s41
	s_or_b32 exec_lo, exec_lo, s13
	v_lshl_or_b32 v84, v84, 16, v51
	s_and_saveexec_b32 s13, s40
	s_cbranch_execnz .LBB6_2039
	s_branch .LBB6_2040
.LBB6_2642:                             ;   in Loop: Header=BB6_130 Depth=2
	s_or_saveexec_b32 s13, s13
	v_mov_b32_e32 v51, 0x7f800001
	s_xor_b32 exec_lo, exec_lo, s13
	s_cbranch_execz .LBB6_2044
.LBB6_2643:                             ;   in Loop: Header=BB6_130 Depth=2
	v_cmp_ne_u16_e32 vcc_lo, 0, v87
	v_mov_b32_e32 v51, 0
	s_andn2_b32 s40, s40, exec_lo
	s_and_b32 s41, vcc_lo, exec_lo
	s_or_b32 s40, s40, s41
	s_or_b32 exec_lo, exec_lo, s13
	s_and_saveexec_b32 s13, s40
	s_cbranch_execnz .LBB6_2045
	s_branch .LBB6_2046
.LBB6_2644:                             ;   in Loop: Header=BB6_130 Depth=2
	s_or_saveexec_b32 s40, s40
	v_mov_b32_e32 v85, 0x7f800001
	s_xor_b32 exec_lo, exec_lo, s40
	s_cbranch_execz .LBB6_2058
.LBB6_2645:                             ;   in Loop: Header=BB6_130 Depth=2
	v_cmp_ne_u16_sdwa s41, v84, v52 src0_sel:BYTE_3 src1_sel:DWORD
	v_mov_b32_e32 v85, 0
	s_andn2_b32 s13, s13, exec_lo
	s_and_b32 s41, s41, exec_lo
	s_or_b32 s13, s13, s41
	s_or_b32 exec_lo, exec_lo, s40
	s_and_saveexec_b32 s40, s13
	s_cbranch_execnz .LBB6_2059
	s_branch .LBB6_2060
.LBB6_2646:                             ;   in Loop: Header=BB6_130 Depth=2
	s_or_saveexec_b32 s40, s40
	v_mov_b32_e32 v84, 0x7f800001
	s_xor_b32 exec_lo, exec_lo, s40
	s_cbranch_execz .LBB6_2064
.LBB6_2647:                             ;   in Loop: Header=BB6_130 Depth=2
	v_cmp_ne_u16_sdwa s41, v10, v52 src0_sel:BYTE_3 src1_sel:DWORD
	v_mov_b32_e32 v84, 0
	s_andn2_b32 s13, s13, exec_lo
	s_and_b32 s41, s41, exec_lo
	s_or_b32 s13, s13, s41
	s_or_b32 exec_lo, exec_lo, s40
	s_and_saveexec_b32 s40, s13
	s_cbranch_execnz .LBB6_2065
	s_branch .LBB6_2066
.LBB6_2648:                             ;   in Loop: Header=BB6_130 Depth=2
	s_or_saveexec_b32 s13, s13
	v_mov_b32_e32 v84, 0x7f800001
	s_xor_b32 exec_lo, exec_lo, s13
	s_cbranch_execz .LBB6_2078
.LBB6_2649:                             ;   in Loop: Header=BB6_130 Depth=2
	v_cmp_ne_u16_sdwa s41, v87, v52 src0_sel:BYTE_0 src1_sel:DWORD
	v_mov_b32_e32 v84, 0
	s_andn2_b32 s40, s40, exec_lo
	s_and_b32 s41, s41, exec_lo
	s_or_b32 s40, s40, s41
	s_or_b32 exec_lo, exec_lo, s13
	s_and_saveexec_b32 s13, s40
	s_cbranch_execnz .LBB6_2079
	s_branch .LBB6_2080
.LBB6_2650:                             ;   in Loop: Header=BB6_130 Depth=2
	s_or_saveexec_b32 s13, s13
	v_mov_b32_e32 v85, 0x7f800001
	s_xor_b32 exec_lo, exec_lo, s13
	s_cbranch_execz .LBB6_2084
.LBB6_2651:                             ;   in Loop: Header=BB6_130 Depth=2
	v_cmp_ne_u16_sdwa s41, v11, v52 src0_sel:BYTE_0 src1_sel:DWORD
	v_mov_b32_e32 v85, 0
	s_andn2_b32 s40, s40, exec_lo
	s_and_b32 s41, s41, exec_lo
	s_or_b32 s40, s40, s41
	s_or_b32 exec_lo, exec_lo, s13
	s_and_saveexec_b32 s13, s40
	s_cbranch_execnz .LBB6_2085
	s_branch .LBB6_2086
.LBB6_2652:                             ;   in Loop: Header=BB6_130 Depth=2
	s_or_saveexec_b32 s40, s40
	v_mov_b32_e32 v85, 0x7f800001
	s_xor_b32 exec_lo, exec_lo, s40
	s_cbranch_execz .LBB6_2098
.LBB6_2653:                             ;   in Loop: Header=BB6_130 Depth=2
	v_cmp_ne_u16_sdwa s41, v87, v52 src0_sel:BYTE_1 src1_sel:DWORD
	v_mov_b32_e32 v85, 0
	s_andn2_b32 s13, s13, exec_lo
	s_and_b32 s41, s41, exec_lo
	s_or_b32 s13, s13, s41
	s_or_b32 exec_lo, exec_lo, s40
	s_and_saveexec_b32 s40, s13
	s_cbranch_execnz .LBB6_2099
	s_branch .LBB6_2100
.LBB6_2654:                             ;   in Loop: Header=BB6_130 Depth=2
	s_or_saveexec_b32 s40, s40
	v_mov_b32_e32 v96, 0x7f800001
	s_xor_b32 exec_lo, exec_lo, s40
	s_cbranch_execz .LBB6_2104
.LBB6_2655:                             ;   in Loop: Header=BB6_130 Depth=2
	v_cmp_ne_u16_sdwa s41, v11, v52 src0_sel:BYTE_1 src1_sel:DWORD
	v_mov_b32_e32 v96, 0
	s_andn2_b32 s13, s13, exec_lo
	s_and_b32 s41, s41, exec_lo
	s_or_b32 s13, s13, s41
	s_or_b32 exec_lo, exec_lo, s40
	s_and_saveexec_b32 s40, s13
	s_cbranch_execnz .LBB6_2105
	s_branch .LBB6_2106
.LBB6_2656:                             ;   in Loop: Header=BB6_130 Depth=2
	s_or_saveexec_b32 s13, s13
	v_mov_b32_e32 v98, 0x7f800001
	s_xor_b32 exec_lo, exec_lo, s13
	s_cbranch_execz .LBB6_2118
.LBB6_2657:                             ;   in Loop: Header=BB6_130 Depth=2
	v_cmp_ne_u16_sdwa s41, v96, v52 src0_sel:BYTE_0 src1_sel:DWORD
	v_mov_b32_e32 v98, 0
	s_andn2_b32 s40, s40, exec_lo
	s_and_b32 s41, s41, exec_lo
	s_or_b32 s40, s40, s41
	s_or_b32 exec_lo, exec_lo, s13
	v_lshl_or_b32 v96, v96, 16, v87
	s_and_saveexec_b32 s13, s40
	s_cbranch_execnz .LBB6_2119
	s_branch .LBB6_2120
.LBB6_2658:                             ;   in Loop: Header=BB6_130 Depth=2
	s_or_saveexec_b32 s13, s13
	v_mov_b32_e32 v87, 0x7f800001
	s_xor_b32 exec_lo, exec_lo, s13
	s_cbranch_execz .LBB6_2124
.LBB6_2659:                             ;   in Loop: Header=BB6_130 Depth=2
	v_cmp_ne_u16_e32 vcc_lo, 0, v103
	v_mov_b32_e32 v87, 0
	s_andn2_b32 s40, s40, exec_lo
	s_and_b32 s41, vcc_lo, exec_lo
	s_or_b32 s40, s40, s41
	s_or_b32 exec_lo, exec_lo, s13
	s_and_saveexec_b32 s13, s40
	s_cbranch_execnz .LBB6_2125
	s_branch .LBB6_2126
.LBB6_2660:                             ;   in Loop: Header=BB6_130 Depth=2
	s_or_saveexec_b32 s40, s40
	v_mov_b32_e32 v98, 0x7f800001
	s_xor_b32 exec_lo, exec_lo, s40
	s_cbranch_execz .LBB6_2138
.LBB6_2661:                             ;   in Loop: Header=BB6_130 Depth=2
	v_cmp_ne_u16_sdwa s41, v96, v52 src0_sel:BYTE_3 src1_sel:DWORD
	v_mov_b32_e32 v98, 0
	s_andn2_b32 s13, s13, exec_lo
	s_and_b32 s41, s41, exec_lo
	s_or_b32 s13, s13, s41
	s_or_b32 exec_lo, exec_lo, s40
	s_and_saveexec_b32 s40, s13
	s_cbranch_execnz .LBB6_2139
	s_branch .LBB6_2140
.LBB6_2662:                             ;   in Loop: Header=BB6_130 Depth=2
	s_or_saveexec_b32 s40, s40
	v_mov_b32_e32 v96, 0x7f800001
	s_xor_b32 exec_lo, exec_lo, s40
	s_cbranch_execz .LBB6_2144
.LBB6_2663:                             ;   in Loop: Header=BB6_130 Depth=2
	v_cmp_ne_u16_sdwa s41, v11, v52 src0_sel:BYTE_3 src1_sel:DWORD
	v_mov_b32_e32 v96, 0
	s_andn2_b32 s13, s13, exec_lo
	s_and_b32 s41, s41, exec_lo
	s_or_b32 s13, s13, s41
	s_or_b32 exec_lo, exec_lo, s40
	s_and_saveexec_b32 s40, s13
	s_cbranch_execnz .LBB6_2145
	s_branch .LBB6_2146
.LBB6_2664:                             ;   in Loop: Header=BB6_130 Depth=2
	s_or_saveexec_b32 s13, s13
	v_mov_b32_e32 v96, 0x7f800001
	s_xor_b32 exec_lo, exec_lo, s13
	s_cbranch_execz .LBB6_2158
.LBB6_2665:                             ;   in Loop: Header=BB6_130 Depth=2
	v_cmp_ne_u16_sdwa s41, v103, v52 src0_sel:BYTE_0 src1_sel:DWORD
	v_mov_b32_e32 v96, 0
	s_andn2_b32 s40, s40, exec_lo
	s_and_b32 s41, s41, exec_lo
	s_or_b32 s40, s40, s41
	s_or_b32 exec_lo, exec_lo, s13
	s_and_saveexec_b32 s13, s40
	s_cbranch_execnz .LBB6_2159
	s_branch .LBB6_2160
.LBB6_2666:                             ;   in Loop: Header=BB6_130 Depth=2
	s_or_saveexec_b32 s13, s13
	v_mov_b32_e32 v98, 0x7f800001
	s_xor_b32 exec_lo, exec_lo, s13
	s_cbranch_execz .LBB6_2164
.LBB6_2667:                             ;   in Loop: Header=BB6_130 Depth=2
	v_cmp_ne_u16_sdwa s41, v12, v52 src0_sel:BYTE_0 src1_sel:DWORD
	v_mov_b32_e32 v98, 0
	s_andn2_b32 s40, s40, exec_lo
	s_and_b32 s41, s41, exec_lo
	s_or_b32 s40, s40, s41
	s_or_b32 exec_lo, exec_lo, s13
	s_and_saveexec_b32 s13, s40
	s_cbranch_execnz .LBB6_2165
	s_branch .LBB6_2166
.LBB6_2668:                             ;   in Loop: Header=BB6_130 Depth=2
	s_or_saveexec_b32 s40, s40
	v_mov_b32_e32 v98, 0x7f800001
	s_xor_b32 exec_lo, exec_lo, s40
	s_cbranch_execz .LBB6_2178
.LBB6_2669:                             ;   in Loop: Header=BB6_130 Depth=2
	v_cmp_ne_u16_sdwa s41, v103, v52 src0_sel:BYTE_1 src1_sel:DWORD
	v_mov_b32_e32 v98, 0
	s_andn2_b32 s13, s13, exec_lo
	s_and_b32 s41, s41, exec_lo
	s_or_b32 s13, s13, s41
	s_or_b32 exec_lo, exec_lo, s40
	s_and_saveexec_b32 s40, s13
	s_cbranch_execnz .LBB6_2179
	s_branch .LBB6_2180
.LBB6_2670:                             ;   in Loop: Header=BB6_130 Depth=2
	s_or_saveexec_b32 s40, s40
	v_mov_b32_e32 v112, 0x7f800001
	s_xor_b32 exec_lo, exec_lo, s40
	s_cbranch_execz .LBB6_2184
.LBB6_2671:                             ;   in Loop: Header=BB6_130 Depth=2
	v_cmp_ne_u16_sdwa s41, v12, v52 src0_sel:BYTE_1 src1_sel:DWORD
	v_mov_b32_e32 v112, 0
	s_andn2_b32 s13, s13, exec_lo
	s_and_b32 s41, s41, exec_lo
	s_or_b32 s13, s13, s41
	s_or_b32 exec_lo, exec_lo, s40
	s_and_saveexec_b32 s40, s13
	s_cbranch_execnz .LBB6_2185
	s_branch .LBB6_2186
.LBB6_2672:                             ;   in Loop: Header=BB6_130 Depth=2
	s_or_saveexec_b32 s13, s13
	v_mov_b32_e32 v45, 0x7f800001
	s_xor_b32 exec_lo, exec_lo, s13
	s_cbranch_execz .LBB6_2198
.LBB6_2673:                             ;   in Loop: Header=BB6_130 Depth=2
	v_cmp_ne_u16_sdwa s41, v112, v52 src0_sel:BYTE_0 src1_sel:DWORD
	v_mov_b32_e32 v45, 0
	s_andn2_b32 s40, s40, exec_lo
	s_and_b32 s41, s41, exec_lo
	s_or_b32 s40, s40, s41
	s_or_b32 exec_lo, exec_lo, s13
	v_lshl_or_b32 v112, v112, 16, v103
	s_and_saveexec_b32 s13, s40
	s_cbranch_execnz .LBB6_2199
	s_branch .LBB6_2200
.LBB6_2674:                             ;   in Loop: Header=BB6_130 Depth=2
	s_or_saveexec_b32 s13, s13
	v_mov_b32_e32 v103, 0x7f800001
	s_xor_b32 exec_lo, exec_lo, s13
	s_cbranch_execz .LBB6_2204
.LBB6_2675:                             ;   in Loop: Header=BB6_130 Depth=2
	v_cmp_ne_u16_e32 vcc_lo, 0, v47
	v_mov_b32_e32 v103, 0
	s_andn2_b32 s40, s40, exec_lo
	s_and_b32 s41, vcc_lo, exec_lo
	s_or_b32 s40, s40, s41
	s_or_b32 exec_lo, exec_lo, s13
	s_and_saveexec_b32 s13, s40
	s_cbranch_execnz .LBB6_2205
	s_branch .LBB6_2206
.LBB6_2676:                             ;   in Loop: Header=BB6_130 Depth=2
	s_or_saveexec_b32 s40, s40
	v_mov_b32_e32 v45, 0x7f800001
	s_xor_b32 exec_lo, exec_lo, s40
	s_cbranch_execz .LBB6_2218
.LBB6_2677:                             ;   in Loop: Header=BB6_130 Depth=2
	v_cmp_ne_u16_sdwa s41, v112, v52 src0_sel:BYTE_3 src1_sel:DWORD
	v_mov_b32_e32 v45, 0
	s_andn2_b32 s13, s13, exec_lo
	s_and_b32 s41, s41, exec_lo
	s_or_b32 s13, s13, s41
	s_or_b32 exec_lo, exec_lo, s40
	s_and_saveexec_b32 s40, s13
	s_cbranch_execnz .LBB6_2219
	s_branch .LBB6_2220
.LBB6_2678:                             ;   in Loop: Header=BB6_130 Depth=2
	s_or_saveexec_b32 s40, s40
	v_mov_b32_e32 v112, 0x7f800001
	s_xor_b32 exec_lo, exec_lo, s40
	s_cbranch_execz .LBB6_2224
.LBB6_2679:                             ;   in Loop: Header=BB6_130 Depth=2
	v_cmp_ne_u16_sdwa s41, v12, v52 src0_sel:BYTE_3 src1_sel:DWORD
	v_mov_b32_e32 v112, 0
	s_andn2_b32 s13, s13, exec_lo
	s_and_b32 s41, s41, exec_lo
	s_or_b32 s13, s13, s41
	s_or_b32 exec_lo, exec_lo, s40
	s_and_saveexec_b32 s40, s13
	s_cbranch_execnz .LBB6_2225
	s_branch .LBB6_2226
.LBB6_2680:                             ;   in Loop: Header=BB6_130 Depth=2
	s_or_saveexec_b32 s13, s13
	v_mov_b32_e32 v112, 0x7f800001
	s_xor_b32 exec_lo, exec_lo, s13
	s_cbranch_execz .LBB6_2238
.LBB6_2681:                             ;   in Loop: Header=BB6_130 Depth=2
	v_cmp_ne_u16_sdwa s41, v45, v52 src0_sel:BYTE_0 src1_sel:DWORD
	v_mov_b32_e32 v112, 0
	s_andn2_b32 s40, s40, exec_lo
	s_and_b32 s41, s41, exec_lo
	s_or_b32 s40, s40, s41
	s_or_b32 exec_lo, exec_lo, s13
	s_and_saveexec_b32 s13, s40
	s_cbranch_execnz .LBB6_2239
	s_branch .LBB6_2240
.LBB6_2682:                             ;   in Loop: Header=BB6_130 Depth=2
	s_or_saveexec_b32 s13, s13
	v_mov_b32_e32 v42, 0x7f800001
	s_xor_b32 exec_lo, exec_lo, s13
	s_cbranch_execz .LBB6_2244
.LBB6_2683:                             ;   in Loop: Header=BB6_130 Depth=2
	v_cmp_ne_u16_sdwa s41, v13, v52 src0_sel:BYTE_0 src1_sel:DWORD
	v_mov_b32_e32 v42, 0
	s_andn2_b32 s40, s40, exec_lo
	s_and_b32 s41, s41, exec_lo
	s_or_b32 s40, s40, s41
	s_or_b32 exec_lo, exec_lo, s13
	s_and_saveexec_b32 s13, s40
	s_cbranch_execnz .LBB6_2245
	s_branch .LBB6_2246
.LBB6_2684:                             ;   in Loop: Header=BB6_130 Depth=2
	s_or_saveexec_b32 s40, s40
	v_mov_b32_e32 v42, 0x7f800001
	s_xor_b32 exec_lo, exec_lo, s40
	s_cbranch_execz .LBB6_2258
.LBB6_2685:                             ;   in Loop: Header=BB6_130 Depth=2
	v_cmp_ne_u16_sdwa s41, v45, v52 src0_sel:BYTE_1 src1_sel:DWORD
	v_mov_b32_e32 v42, 0
	s_andn2_b32 s13, s13, exec_lo
	s_and_b32 s41, s41, exec_lo
	s_or_b32 s13, s13, s41
	s_or_b32 exec_lo, exec_lo, s40
	s_and_saveexec_b32 s40, s13
	s_cbranch_execnz .LBB6_2259
	s_branch .LBB6_2260
.LBB6_2686:                             ;   in Loop: Header=BB6_130 Depth=2
	s_or_saveexec_b32 s40, s40
	v_mov_b32_e32 v46, 0x7f800001
	s_xor_b32 exec_lo, exec_lo, s40
	s_cbranch_execz .LBB6_2264
.LBB6_2687:                             ;   in Loop: Header=BB6_130 Depth=2
	v_cmp_ne_u16_sdwa s41, v13, v52 src0_sel:BYTE_1 src1_sel:DWORD
	v_mov_b32_e32 v46, 0
	s_andn2_b32 s13, s13, exec_lo
	s_and_b32 s41, s41, exec_lo
	s_or_b32 s13, s13, s41
	s_or_b32 exec_lo, exec_lo, s40
	s_and_saveexec_b32 s40, s13
	s_cbranch_execnz .LBB6_2265
	s_branch .LBB6_2266
.LBB6_2688:                             ;   in Loop: Header=BB6_130 Depth=2
	s_or_saveexec_b32 s13, s13
	v_mov_b32_e32 v41, 0x7f800001
	s_xor_b32 exec_lo, exec_lo, s13
	s_cbranch_execz .LBB6_2278
.LBB6_2689:                             ;   in Loop: Header=BB6_130 Depth=2
	v_cmp_ne_u16_sdwa s41, v44, v52 src0_sel:BYTE_0 src1_sel:DWORD
	v_mov_b32_e32 v41, 0
	s_andn2_b32 s40, s40, exec_lo
	s_and_b32 s41, s41, exec_lo
	s_or_b32 s40, s40, s41
	s_or_b32 exec_lo, exec_lo, s13
	v_lshl_or_b32 v44, v44, 16, v45
	s_and_saveexec_b32 s13, s40
	s_cbranch_execnz .LBB6_2279
	s_branch .LBB6_2280
.LBB6_2690:                             ;   in Loop: Header=BB6_130 Depth=2
	s_or_saveexec_b32 s13, s13
	v_mov_b32_e32 v45, 0x7f800001
	s_xor_b32 exec_lo, exec_lo, s13
	s_cbranch_execz .LBB6_2284
.LBB6_2691:                             ;   in Loop: Header=BB6_130 Depth=2
	v_cmp_ne_u16_e32 vcc_lo, 0, v46
	v_mov_b32_e32 v45, 0
	s_andn2_b32 s40, s40, exec_lo
	s_and_b32 s41, vcc_lo, exec_lo
	s_or_b32 s40, s40, s41
	s_or_b32 exec_lo, exec_lo, s13
	s_and_saveexec_b32 s13, s40
	s_cbranch_execnz .LBB6_2285
	s_branch .LBB6_2286
.LBB6_2692:                             ;   in Loop: Header=BB6_130 Depth=2
	s_or_saveexec_b32 s40, s40
	v_mov_b32_e32 v45, 0x7f800001
	s_xor_b32 exec_lo, exec_lo, s40
	s_cbranch_execz .LBB6_2298
.LBB6_2693:                             ;   in Loop: Header=BB6_130 Depth=2
	v_cmp_ne_u16_sdwa s41, v44, v52 src0_sel:BYTE_3 src1_sel:DWORD
	v_mov_b32_e32 v45, 0
	s_andn2_b32 s13, s13, exec_lo
	s_and_b32 s41, s41, exec_lo
	s_or_b32 s13, s13, s41
	s_or_b32 exec_lo, exec_lo, s40
	s_and_saveexec_b32 s40, s13
	s_cbranch_execnz .LBB6_2299
	s_branch .LBB6_2300
.LBB6_2694:                             ;   in Loop: Header=BB6_130 Depth=2
	s_or_saveexec_b32 s40, s40
	v_mov_b32_e32 v44, 0x7f800001
	s_xor_b32 exec_lo, exec_lo, s40
	s_cbranch_execz .LBB6_2304
.LBB6_2695:                             ;   in Loop: Header=BB6_130 Depth=2
	v_cmp_ne_u16_sdwa s41, v13, v52 src0_sel:BYTE_3 src1_sel:DWORD
	v_mov_b32_e32 v44, 0
	s_andn2_b32 s13, s13, exec_lo
	s_and_b32 s41, s41, exec_lo
	s_or_b32 s13, s13, s41
	s_or_b32 exec_lo, exec_lo, s40
	s_and_saveexec_b32 s40, s13
	s_cbranch_execnz .LBB6_2305
	s_branch .LBB6_2306
.LBB6_2696:                             ;   in Loop: Header=BB6_49 Depth=1
	s_or_b32 exec_lo, exec_lo, s26
.LBB6_2697:                             ;   in Loop: Header=BB6_49 Depth=1
	s_or_b32 exec_lo, exec_lo, s14
	v_and_b32_e32 v4, 0x3ffff800, v53
	v_mov_b32_e32 v2, 0
	s_mov_b32 s13, 0
	s_mov_b32 s26, exec_lo
                                        ; implicit-def: $vgpr3
                                        ; implicit-def: $vgpr18
	v_cmpx_ne_u32_e64 v53, v4
	s_cbranch_execz .LBB6_3351
; %bb.2698:                             ;   in Loop: Header=BB6_49 Depth=1
	buffer_load_dword v1, off, s[0:3], s33 offset:232 ; 4-byte Folded Reload
	v_lshlrev_b32_e32 v0, 5, v119
	v_bfe_u32 v7, v53, 9, 2
	v_and_b32_e32 v6, 0x7ff, v53
	s_mov_b32 s27, exec_lo
	s_waitcnt vmcnt(0)
	v_sub_nc_u32_e32 v0, v1, v0
	v_ashrrev_i32_e32 v1, 31, v0
	v_lshrrev_b32_e32 v1, 27, v1
	v_add_nc_u32_e32 v1, v0, v1
	v_and_b32_e32 v2, 0xffffffe0, v1
	v_sub_nc_u32_e32 v0, v0, v2
	v_ashrrev_i32_e32 v2, 5, v1
	v_and_b32_e32 v1, 0x1ff, v53
	v_lshlrev_b32_e32 v3, 4, v0
	v_cmp_lt_u32_e64 s13, 15, v1
	v_lshl_add_u32 v5, v2, 9, v3
	v_add_co_ci_u32_e64 v7, null, 0, v7, s13
	v_sub_nc_u32_e32 v3, v6, v5
	v_sub_nc_u32_e32 v2, v7, v2
	v_cmpx_lt_i32_e32 15, v3
	s_cbranch_execz .LBB6_3350
; %bb.2699:                             ;   in Loop: Header=BB6_49 Depth=1
	s_trap 2
	ds_read_b64 v[6:7], v0
	v_add_nc_u32_e32 v4, v5, v4
	v_ashrrev_i32_e32 v5, 31, v4
	v_add_co_u32 v14, vcc_lo, v4, v66
	v_add_co_ci_u32_e64 v15, null, v5, v67, vcc_lo
	v_add_co_u32 v16, vcc_lo, v4, v68
	v_add_co_ci_u32_e64 v17, null, v5, v69, vcc_lo
	s_waitcnt lgkmcnt(0)
	v_readfirstlane_b32 s14, v6
	v_add_co_u32 v18, vcc_lo, v6, v4
	v_add_co_ci_u32_e64 v19, null, v7, v5, vcc_lo
	s_and_b32 s28, s14, 7
	s_bfe_u32 s41, s14, 0x40003
	s_flbit_i32_b32 s29, s28
	s_min_u32 s29, s29, 32
	s_sub_i32 s40, s29, 28
	s_sub_i32 s29, 29, s29
	s_lshl_b32 s40, s14, s40
	s_and_b32 s40, s40, 7
	s_cmp_eq_u32 s41, 0
	s_cselect_b32 s29, s29, s41
	s_cselect_b32 s28, s40, s28
	s_lshl_b32 s40, s14, 24
	s_lshl_b32 s29, s29, 23
	s_and_b32 s40, s40, 0x80000000
	s_add_i32 s29, s29, 0x3b800000
	s_lshl_b32 s41, s28, 20
	s_or_b32 s29, s40, s29
	s_mov_b32 s28, 0
	s_or_b32 s29, s29, s41
	s_and_b32 s40, s14, 0xff
	s_branch .LBB6_2703
.LBB6_2700:                             ;   in Loop: Header=BB6_2703 Depth=2
	s_or_b32 exec_lo, exec_lo, s14
	v_lshrrev_b32_e32 v20, 20, v20
	v_min_i32_e32 v27, 15, v13
	v_cmp_gt_i32_e32 vcc_lo, 16, v13
	v_and_b32_sdwa v8, v8, v114 dst_sel:DWORD dst_unused:UNUSED_PAD src0_sel:BYTE_3 src1_sel:DWORD
	v_lshlrev_b32_e32 v27, 3, v27
	v_cndmask_b32_e32 v20, 7, v20, vcc_lo
	v_and_b32_e32 v27, 0xf8, v27
	v_and_b32_e32 v29, 7, v20
	v_or_b32_e32 v13, v13, v20
	v_or3_b32 v8, v8, v27, v29
	v_cmp_ne_u32_e32 vcc_lo, 0, v13
	v_lshlrev_b32_e32 v8, 8, v8
	v_cndmask_b32_e32 v13, 0, v8, vcc_lo
.LBB6_2701:                             ;   in Loop: Header=BB6_2703 Depth=2
	s_or_b32 exec_lo, exec_lo, s42
.LBB6_2702:                             ;   in Loop: Header=BB6_2703 Depth=2
	s_or_b32 exec_lo, exec_lo, s41
	v_or_b32_sdwa v8, v11, v24 dst_sel:WORD_1 dst_unused:UNUSED_PAD src0_sel:DWORD src1_sel:DWORD
	v_or_b32_sdwa v10, v10, v22 dst_sel:WORD_1 dst_unused:UNUSED_PAD src0_sel:DWORD src1_sel:DWORD
	;; [unrolled: 1-line block ×4, first 2 shown]
	v_sub_nc_u32_e32 v3, v3, v100
	v_or3_b32 v8, v28, v26, v8
	v_or3_b32 v7, v7, v4, v10
	;; [unrolled: 1-line block ×4, first 2 shown]
	v_add_co_u32 v14, vcc_lo, v14, v100
	v_add_co_ci_u32_e64 v15, null, 0, v15, vcc_lo
	v_add_co_u32 v18, vcc_lo, v18, v100
	global_store_dwordx4 v[16:17], v[7:10], off glc slc
	v_add_co_ci_u32_e64 v19, null, 0, v19, vcc_lo
	v_cmp_gt_i32_e32 vcc_lo, 16, v3
	v_add_co_u32 v16, s14, v16, v100
	v_add_co_ci_u32_e64 v17, null, 0, v17, s14
	v_sub_nc_u32_e32 v2, v2, v97
	s_or_b32 s28, vcc_lo, s28
	s_andn2_b32 exec_lo, exec_lo, s28
	s_cbranch_execz .LBB6_3349
.LBB6_2703:                             ;   Parent Loop BB6_49 Depth=1
                                        ; =>  This Inner Loop Header: Depth=2
	s_cmpk_lt_i32 s40, 0x80
	s_cbranch_scc1 .LBB6_2707
; %bb.2704:                             ;   in Loop: Header=BB6_2703 Depth=2
	s_and_b32 s14, 0xffff, s40
	s_cmpk_eq_i32 s14, 0x80
	s_mov_b32 s14, -1
	s_cbranch_scc0 .LBB6_2706
; %bb.2705:                             ;   in Loop: Header=BB6_2703 Depth=2
	s_mov_b32 s14, 0
.LBB6_2706:                             ;   in Loop: Header=BB6_2703 Depth=2
	s_mov_b32 s41, 0x7f800001
	s_branch .LBB6_2709
.LBB6_2707:                             ;   in Loop: Header=BB6_2703 Depth=2
	s_mov_b32 s14, 0
	s_mov_b32 s41, 0x7f800001
	s_cbranch_execz .LBB6_2709
; %bb.2708:                             ;   in Loop: Header=BB6_2703 Depth=2
	s_and_b32 s14, 0xffff, s40
	s_mov_b32 s41, 0
	s_cmp_lg_u32 s14, 0
	s_cselect_b32 s14, -1, 0
.LBB6_2709:                             ;   in Loop: Header=BB6_2703 Depth=2
	s_andn2_b32 vcc_lo, exec_lo, s14
	s_cbranch_vccnz .LBB6_2711
; %bb.2710:                             ;   in Loop: Header=BB6_2703 Depth=2
	s_mov_b32 s41, s29
.LBB6_2711:                             ;   in Loop: Header=BB6_2703 Depth=2
	global_load_dwordx4 v[10:13], v[14:15], off slc
	s_mov_b32 s14, 0
	s_waitcnt vmcnt(0)
	v_cmp_gt_i16_sdwa s42, v10, v113 src0_sel:BYTE_0 src1_sel:DWORD
	s_and_saveexec_b32 s43, s42
	s_xor_b32 s42, exec_lo, s43
	s_cbranch_execz .LBB6_3253
; %bb.2712:                             ;   in Loop: Header=BB6_2703 Depth=2
	v_cmp_eq_u16_sdwa s44, v10, v114 src0_sel:BYTE_0 src1_sel:DWORD
	s_mov_b32 s14, -1
	s_and_saveexec_b32 s43, s44
; %bb.2713:                             ;   in Loop: Header=BB6_2703 Depth=2
	s_xor_b32 s14, exec_lo, -1
; %bb.2714:                             ;   in Loop: Header=BB6_2703 Depth=2
	s_or_b32 exec_lo, exec_lo, s43
	s_and_b32 s14, s14, exec_lo
	s_or_saveexec_b32 s42, s42
	v_mov_b32_e32 v4, 0x7f800001
	s_xor_b32 exec_lo, exec_lo, s42
	s_cbranch_execnz .LBB6_3254
.LBB6_2715:                             ;   in Loop: Header=BB6_2703 Depth=2
	s_or_b32 exec_lo, exec_lo, s42
	s_and_saveexec_b32 s42, s14
	s_cbranch_execz .LBB6_2717
.LBB6_2716:                             ;   in Loop: Header=BB6_2703 Depth=2
	v_and_b32_e32 v4, 7, v10
	v_bfe_u32 v7, v10, 3, 4
	v_lshlrev_b32_e32 v8, 24, v10
	v_ffbh_u32_e32 v5, v4
	v_cmp_eq_u32_e32 vcc_lo, 0, v7
	v_min_u32_e32 v5, 32, v5
	v_subrev_nc_u32_e32 v6, 28, v5
	v_sub_nc_u32_e32 v5, 29, v5
	v_lshlrev_b32_e32 v6, v6, v10
	v_cndmask_b32_e32 v5, v7, v5, vcc_lo
	v_and_b32_e32 v6, 7, v6
	v_lshl_add_u32 v5, v5, 23, 0x3b800000
	v_cndmask_b32_e32 v4, v4, v6, vcc_lo
	v_and_b32_e32 v6, 0x80000000, v8
	v_lshlrev_b32_e32 v4, 20, v4
	v_or3_b32 v4, v6, v5, v4
.LBB6_2717:                             ;   in Loop: Header=BB6_2703 Depth=2
	s_or_b32 exec_lo, exec_lo, s42
	v_mul_f32_e32 v5, s41, v4
	v_and_b32_e32 v4, 0x7f800000, v5
	v_cmp_ne_u32_e32 vcc_lo, 0x7f800000, v4
	v_mov_b32_e32 v4, 0x80
	s_and_saveexec_b32 s42, vcc_lo
	s_cbranch_execz .LBB6_2725
; %bb.2718:                             ;   in Loop: Header=BB6_2703 Depth=2
	v_mov_b32_e32 v4, 0
	s_mov_b32 s43, exec_lo
	v_cmpx_ne_u32_e32 0, v5
	s_cbranch_execz .LBB6_2724
; %bb.2719:                             ;   in Loop: Header=BB6_2703 Depth=2
	v_bfe_u32 v4, v5, 23, 8
	v_and_b32_e32 v6, 0x7fffff, v5
	v_sub_nc_u32_e32 v7, 0x78, v4
	v_cmp_gt_u32_e32 vcc_lo, 0x79, v4
	v_or_b32_e32 v8, 0x800000, v6
	v_cndmask_b32_e32 v7, 0, v7, vcc_lo
	v_cmp_eq_u32_e32 vcc_lo, 0, v4
	v_add_nc_u32_e32 v4, 0xffffff89, v4
	v_cndmask_b32_e64 v7, v7, 0x77, vcc_lo
	v_cndmask_b32_e32 v6, v8, v6, vcc_lo
	v_cndmask_b32_e64 v4, v4, 0xffffff8a, vcc_lo
	v_lshl_add_u32 v8, 0x100000, v7, -1
	v_lshrrev_b32_e32 v9, v7, v6
	v_lshlrev_b32_e64 v21, v7, 0x80000
	v_add_nc_u32_e32 v7, v7, v4
	v_and_b32_e32 v6, v8, v6
	v_bfe_u32 v20, v9, 20, 1
	v_cmp_eq_u32_e64 s14, v6, v21
	v_add_nc_u32_e32 v8, -1, v20
	v_cndmask_b32_e64 v6, 0, v8, s14
	v_lshrrev_b32_e32 v8, 23, v9
	s_mov_b32 s14, exec_lo
	v_add_nc_u32_e32 v6, v6, v9
	v_xor_b32_e32 v8, 1, v8
	v_and_b32_e32 v4, 0xfffff, v6
	v_add_nc_u32_e32 v6, v4, v9
                                        ; implicit-def: $vgpr4
	v_cmpx_ne_u32_e64 v7, v8
	s_xor_b32 s14, exec_lo, s14
; %bb.2720:                             ;   in Loop: Header=BB6_2703 Depth=2
	v_cmp_lt_u32_e32 vcc_lo, 0xffffff, v6
	v_sub_nc_u32_e32 v4, v7, v8
	v_cndmask_b32_e64 v7, 0, 1, vcc_lo
	v_add_co_ci_u32_e64 v4, null, 0, v4, vcc_lo
	v_lshrrev_b32_e32 v6, v7, v6
; %bb.2721:                             ;   in Loop: Header=BB6_2703 Depth=2
	s_andn2_saveexec_b32 s14, s14
; %bb.2722:                             ;   in Loop: Header=BB6_2703 Depth=2
	v_bfe_u32 v4, v6, 23, 1
; %bb.2723:                             ;   in Loop: Header=BB6_2703 Depth=2
	s_or_b32 exec_lo, exec_lo, s14
	v_lshrrev_b32_e32 v6, 20, v6
	v_min_i32_e32 v7, 15, v4
	v_cmp_gt_i32_e32 vcc_lo, 16, v4
	v_and_b32_sdwa v5, v5, v114 dst_sel:DWORD dst_unused:UNUSED_PAD src0_sel:BYTE_3 src1_sel:DWORD
	v_lshlrev_b32_e32 v7, 3, v7
	v_cndmask_b32_e32 v6, 7, v6, vcc_lo
	v_and_b32_e32 v7, 0xf8, v7
	v_and_b32_e32 v8, 7, v6
	v_or_b32_e32 v4, v4, v6
	v_or3_b32 v5, v7, v5, v8
	v_cmp_ne_u32_e32 vcc_lo, 0, v4
	v_cndmask_b32_e32 v4, 0, v5, vcc_lo
.LBB6_2724:                             ;   in Loop: Header=BB6_2703 Depth=2
	s_or_b32 exec_lo, exec_lo, s43
.LBB6_2725:                             ;   in Loop: Header=BB6_2703 Depth=2
	s_or_b32 exec_lo, exec_lo, s42
	v_cmp_gt_i16_sdwa s42, v10, v113 src0_sel:BYTE_1 src1_sel:DWORD
	s_mov_b32 s14, 0
	s_and_saveexec_b32 s43, s42
	s_xor_b32 s42, exec_lo, s43
	s_cbranch_execz .LBB6_3255
; %bb.2726:                             ;   in Loop: Header=BB6_2703 Depth=2
	v_cmp_eq_u16_sdwa s44, v10, v114 src0_sel:BYTE_1 src1_sel:DWORD
	s_mov_b32 s14, -1
	s_and_saveexec_b32 s43, s44
; %bb.2727:                             ;   in Loop: Header=BB6_2703 Depth=2
	s_xor_b32 s14, exec_lo, -1
; %bb.2728:                             ;   in Loop: Header=BB6_2703 Depth=2
	s_or_b32 exec_lo, exec_lo, s43
	s_and_b32 s14, s14, exec_lo
	s_or_saveexec_b32 s42, s42
	v_mov_b32_e32 v5, 0x7f800001
	s_xor_b32 exec_lo, exec_lo, s42
	s_cbranch_execnz .LBB6_3256
.LBB6_2729:                             ;   in Loop: Header=BB6_2703 Depth=2
	s_or_b32 exec_lo, exec_lo, s42
	s_and_saveexec_b32 s42, s14
	s_cbranch_execz .LBB6_2731
.LBB6_2730:                             ;   in Loop: Header=BB6_2703 Depth=2
	v_and_b32_sdwa v5, v115, v10 dst_sel:DWORD dst_unused:UNUSED_PAD src0_sel:DWORD src1_sel:BYTE_1
	v_and_b32_e32 v6, 7, v5
	v_bfe_u32 v9, v5, 3, 4
	v_ffbh_u32_e32 v7, v6
	v_cmp_eq_u32_e32 vcc_lo, 0, v9
	v_min_u32_e32 v7, 32, v7
	v_subrev_nc_u32_e32 v8, 28, v7
	v_sub_nc_u32_e32 v7, 29, v7
	v_lshlrev_b32_e32 v5, v8, v5
	v_lshlrev_b32_sdwa v8, v116, v10 dst_sel:DWORD dst_unused:UNUSED_PAD src0_sel:DWORD src1_sel:BYTE_1
	v_cndmask_b32_e32 v7, v9, v7, vcc_lo
	v_and_b32_e32 v5, 7, v5
	v_lshl_add_u32 v7, v7, 23, 0x3b800000
	v_cndmask_b32_e32 v5, v6, v5, vcc_lo
	v_and_b32_e32 v6, 0x80000000, v8
	v_lshlrev_b32_e32 v5, 20, v5
	v_or3_b32 v5, v6, v7, v5
.LBB6_2731:                             ;   in Loop: Header=BB6_2703 Depth=2
	s_or_b32 exec_lo, exec_lo, s42
	v_mul_f32_e32 v5, s41, v5
	v_mov_b32_e32 v7, 0x8000
	s_mov_b32 s42, exec_lo
	v_and_b32_e32 v6, 0x7f800000, v5
	v_cmpx_ne_u32_e32 0x7f800000, v6
	s_cbranch_execz .LBB6_2739
; %bb.2732:                             ;   in Loop: Header=BB6_2703 Depth=2
	v_mov_b32_e32 v7, 0
	s_mov_b32 s43, exec_lo
	v_cmpx_ne_u32_e32 0, v5
	s_cbranch_execz .LBB6_2738
; %bb.2733:                             ;   in Loop: Header=BB6_2703 Depth=2
	v_bfe_u32 v6, v5, 23, 8
	v_and_b32_e32 v7, 0x7fffff, v5
	v_sub_nc_u32_e32 v8, 0x78, v6
	v_cmp_gt_u32_e32 vcc_lo, 0x79, v6
	v_or_b32_e32 v9, 0x800000, v7
	v_cndmask_b32_e32 v8, 0, v8, vcc_lo
	v_cmp_eq_u32_e32 vcc_lo, 0, v6
	v_add_nc_u32_e32 v6, 0xffffff89, v6
	v_cndmask_b32_e64 v8, v8, 0x77, vcc_lo
	v_cndmask_b32_e32 v7, v9, v7, vcc_lo
	v_cndmask_b32_e64 v6, v6, 0xffffff8a, vcc_lo
	v_lshl_add_u32 v9, 0x100000, v8, -1
	v_lshrrev_b32_e32 v20, v8, v7
	v_lshlrev_b32_e64 v22, v8, 0x80000
	v_add_nc_u32_e32 v8, v8, v6
	v_and_b32_e32 v7, v9, v7
	v_bfe_u32 v21, v20, 20, 1
	v_cmp_eq_u32_e64 s14, v7, v22
	v_add_nc_u32_e32 v9, -1, v21
	v_cndmask_b32_e64 v7, 0, v9, s14
	v_lshrrev_b32_e32 v9, 23, v20
	s_mov_b32 s14, exec_lo
	v_add_nc_u32_e32 v7, v7, v20
	v_xor_b32_e32 v9, 1, v9
	v_and_b32_e32 v6, 0xfffff, v7
	v_add_nc_u32_e32 v7, v6, v20
                                        ; implicit-def: $vgpr6
	v_cmpx_ne_u32_e64 v8, v9
	s_xor_b32 s14, exec_lo, s14
; %bb.2734:                             ;   in Loop: Header=BB6_2703 Depth=2
	v_cmp_lt_u32_e32 vcc_lo, 0xffffff, v7
	v_sub_nc_u32_e32 v6, v8, v9
	v_cndmask_b32_e64 v8, 0, 1, vcc_lo
	v_add_co_ci_u32_e64 v6, null, 0, v6, vcc_lo
	v_lshrrev_b32_e32 v7, v8, v7
; %bb.2735:                             ;   in Loop: Header=BB6_2703 Depth=2
	s_andn2_saveexec_b32 s14, s14
; %bb.2736:                             ;   in Loop: Header=BB6_2703 Depth=2
	v_bfe_u32 v6, v7, 23, 1
; %bb.2737:                             ;   in Loop: Header=BB6_2703 Depth=2
	s_or_b32 exec_lo, exec_lo, s14
	v_lshrrev_b32_e32 v7, 20, v7
	v_min_i32_e32 v8, 15, v6
	v_cmp_gt_i32_e32 vcc_lo, 16, v6
	v_and_b32_sdwa v5, v5, v114 dst_sel:DWORD dst_unused:UNUSED_PAD src0_sel:BYTE_3 src1_sel:DWORD
	v_lshlrev_b32_e32 v8, 3, v8
	v_cndmask_b32_e32 v7, 7, v7, vcc_lo
	v_and_b32_e32 v8, 0xf8, v8
	v_and_b32_e32 v9, 7, v7
	v_or_b32_e32 v6, v6, v7
	v_or3_b32 v5, v5, v8, v9
	v_cmp_ne_u32_e32 vcc_lo, 0, v6
	v_lshlrev_b32_e32 v5, 8, v5
	v_cndmask_b32_e32 v7, 0, v5, vcc_lo
.LBB6_2738:                             ;   in Loop: Header=BB6_2703 Depth=2
	s_or_b32 exec_lo, exec_lo, s43
.LBB6_2739:                             ;   in Loop: Header=BB6_2703 Depth=2
	s_or_b32 exec_lo, exec_lo, s42
	v_and_b32_sdwa v6, v10, v117 dst_sel:DWORD dst_unused:UNUSED_PAD src0_sel:WORD_1 src1_sel:DWORD
	s_mov_b32 s14, 0
	s_mov_b32 s42, exec_lo
	v_cmpx_lt_i16_e32 0x7f, v6
	s_xor_b32 s42, exec_lo, s42
	s_cbranch_execz .LBB6_3257
; %bb.2740:                             ;   in Loop: Header=BB6_2703 Depth=2
	s_mov_b32 s14, -1
	s_mov_b32 s43, exec_lo
	v_cmpx_eq_u16_e32 0x80, v6
; %bb.2741:                             ;   in Loop: Header=BB6_2703 Depth=2
	s_xor_b32 s14, exec_lo, -1
; %bb.2742:                             ;   in Loop: Header=BB6_2703 Depth=2
	s_or_b32 exec_lo, exec_lo, s43
	s_and_b32 s14, s14, exec_lo
                                        ; implicit-def: $vgpr6
	s_or_saveexec_b32 s42, s42
	v_mov_b32_e32 v5, 0x7f800001
	s_xor_b32 exec_lo, exec_lo, s42
	s_cbranch_execnz .LBB6_3258
.LBB6_2743:                             ;   in Loop: Header=BB6_2703 Depth=2
	s_or_b32 exec_lo, exec_lo, s42
	s_and_saveexec_b32 s42, s14
	s_cbranch_execz .LBB6_2745
.LBB6_2744:                             ;   in Loop: Header=BB6_2703 Depth=2
	v_bfe_u32 v5, v10, 16, 3
	v_bfe_u32 v9, v10, 19, 4
	v_lshlrev_b32_e32 v20, 8, v10
	v_ffbh_u32_e32 v6, v5
	v_cmp_eq_u32_e32 vcc_lo, 0, v9
	v_min_u32_e32 v6, 32, v6
	v_subrev_nc_u32_e32 v8, 28, v6
	v_sub_nc_u32_e32 v6, 29, v6
	v_lshlrev_b32_sdwa v8, v8, v10 dst_sel:DWORD dst_unused:UNUSED_PAD src0_sel:DWORD src1_sel:WORD_1
	v_cndmask_b32_e32 v6, v9, v6, vcc_lo
	v_and_b32_e32 v8, 7, v8
	v_lshl_add_u32 v6, v6, 23, 0x3b800000
	v_cndmask_b32_e32 v5, v5, v8, vcc_lo
	v_and_b32_e32 v8, 0x80000000, v20
	v_lshlrev_b32_e32 v5, 20, v5
	v_or3_b32 v5, v8, v6, v5
.LBB6_2745:                             ;   in Loop: Header=BB6_2703 Depth=2
	s_or_b32 exec_lo, exec_lo, s42
	v_mul_f32_e32 v5, s41, v5
	v_mov_b32_e32 v22, 0x80
	s_mov_b32 s42, exec_lo
	v_and_b32_e32 v6, 0x7f800000, v5
	v_cmpx_ne_u32_e32 0x7f800000, v6
	s_cbranch_execz .LBB6_2753
; %bb.2746:                             ;   in Loop: Header=BB6_2703 Depth=2
	v_mov_b32_e32 v22, 0
	s_mov_b32 s43, exec_lo
	v_cmpx_ne_u32_e32 0, v5
	s_cbranch_execz .LBB6_2752
; %bb.2747:                             ;   in Loop: Header=BB6_2703 Depth=2
	v_bfe_u32 v6, v5, 23, 8
	v_and_b32_e32 v8, 0x7fffff, v5
	v_sub_nc_u32_e32 v9, 0x78, v6
	v_cmp_gt_u32_e32 vcc_lo, 0x79, v6
	v_or_b32_e32 v20, 0x800000, v8
	v_cndmask_b32_e32 v9, 0, v9, vcc_lo
	v_cmp_eq_u32_e32 vcc_lo, 0, v6
	v_add_nc_u32_e32 v6, 0xffffff89, v6
	v_cndmask_b32_e64 v9, v9, 0x77, vcc_lo
	v_cndmask_b32_e32 v8, v20, v8, vcc_lo
	v_cndmask_b32_e64 v6, v6, 0xffffff8a, vcc_lo
	v_lshl_add_u32 v20, 0x100000, v9, -1
	v_lshrrev_b32_e32 v21, v9, v8
	v_lshlrev_b32_e64 v23, v9, 0x80000
	v_add_nc_u32_e32 v9, v9, v6
	v_and_b32_e32 v8, v20, v8
	v_bfe_u32 v22, v21, 20, 1
	v_cmp_eq_u32_e64 s14, v8, v23
	v_add_nc_u32_e32 v20, -1, v22
	v_cndmask_b32_e64 v8, 0, v20, s14
	v_lshrrev_b32_e32 v20, 23, v21
	s_mov_b32 s14, exec_lo
	v_add_nc_u32_e32 v8, v8, v21
	v_xor_b32_e32 v20, 1, v20
	v_and_b32_e32 v6, 0xfffff, v8
	v_add_nc_u32_e32 v8, v6, v21
                                        ; implicit-def: $vgpr6
	v_cmpx_ne_u32_e64 v9, v20
	s_xor_b32 s14, exec_lo, s14
; %bb.2748:                             ;   in Loop: Header=BB6_2703 Depth=2
	v_cmp_lt_u32_e32 vcc_lo, 0xffffff, v8
	v_sub_nc_u32_e32 v6, v9, v20
	v_cndmask_b32_e64 v9, 0, 1, vcc_lo
	v_add_co_ci_u32_e64 v6, null, 0, v6, vcc_lo
	v_lshrrev_b32_e32 v8, v9, v8
; %bb.2749:                             ;   in Loop: Header=BB6_2703 Depth=2
	s_andn2_saveexec_b32 s14, s14
; %bb.2750:                             ;   in Loop: Header=BB6_2703 Depth=2
	v_bfe_u32 v6, v8, 23, 1
; %bb.2751:                             ;   in Loop: Header=BB6_2703 Depth=2
	s_or_b32 exec_lo, exec_lo, s14
	v_lshrrev_b32_e32 v8, 20, v8
	v_min_i32_e32 v9, 15, v6
	v_cmp_gt_i32_e32 vcc_lo, 16, v6
	v_and_b32_sdwa v5, v5, v114 dst_sel:DWORD dst_unused:UNUSED_PAD src0_sel:BYTE_3 src1_sel:DWORD
	v_lshlrev_b32_e32 v9, 3, v9
	v_cndmask_b32_e32 v8, 7, v8, vcc_lo
	v_and_b32_e32 v9, 0xf8, v9
	v_and_b32_e32 v20, 7, v8
	v_or_b32_e32 v6, v6, v8
	v_or3_b32 v5, v9, v5, v20
	v_cmp_ne_u32_e32 vcc_lo, 0, v6
	v_cndmask_b32_e32 v22, 0, v5, vcc_lo
.LBB6_2752:                             ;   in Loop: Header=BB6_2703 Depth=2
	s_or_b32 exec_lo, exec_lo, s43
.LBB6_2753:                             ;   in Loop: Header=BB6_2703 Depth=2
	s_or_b32 exec_lo, exec_lo, s42
	v_cmp_gt_i16_sdwa s42, v10, v113 src0_sel:BYTE_3 src1_sel:DWORD
	s_mov_b32 s14, 0
	s_and_saveexec_b32 s43, s42
	s_xor_b32 s42, exec_lo, s43
	s_cbranch_execz .LBB6_3259
; %bb.2754:                             ;   in Loop: Header=BB6_2703 Depth=2
	v_cmp_eq_u16_sdwa s44, v10, v114 src0_sel:BYTE_3 src1_sel:DWORD
	s_mov_b32 s14, -1
	s_and_saveexec_b32 s43, s44
; %bb.2755:                             ;   in Loop: Header=BB6_2703 Depth=2
	s_xor_b32 s14, exec_lo, -1
; %bb.2756:                             ;   in Loop: Header=BB6_2703 Depth=2
	s_or_b32 exec_lo, exec_lo, s43
	s_and_b32 s14, s14, exec_lo
	s_or_saveexec_b32 s42, s42
	v_mov_b32_e32 v5, 0x7f800001
	s_xor_b32 exec_lo, exec_lo, s42
	s_cbranch_execnz .LBB6_3260
.LBB6_2757:                             ;   in Loop: Header=BB6_2703 Depth=2
	s_or_b32 exec_lo, exec_lo, s42
	s_and_saveexec_b32 s42, s14
	s_cbranch_execz .LBB6_2759
.LBB6_2758:                             ;   in Loop: Header=BB6_2703 Depth=2
	v_bfe_u32 v5, v10, 24, 3
	v_bfe_u32 v9, v10, 27, 4
	v_ffbh_u32_e32 v6, v5
	v_cmp_eq_u32_e32 vcc_lo, 0, v9
	v_min_u32_e32 v6, 32, v6
	v_subrev_nc_u32_e32 v8, 28, v6
	v_sub_nc_u32_e32 v6, 29, v6
	v_lshlrev_b32_sdwa v8, v8, v10 dst_sel:DWORD dst_unused:UNUSED_PAD src0_sel:DWORD src1_sel:BYTE_3
	v_cndmask_b32_e32 v6, v9, v6, vcc_lo
	v_and_b32_e32 v8, 7, v8
	v_lshl_add_u32 v6, v6, 23, 0x3b800000
	v_cndmask_b32_e32 v5, v5, v8, vcc_lo
	v_and_b32_e32 v8, 0x80000000, v10
	v_lshlrev_b32_e32 v5, 20, v5
	v_or3_b32 v5, v8, v6, v5
.LBB6_2759:                             ;   in Loop: Header=BB6_2703 Depth=2
	s_or_b32 exec_lo, exec_lo, s42
	v_mul_f32_e32 v5, s41, v5
	v_mov_b32_e32 v29, 0x8000
	s_mov_b32 s42, exec_lo
	v_and_b32_e32 v6, 0x7f800000, v5
	v_cmpx_ne_u32_e32 0x7f800000, v6
	s_cbranch_execz .LBB6_2767
; %bb.2760:                             ;   in Loop: Header=BB6_2703 Depth=2
	v_mov_b32_e32 v29, 0
	s_mov_b32 s43, exec_lo
	v_cmpx_ne_u32_e32 0, v5
	s_cbranch_execz .LBB6_2766
; %bb.2761:                             ;   in Loop: Header=BB6_2703 Depth=2
	v_bfe_u32 v6, v5, 23, 8
	v_and_b32_e32 v8, 0x7fffff, v5
	v_sub_nc_u32_e32 v9, 0x78, v6
	v_cmp_gt_u32_e32 vcc_lo, 0x79, v6
	v_or_b32_e32 v10, 0x800000, v8
	v_cndmask_b32_e32 v9, 0, v9, vcc_lo
	v_cmp_eq_u32_e32 vcc_lo, 0, v6
	v_add_nc_u32_e32 v6, 0xffffff89, v6
	v_cndmask_b32_e64 v9, v9, 0x77, vcc_lo
	v_cndmask_b32_e32 v8, v10, v8, vcc_lo
	v_cndmask_b32_e64 v6, v6, 0xffffff8a, vcc_lo
	v_lshl_add_u32 v10, 0x100000, v9, -1
	v_lshrrev_b32_e32 v20, v9, v8
	v_lshlrev_b32_e64 v23, v9, 0x80000
	v_add_nc_u32_e32 v9, v9, v6
	v_and_b32_e32 v8, v10, v8
	v_bfe_u32 v21, v20, 20, 1
	v_cmp_eq_u32_e64 s14, v8, v23
	v_add_nc_u32_e32 v10, -1, v21
	v_cndmask_b32_e64 v8, 0, v10, s14
	v_lshrrev_b32_e32 v10, 23, v20
	s_mov_b32 s14, exec_lo
	v_add_nc_u32_e32 v8, v8, v20
	v_xor_b32_e32 v10, 1, v10
	v_and_b32_e32 v6, 0xfffff, v8
	v_add_nc_u32_e32 v8, v6, v20
                                        ; implicit-def: $vgpr6
	v_cmpx_ne_u32_e64 v9, v10
	s_xor_b32 s14, exec_lo, s14
; %bb.2762:                             ;   in Loop: Header=BB6_2703 Depth=2
	v_cmp_lt_u32_e32 vcc_lo, 0xffffff, v8
	v_sub_nc_u32_e32 v6, v9, v10
	v_cndmask_b32_e64 v9, 0, 1, vcc_lo
	v_add_co_ci_u32_e64 v6, null, 0, v6, vcc_lo
	v_lshrrev_b32_e32 v8, v9, v8
; %bb.2763:                             ;   in Loop: Header=BB6_2703 Depth=2
	s_andn2_saveexec_b32 s14, s14
; %bb.2764:                             ;   in Loop: Header=BB6_2703 Depth=2
	v_bfe_u32 v6, v8, 23, 1
; %bb.2765:                             ;   in Loop: Header=BB6_2703 Depth=2
	s_or_b32 exec_lo, exec_lo, s14
	v_lshrrev_b32_e32 v8, 20, v8
	v_min_i32_e32 v9, 15, v6
	v_cmp_gt_i32_e32 vcc_lo, 16, v6
	v_and_b32_sdwa v5, v5, v114 dst_sel:DWORD dst_unused:UNUSED_PAD src0_sel:BYTE_3 src1_sel:DWORD
	v_lshlrev_b32_e32 v9, 3, v9
	v_cndmask_b32_e32 v8, 7, v8, vcc_lo
	v_and_b32_e32 v9, 0xf8, v9
	v_and_b32_e32 v10, 7, v8
	v_or_b32_e32 v6, v6, v8
	v_or3_b32 v5, v5, v9, v10
	v_cmp_ne_u32_e32 vcc_lo, 0, v6
	v_lshlrev_b32_e32 v5, 8, v5
	v_cndmask_b32_e32 v29, 0, v5, vcc_lo
.LBB6_2766:                             ;   in Loop: Header=BB6_2703 Depth=2
	s_or_b32 exec_lo, exec_lo, s43
.LBB6_2767:                             ;   in Loop: Header=BB6_2703 Depth=2
	s_or_b32 exec_lo, exec_lo, s42
	v_cmp_gt_i16_sdwa s42, v11, v113 src0_sel:BYTE_0 src1_sel:DWORD
	s_mov_b32 s14, 0
	s_and_saveexec_b32 s43, s42
	s_xor_b32 s42, exec_lo, s43
	s_cbranch_execz .LBB6_3261
; %bb.2768:                             ;   in Loop: Header=BB6_2703 Depth=2
	v_cmp_eq_u16_sdwa s44, v11, v114 src0_sel:BYTE_0 src1_sel:DWORD
	s_mov_b32 s14, -1
	s_and_saveexec_b32 s43, s44
; %bb.2769:                             ;   in Loop: Header=BB6_2703 Depth=2
	s_xor_b32 s14, exec_lo, -1
; %bb.2770:                             ;   in Loop: Header=BB6_2703 Depth=2
	s_or_b32 exec_lo, exec_lo, s43
	s_and_b32 s14, s14, exec_lo
	s_or_saveexec_b32 s42, s42
	v_mov_b32_e32 v5, 0x7f800001
	s_xor_b32 exec_lo, exec_lo, s42
	s_cbranch_execnz .LBB6_3262
.LBB6_2771:                             ;   in Loop: Header=BB6_2703 Depth=2
	s_or_b32 exec_lo, exec_lo, s42
	s_and_saveexec_b32 s42, s14
	s_cbranch_execz .LBB6_2773
.LBB6_2772:                             ;   in Loop: Header=BB6_2703 Depth=2
	v_and_b32_e32 v5, 7, v11
	v_bfe_u32 v9, v11, 3, 4
	v_lshlrev_b32_e32 v10, 24, v11
	v_ffbh_u32_e32 v6, v5
	v_cmp_eq_u32_e32 vcc_lo, 0, v9
	v_min_u32_e32 v6, 32, v6
	v_subrev_nc_u32_e32 v8, 28, v6
	v_sub_nc_u32_e32 v6, 29, v6
	v_lshlrev_b32_e32 v8, v8, v11
	v_cndmask_b32_e32 v6, v9, v6, vcc_lo
	v_and_b32_e32 v8, 7, v8
	v_lshl_add_u32 v6, v6, 23, 0x3b800000
	v_cndmask_b32_e32 v5, v5, v8, vcc_lo
	v_and_b32_e32 v8, 0x80000000, v10
	v_lshlrev_b32_e32 v5, 20, v5
	v_or3_b32 v5, v8, v6, v5
.LBB6_2773:                             ;   in Loop: Header=BB6_2703 Depth=2
	s_or_b32 exec_lo, exec_lo, s42
	v_mul_f32_e32 v5, s41, v5
	v_mov_b32_e32 v26, 0x80
	s_mov_b32 s42, exec_lo
	v_and_b32_e32 v6, 0x7f800000, v5
	v_cmpx_ne_u32_e32 0x7f800000, v6
	s_cbranch_execz .LBB6_2781
; %bb.2774:                             ;   in Loop: Header=BB6_2703 Depth=2
	v_mov_b32_e32 v26, 0
	s_mov_b32 s43, exec_lo
	v_cmpx_ne_u32_e32 0, v5
	s_cbranch_execz .LBB6_2780
; %bb.2775:                             ;   in Loop: Header=BB6_2703 Depth=2
	v_bfe_u32 v6, v5, 23, 8
	v_and_b32_e32 v8, 0x7fffff, v5
	v_sub_nc_u32_e32 v9, 0x78, v6
	v_cmp_gt_u32_e32 vcc_lo, 0x79, v6
	v_or_b32_e32 v10, 0x800000, v8
	v_cndmask_b32_e32 v9, 0, v9, vcc_lo
	v_cmp_eq_u32_e32 vcc_lo, 0, v6
	v_add_nc_u32_e32 v6, 0xffffff89, v6
	v_cndmask_b32_e64 v9, v9, 0x77, vcc_lo
	v_cndmask_b32_e32 v8, v10, v8, vcc_lo
	v_cndmask_b32_e64 v6, v6, 0xffffff8a, vcc_lo
	v_lshl_add_u32 v10, 0x100000, v9, -1
	v_lshrrev_b32_e32 v20, v9, v8
	v_lshlrev_b32_e64 v23, v9, 0x80000
	v_add_nc_u32_e32 v9, v9, v6
	v_and_b32_e32 v8, v10, v8
	v_bfe_u32 v21, v20, 20, 1
	v_cmp_eq_u32_e64 s14, v8, v23
	v_add_nc_u32_e32 v10, -1, v21
	v_cndmask_b32_e64 v8, 0, v10, s14
	v_lshrrev_b32_e32 v10, 23, v20
	s_mov_b32 s14, exec_lo
	v_add_nc_u32_e32 v8, v8, v20
	v_xor_b32_e32 v10, 1, v10
	v_and_b32_e32 v6, 0xfffff, v8
	v_add_nc_u32_e32 v8, v6, v20
                                        ; implicit-def: $vgpr6
	v_cmpx_ne_u32_e64 v9, v10
	s_xor_b32 s14, exec_lo, s14
; %bb.2776:                             ;   in Loop: Header=BB6_2703 Depth=2
	v_cmp_lt_u32_e32 vcc_lo, 0xffffff, v8
	v_sub_nc_u32_e32 v6, v9, v10
	v_cndmask_b32_e64 v9, 0, 1, vcc_lo
	v_add_co_ci_u32_e64 v6, null, 0, v6, vcc_lo
	v_lshrrev_b32_e32 v8, v9, v8
; %bb.2777:                             ;   in Loop: Header=BB6_2703 Depth=2
	s_andn2_saveexec_b32 s14, s14
; %bb.2778:                             ;   in Loop: Header=BB6_2703 Depth=2
	v_bfe_u32 v6, v8, 23, 1
; %bb.2779:                             ;   in Loop: Header=BB6_2703 Depth=2
	s_or_b32 exec_lo, exec_lo, s14
	v_lshrrev_b32_e32 v8, 20, v8
	v_min_i32_e32 v9, 15, v6
	v_cmp_gt_i32_e32 vcc_lo, 16, v6
	v_and_b32_sdwa v5, v5, v114 dst_sel:DWORD dst_unused:UNUSED_PAD src0_sel:BYTE_3 src1_sel:DWORD
	v_lshlrev_b32_e32 v9, 3, v9
	v_cndmask_b32_e32 v8, 7, v8, vcc_lo
	v_and_b32_e32 v9, 0xf8, v9
	v_and_b32_e32 v10, 7, v8
	v_or_b32_e32 v6, v6, v8
	v_or3_b32 v5, v9, v5, v10
	v_cmp_ne_u32_e32 vcc_lo, 0, v6
	v_cndmask_b32_e32 v26, 0, v5, vcc_lo
.LBB6_2780:                             ;   in Loop: Header=BB6_2703 Depth=2
	s_or_b32 exec_lo, exec_lo, s43
.LBB6_2781:                             ;   in Loop: Header=BB6_2703 Depth=2
	s_or_b32 exec_lo, exec_lo, s42
	v_cmp_gt_i16_sdwa s42, v11, v113 src0_sel:BYTE_1 src1_sel:DWORD
	s_mov_b32 s14, 0
	s_and_saveexec_b32 s43, s42
	s_xor_b32 s42, exec_lo, s43
	s_cbranch_execz .LBB6_3263
; %bb.2782:                             ;   in Loop: Header=BB6_2703 Depth=2
	v_cmp_eq_u16_sdwa s44, v11, v114 src0_sel:BYTE_1 src1_sel:DWORD
	s_mov_b32 s14, -1
	s_and_saveexec_b32 s43, s44
; %bb.2783:                             ;   in Loop: Header=BB6_2703 Depth=2
	s_xor_b32 s14, exec_lo, -1
; %bb.2784:                             ;   in Loop: Header=BB6_2703 Depth=2
	s_or_b32 exec_lo, exec_lo, s43
	s_and_b32 s14, s14, exec_lo
	s_or_saveexec_b32 s42, s42
	v_mov_b32_e32 v5, 0x7f800001
	s_xor_b32 exec_lo, exec_lo, s42
	s_cbranch_execnz .LBB6_3264
.LBB6_2785:                             ;   in Loop: Header=BB6_2703 Depth=2
	s_or_b32 exec_lo, exec_lo, s42
	s_and_saveexec_b32 s42, s14
	s_cbranch_execz .LBB6_2787
.LBB6_2786:                             ;   in Loop: Header=BB6_2703 Depth=2
	v_and_b32_sdwa v5, v115, v11 dst_sel:DWORD dst_unused:UNUSED_PAD src0_sel:DWORD src1_sel:BYTE_1
	v_and_b32_e32 v6, 7, v5
	v_bfe_u32 v10, v5, 3, 4
	v_ffbh_u32_e32 v8, v6
	v_cmp_eq_u32_e32 vcc_lo, 0, v10
	v_min_u32_e32 v8, 32, v8
	v_subrev_nc_u32_e32 v9, 28, v8
	v_sub_nc_u32_e32 v8, 29, v8
	v_lshlrev_b32_e32 v5, v9, v5
	v_lshlrev_b32_sdwa v9, v116, v11 dst_sel:DWORD dst_unused:UNUSED_PAD src0_sel:DWORD src1_sel:BYTE_1
	v_cndmask_b32_e32 v8, v10, v8, vcc_lo
	v_and_b32_e32 v5, 7, v5
	v_lshl_add_u32 v8, v8, 23, 0x3b800000
	v_cndmask_b32_e32 v5, v6, v5, vcc_lo
	v_and_b32_e32 v6, 0x80000000, v9
	v_lshlrev_b32_e32 v5, 20, v5
	v_or3_b32 v5, v6, v8, v5
.LBB6_2787:                             ;   in Loop: Header=BB6_2703 Depth=2
	s_or_b32 exec_lo, exec_lo, s42
	v_mul_f32_e32 v5, s41, v5
	v_mov_b32_e32 v28, 0x8000
	s_mov_b32 s42, exec_lo
	v_and_b32_e32 v6, 0x7f800000, v5
	v_cmpx_ne_u32_e32 0x7f800000, v6
	s_cbranch_execz .LBB6_2795
; %bb.2788:                             ;   in Loop: Header=BB6_2703 Depth=2
	v_mov_b32_e32 v28, 0
	s_mov_b32 s43, exec_lo
	v_cmpx_ne_u32_e32 0, v5
	s_cbranch_execz .LBB6_2794
; %bb.2789:                             ;   in Loop: Header=BB6_2703 Depth=2
	v_bfe_u32 v6, v5, 23, 8
	v_and_b32_e32 v8, 0x7fffff, v5
	v_sub_nc_u32_e32 v9, 0x78, v6
	v_cmp_gt_u32_e32 vcc_lo, 0x79, v6
	v_or_b32_e32 v10, 0x800000, v8
	v_cndmask_b32_e32 v9, 0, v9, vcc_lo
	v_cmp_eq_u32_e32 vcc_lo, 0, v6
	v_add_nc_u32_e32 v6, 0xffffff89, v6
	v_cndmask_b32_e64 v9, v9, 0x77, vcc_lo
	v_cndmask_b32_e32 v8, v10, v8, vcc_lo
	v_cndmask_b32_e64 v6, v6, 0xffffff8a, vcc_lo
	v_lshl_add_u32 v10, 0x100000, v9, -1
	v_lshrrev_b32_e32 v20, v9, v8
	v_lshlrev_b32_e64 v23, v9, 0x80000
	v_add_nc_u32_e32 v9, v9, v6
	v_and_b32_e32 v8, v10, v8
	v_bfe_u32 v21, v20, 20, 1
	v_cmp_eq_u32_e64 s14, v8, v23
	v_add_nc_u32_e32 v10, -1, v21
	v_cndmask_b32_e64 v8, 0, v10, s14
	v_lshrrev_b32_e32 v10, 23, v20
	s_mov_b32 s14, exec_lo
	v_add_nc_u32_e32 v8, v8, v20
	v_xor_b32_e32 v10, 1, v10
	v_and_b32_e32 v6, 0xfffff, v8
	v_add_nc_u32_e32 v8, v6, v20
                                        ; implicit-def: $vgpr6
	v_cmpx_ne_u32_e64 v9, v10
	s_xor_b32 s14, exec_lo, s14
; %bb.2790:                             ;   in Loop: Header=BB6_2703 Depth=2
	v_cmp_lt_u32_e32 vcc_lo, 0xffffff, v8
	v_sub_nc_u32_e32 v6, v9, v10
	v_cndmask_b32_e64 v9, 0, 1, vcc_lo
	v_add_co_ci_u32_e64 v6, null, 0, v6, vcc_lo
	v_lshrrev_b32_e32 v8, v9, v8
; %bb.2791:                             ;   in Loop: Header=BB6_2703 Depth=2
	s_andn2_saveexec_b32 s14, s14
; %bb.2792:                             ;   in Loop: Header=BB6_2703 Depth=2
	v_bfe_u32 v6, v8, 23, 1
; %bb.2793:                             ;   in Loop: Header=BB6_2703 Depth=2
	s_or_b32 exec_lo, exec_lo, s14
	v_lshrrev_b32_e32 v8, 20, v8
	v_min_i32_e32 v9, 15, v6
	v_cmp_gt_i32_e32 vcc_lo, 16, v6
	v_and_b32_sdwa v5, v5, v114 dst_sel:DWORD dst_unused:UNUSED_PAD src0_sel:BYTE_3 src1_sel:DWORD
	v_lshlrev_b32_e32 v9, 3, v9
	v_cndmask_b32_e32 v8, 7, v8, vcc_lo
	v_and_b32_e32 v9, 0xf8, v9
	v_and_b32_e32 v10, 7, v8
	v_or_b32_e32 v6, v6, v8
	v_or3_b32 v5, v5, v9, v10
	v_cmp_ne_u32_e32 vcc_lo, 0, v6
	v_lshlrev_b32_e32 v5, 8, v5
	v_cndmask_b32_e32 v28, 0, v5, vcc_lo
.LBB6_2794:                             ;   in Loop: Header=BB6_2703 Depth=2
	s_or_b32 exec_lo, exec_lo, s43
.LBB6_2795:                             ;   in Loop: Header=BB6_2703 Depth=2
	s_or_b32 exec_lo, exec_lo, s42
	v_and_b32_sdwa v6, v11, v117 dst_sel:DWORD dst_unused:UNUSED_PAD src0_sel:WORD_1 src1_sel:DWORD
	s_mov_b32 s14, 0
	s_mov_b32 s42, exec_lo
	v_cmpx_lt_i16_e32 0x7f, v6
	s_xor_b32 s42, exec_lo, s42
	s_cbranch_execz .LBB6_3265
; %bb.2796:                             ;   in Loop: Header=BB6_2703 Depth=2
	s_mov_b32 s14, -1
	s_mov_b32 s43, exec_lo
	v_cmpx_eq_u16_e32 0x80, v6
; %bb.2797:                             ;   in Loop: Header=BB6_2703 Depth=2
	s_xor_b32 s14, exec_lo, -1
; %bb.2798:                             ;   in Loop: Header=BB6_2703 Depth=2
	s_or_b32 exec_lo, exec_lo, s43
	s_and_b32 s14, s14, exec_lo
                                        ; implicit-def: $vgpr6
	s_or_saveexec_b32 s42, s42
	v_mov_b32_e32 v5, 0x7f800001
	s_xor_b32 exec_lo, exec_lo, s42
	s_cbranch_execnz .LBB6_3266
.LBB6_2799:                             ;   in Loop: Header=BB6_2703 Depth=2
	s_or_b32 exec_lo, exec_lo, s42
	s_and_saveexec_b32 s42, s14
	s_cbranch_execz .LBB6_2801
.LBB6_2800:                             ;   in Loop: Header=BB6_2703 Depth=2
	v_bfe_u32 v5, v11, 16, 3
	v_bfe_u32 v9, v11, 19, 4
	v_lshlrev_b32_e32 v10, 8, v11
	v_ffbh_u32_e32 v6, v5
	v_cmp_eq_u32_e32 vcc_lo, 0, v9
	v_min_u32_e32 v6, 32, v6
	v_subrev_nc_u32_e32 v8, 28, v6
	v_sub_nc_u32_e32 v6, 29, v6
	v_lshlrev_b32_sdwa v8, v8, v11 dst_sel:DWORD dst_unused:UNUSED_PAD src0_sel:DWORD src1_sel:WORD_1
	v_cndmask_b32_e32 v6, v9, v6, vcc_lo
	v_and_b32_e32 v8, 7, v8
	v_lshl_add_u32 v6, v6, 23, 0x3b800000
	v_cndmask_b32_e32 v5, v5, v8, vcc_lo
	v_and_b32_e32 v8, 0x80000000, v10
	v_lshlrev_b32_e32 v5, 20, v5
	v_or3_b32 v5, v8, v6, v5
.LBB6_2801:                             ;   in Loop: Header=BB6_2703 Depth=2
	s_or_b32 exec_lo, exec_lo, s42
	v_mul_f32_e32 v5, s41, v5
	v_mov_b32_e32 v24, 0x80
	s_mov_b32 s42, exec_lo
	v_and_b32_e32 v6, 0x7f800000, v5
	v_cmpx_ne_u32_e32 0x7f800000, v6
	s_cbranch_execz .LBB6_2809
; %bb.2802:                             ;   in Loop: Header=BB6_2703 Depth=2
	v_mov_b32_e32 v24, 0
	s_mov_b32 s43, exec_lo
	v_cmpx_ne_u32_e32 0, v5
	s_cbranch_execz .LBB6_2808
; %bb.2803:                             ;   in Loop: Header=BB6_2703 Depth=2
	v_bfe_u32 v6, v5, 23, 8
	v_and_b32_e32 v8, 0x7fffff, v5
	v_sub_nc_u32_e32 v9, 0x78, v6
	v_cmp_gt_u32_e32 vcc_lo, 0x79, v6
	v_or_b32_e32 v10, 0x800000, v8
	v_cndmask_b32_e32 v9, 0, v9, vcc_lo
	v_cmp_eq_u32_e32 vcc_lo, 0, v6
	v_add_nc_u32_e32 v6, 0xffffff89, v6
	v_cndmask_b32_e64 v9, v9, 0x77, vcc_lo
	v_cndmask_b32_e32 v8, v10, v8, vcc_lo
	v_cndmask_b32_e64 v6, v6, 0xffffff8a, vcc_lo
	v_lshl_add_u32 v10, 0x100000, v9, -1
	v_lshrrev_b32_e32 v20, v9, v8
	v_lshlrev_b32_e64 v23, v9, 0x80000
	v_add_nc_u32_e32 v9, v9, v6
	v_and_b32_e32 v8, v10, v8
	v_bfe_u32 v21, v20, 20, 1
	v_cmp_eq_u32_e64 s14, v8, v23
	v_add_nc_u32_e32 v10, -1, v21
	v_cndmask_b32_e64 v8, 0, v10, s14
	v_lshrrev_b32_e32 v10, 23, v20
	s_mov_b32 s14, exec_lo
	v_add_nc_u32_e32 v8, v8, v20
	v_xor_b32_e32 v10, 1, v10
	v_and_b32_e32 v6, 0xfffff, v8
	v_add_nc_u32_e32 v8, v6, v20
                                        ; implicit-def: $vgpr6
	v_cmpx_ne_u32_e64 v9, v10
	s_xor_b32 s14, exec_lo, s14
; %bb.2804:                             ;   in Loop: Header=BB6_2703 Depth=2
	v_cmp_lt_u32_e32 vcc_lo, 0xffffff, v8
	v_sub_nc_u32_e32 v6, v9, v10
	v_cndmask_b32_e64 v9, 0, 1, vcc_lo
	v_add_co_ci_u32_e64 v6, null, 0, v6, vcc_lo
	v_lshrrev_b32_e32 v8, v9, v8
; %bb.2805:                             ;   in Loop: Header=BB6_2703 Depth=2
	s_andn2_saveexec_b32 s14, s14
; %bb.2806:                             ;   in Loop: Header=BB6_2703 Depth=2
	v_bfe_u32 v6, v8, 23, 1
; %bb.2807:                             ;   in Loop: Header=BB6_2703 Depth=2
	s_or_b32 exec_lo, exec_lo, s14
	v_lshrrev_b32_e32 v8, 20, v8
	v_min_i32_e32 v9, 15, v6
	v_cmp_gt_i32_e32 vcc_lo, 16, v6
	v_and_b32_sdwa v5, v5, v114 dst_sel:DWORD dst_unused:UNUSED_PAD src0_sel:BYTE_3 src1_sel:DWORD
	v_lshlrev_b32_e32 v9, 3, v9
	v_cndmask_b32_e32 v8, 7, v8, vcc_lo
	v_and_b32_e32 v9, 0xf8, v9
	v_and_b32_e32 v10, 7, v8
	v_or_b32_e32 v6, v6, v8
	v_or3_b32 v5, v9, v5, v10
	v_cmp_ne_u32_e32 vcc_lo, 0, v6
	v_cndmask_b32_e32 v24, 0, v5, vcc_lo
.LBB6_2808:                             ;   in Loop: Header=BB6_2703 Depth=2
	s_or_b32 exec_lo, exec_lo, s43
.LBB6_2809:                             ;   in Loop: Header=BB6_2703 Depth=2
	s_or_b32 exec_lo, exec_lo, s42
	v_cmp_gt_i16_sdwa s42, v11, v113 src0_sel:BYTE_3 src1_sel:DWORD
	s_mov_b32 s14, 0
	s_and_saveexec_b32 s43, s42
	s_xor_b32 s42, exec_lo, s43
	s_cbranch_execz .LBB6_3267
; %bb.2810:                             ;   in Loop: Header=BB6_2703 Depth=2
	v_cmp_eq_u16_sdwa s44, v11, v114 src0_sel:BYTE_3 src1_sel:DWORD
	s_mov_b32 s14, -1
	s_and_saveexec_b32 s43, s44
; %bb.2811:                             ;   in Loop: Header=BB6_2703 Depth=2
	s_xor_b32 s14, exec_lo, -1
; %bb.2812:                             ;   in Loop: Header=BB6_2703 Depth=2
	s_or_b32 exec_lo, exec_lo, s43
	s_and_b32 s14, s14, exec_lo
	s_or_saveexec_b32 s42, s42
	v_mov_b32_e32 v5, 0x7f800001
	s_xor_b32 exec_lo, exec_lo, s42
	s_cbranch_execnz .LBB6_3268
.LBB6_2813:                             ;   in Loop: Header=BB6_2703 Depth=2
	s_or_b32 exec_lo, exec_lo, s42
	s_and_saveexec_b32 s42, s14
	s_cbranch_execz .LBB6_2815
.LBB6_2814:                             ;   in Loop: Header=BB6_2703 Depth=2
	v_bfe_u32 v5, v11, 24, 3
	v_bfe_u32 v9, v11, 27, 4
	v_ffbh_u32_e32 v6, v5
	v_cmp_eq_u32_e32 vcc_lo, 0, v9
	v_min_u32_e32 v6, 32, v6
	v_subrev_nc_u32_e32 v8, 28, v6
	v_sub_nc_u32_e32 v6, 29, v6
	v_lshlrev_b32_sdwa v8, v8, v11 dst_sel:DWORD dst_unused:UNUSED_PAD src0_sel:DWORD src1_sel:BYTE_3
	v_cndmask_b32_e32 v6, v9, v6, vcc_lo
	v_and_b32_e32 v8, 7, v8
	v_lshl_add_u32 v6, v6, 23, 0x3b800000
	v_cndmask_b32_e32 v5, v5, v8, vcc_lo
	v_and_b32_e32 v8, 0x80000000, v11
	v_lshlrev_b32_e32 v5, 20, v5
	v_or3_b32 v5, v8, v6, v5
.LBB6_2815:                             ;   in Loop: Header=BB6_2703 Depth=2
	s_or_b32 exec_lo, exec_lo, s42
	v_mul_f32_e32 v5, s41, v5
	v_mov_b32_e32 v27, 0x8000
	s_mov_b32 s42, exec_lo
	v_and_b32_e32 v6, 0x7f800000, v5
	v_cmpx_ne_u32_e32 0x7f800000, v6
	s_cbranch_execz .LBB6_2823
; %bb.2816:                             ;   in Loop: Header=BB6_2703 Depth=2
	v_mov_b32_e32 v27, 0
	s_mov_b32 s43, exec_lo
	v_cmpx_ne_u32_e32 0, v5
	s_cbranch_execz .LBB6_2822
; %bb.2817:                             ;   in Loop: Header=BB6_2703 Depth=2
	v_bfe_u32 v6, v5, 23, 8
	v_and_b32_e32 v8, 0x7fffff, v5
	v_sub_nc_u32_e32 v9, 0x78, v6
	v_cmp_gt_u32_e32 vcc_lo, 0x79, v6
	v_or_b32_e32 v10, 0x800000, v8
	v_cndmask_b32_e32 v9, 0, v9, vcc_lo
	v_cmp_eq_u32_e32 vcc_lo, 0, v6
	v_add_nc_u32_e32 v6, 0xffffff89, v6
	v_cndmask_b32_e64 v9, v9, 0x77, vcc_lo
	v_cndmask_b32_e32 v8, v10, v8, vcc_lo
	v_cndmask_b32_e64 v6, v6, 0xffffff8a, vcc_lo
	v_lshl_add_u32 v10, 0x100000, v9, -1
	v_lshrrev_b32_e32 v11, v9, v8
	v_lshlrev_b32_e64 v21, v9, 0x80000
	v_add_nc_u32_e32 v9, v9, v6
	v_and_b32_e32 v8, v10, v8
	v_bfe_u32 v20, v11, 20, 1
	v_cmp_eq_u32_e64 s14, v8, v21
	v_add_nc_u32_e32 v10, -1, v20
	v_cndmask_b32_e64 v8, 0, v10, s14
	v_lshrrev_b32_e32 v10, 23, v11
	s_mov_b32 s14, exec_lo
	v_add_nc_u32_e32 v8, v8, v11
	v_xor_b32_e32 v10, 1, v10
	v_and_b32_e32 v6, 0xfffff, v8
	v_add_nc_u32_e32 v8, v6, v11
                                        ; implicit-def: $vgpr6
	v_cmpx_ne_u32_e64 v9, v10
	s_xor_b32 s14, exec_lo, s14
; %bb.2818:                             ;   in Loop: Header=BB6_2703 Depth=2
	v_cmp_lt_u32_e32 vcc_lo, 0xffffff, v8
	v_sub_nc_u32_e32 v6, v9, v10
	v_cndmask_b32_e64 v9, 0, 1, vcc_lo
	v_add_co_ci_u32_e64 v6, null, 0, v6, vcc_lo
	v_lshrrev_b32_e32 v8, v9, v8
; %bb.2819:                             ;   in Loop: Header=BB6_2703 Depth=2
	s_andn2_saveexec_b32 s14, s14
; %bb.2820:                             ;   in Loop: Header=BB6_2703 Depth=2
	v_bfe_u32 v6, v8, 23, 1
; %bb.2821:                             ;   in Loop: Header=BB6_2703 Depth=2
	s_or_b32 exec_lo, exec_lo, s14
	v_lshrrev_b32_e32 v8, 20, v8
	v_min_i32_e32 v9, 15, v6
	v_cmp_gt_i32_e32 vcc_lo, 16, v6
	v_and_b32_sdwa v5, v5, v114 dst_sel:DWORD dst_unused:UNUSED_PAD src0_sel:BYTE_3 src1_sel:DWORD
	v_lshlrev_b32_e32 v9, 3, v9
	v_cndmask_b32_e32 v8, 7, v8, vcc_lo
	v_and_b32_e32 v9, 0xf8, v9
	v_and_b32_e32 v10, 7, v8
	v_or_b32_e32 v6, v6, v8
	v_or3_b32 v5, v5, v9, v10
	v_cmp_ne_u32_e32 vcc_lo, 0, v6
	v_lshlrev_b32_e32 v5, 8, v5
	v_cndmask_b32_e32 v27, 0, v5, vcc_lo
.LBB6_2822:                             ;   in Loop: Header=BB6_2703 Depth=2
	s_or_b32 exec_lo, exec_lo, s43
.LBB6_2823:                             ;   in Loop: Header=BB6_2703 Depth=2
	s_or_b32 exec_lo, exec_lo, s42
	v_cmp_gt_i16_sdwa s42, v12, v113 src0_sel:BYTE_0 src1_sel:DWORD
	s_mov_b32 s14, 0
	s_and_saveexec_b32 s43, s42
	s_xor_b32 s42, exec_lo, s43
	s_cbranch_execz .LBB6_3269
; %bb.2824:                             ;   in Loop: Header=BB6_2703 Depth=2
	v_cmp_eq_u16_sdwa s44, v12, v114 src0_sel:BYTE_0 src1_sel:DWORD
	s_mov_b32 s14, -1
	s_and_saveexec_b32 s43, s44
; %bb.2825:                             ;   in Loop: Header=BB6_2703 Depth=2
	s_xor_b32 s14, exec_lo, -1
; %bb.2826:                             ;   in Loop: Header=BB6_2703 Depth=2
	s_or_b32 exec_lo, exec_lo, s43
	s_and_b32 s14, s14, exec_lo
	s_or_saveexec_b32 s42, s42
	v_mov_b32_e32 v5, 0x7f800001
	s_xor_b32 exec_lo, exec_lo, s42
	s_cbranch_execnz .LBB6_3270
.LBB6_2827:                             ;   in Loop: Header=BB6_2703 Depth=2
	s_or_b32 exec_lo, exec_lo, s42
	s_and_saveexec_b32 s42, s14
	s_cbranch_execz .LBB6_2829
.LBB6_2828:                             ;   in Loop: Header=BB6_2703 Depth=2
	v_and_b32_e32 v5, 7, v12
	v_bfe_u32 v9, v12, 3, 4
	v_lshlrev_b32_e32 v10, 24, v12
	v_ffbh_u32_e32 v6, v5
	v_cmp_eq_u32_e32 vcc_lo, 0, v9
	v_min_u32_e32 v6, 32, v6
	v_subrev_nc_u32_e32 v8, 28, v6
	v_sub_nc_u32_e32 v6, 29, v6
	v_lshlrev_b32_e32 v8, v8, v12
	v_cndmask_b32_e32 v6, v9, v6, vcc_lo
	v_and_b32_e32 v8, 7, v8
	v_lshl_add_u32 v6, v6, 23, 0x3b800000
	v_cndmask_b32_e32 v5, v5, v8, vcc_lo
	v_and_b32_e32 v8, 0x80000000, v10
	v_lshlrev_b32_e32 v5, 20, v5
	v_or3_b32 v5, v8, v6, v5
.LBB6_2829:                             ;   in Loop: Header=BB6_2703 Depth=2
	s_or_b32 exec_lo, exec_lo, s42
	v_mul_f32_e32 v5, s41, v5
	v_mov_b32_e32 v21, 0x80
	s_mov_b32 s42, exec_lo
	v_and_b32_e32 v6, 0x7f800000, v5
	v_cmpx_ne_u32_e32 0x7f800000, v6
	s_cbranch_execz .LBB6_2837
; %bb.2830:                             ;   in Loop: Header=BB6_2703 Depth=2
	v_mov_b32_e32 v21, 0
	s_mov_b32 s43, exec_lo
	v_cmpx_ne_u32_e32 0, v5
	s_cbranch_execz .LBB6_2836
; %bb.2831:                             ;   in Loop: Header=BB6_2703 Depth=2
	v_bfe_u32 v6, v5, 23, 8
	v_and_b32_e32 v8, 0x7fffff, v5
	v_sub_nc_u32_e32 v9, 0x78, v6
	v_cmp_gt_u32_e32 vcc_lo, 0x79, v6
	v_or_b32_e32 v10, 0x800000, v8
	v_cndmask_b32_e32 v9, 0, v9, vcc_lo
	v_cmp_eq_u32_e32 vcc_lo, 0, v6
	v_add_nc_u32_e32 v6, 0xffffff89, v6
	v_cndmask_b32_e64 v9, v9, 0x77, vcc_lo
	v_cndmask_b32_e32 v8, v10, v8, vcc_lo
	v_cndmask_b32_e64 v6, v6, 0xffffff8a, vcc_lo
	v_lshl_add_u32 v10, 0x100000, v9, -1
	v_lshrrev_b32_e32 v11, v9, v8
	v_lshlrev_b32_e64 v21, v9, 0x80000
	v_add_nc_u32_e32 v9, v9, v6
	v_and_b32_e32 v8, v10, v8
	v_bfe_u32 v20, v11, 20, 1
	v_cmp_eq_u32_e64 s14, v8, v21
	v_add_nc_u32_e32 v10, -1, v20
	v_cndmask_b32_e64 v8, 0, v10, s14
	v_lshrrev_b32_e32 v10, 23, v11
	s_mov_b32 s14, exec_lo
	v_add_nc_u32_e32 v8, v8, v11
	v_xor_b32_e32 v10, 1, v10
	v_and_b32_e32 v6, 0xfffff, v8
	v_add_nc_u32_e32 v8, v6, v11
                                        ; implicit-def: $vgpr6
	v_cmpx_ne_u32_e64 v9, v10
	s_xor_b32 s14, exec_lo, s14
; %bb.2832:                             ;   in Loop: Header=BB6_2703 Depth=2
	v_cmp_lt_u32_e32 vcc_lo, 0xffffff, v8
	v_sub_nc_u32_e32 v6, v9, v10
	v_cndmask_b32_e64 v9, 0, 1, vcc_lo
	v_add_co_ci_u32_e64 v6, null, 0, v6, vcc_lo
	v_lshrrev_b32_e32 v8, v9, v8
; %bb.2833:                             ;   in Loop: Header=BB6_2703 Depth=2
	s_andn2_saveexec_b32 s14, s14
; %bb.2834:                             ;   in Loop: Header=BB6_2703 Depth=2
	v_bfe_u32 v6, v8, 23, 1
; %bb.2835:                             ;   in Loop: Header=BB6_2703 Depth=2
	s_or_b32 exec_lo, exec_lo, s14
	v_lshrrev_b32_e32 v8, 20, v8
	v_min_i32_e32 v9, 15, v6
	v_cmp_gt_i32_e32 vcc_lo, 16, v6
	v_and_b32_sdwa v5, v5, v114 dst_sel:DWORD dst_unused:UNUSED_PAD src0_sel:BYTE_3 src1_sel:DWORD
	v_lshlrev_b32_e32 v9, 3, v9
	v_cndmask_b32_e32 v8, 7, v8, vcc_lo
	v_and_b32_e32 v9, 0xf8, v9
	v_and_b32_e32 v10, 7, v8
	v_or_b32_e32 v6, v6, v8
	v_or3_b32 v5, v9, v5, v10
	v_cmp_ne_u32_e32 vcc_lo, 0, v6
	v_cndmask_b32_e32 v21, 0, v5, vcc_lo
.LBB6_2836:                             ;   in Loop: Header=BB6_2703 Depth=2
	s_or_b32 exec_lo, exec_lo, s43
.LBB6_2837:                             ;   in Loop: Header=BB6_2703 Depth=2
	s_or_b32 exec_lo, exec_lo, s42
	v_cmp_gt_i16_sdwa s42, v12, v113 src0_sel:BYTE_1 src1_sel:DWORD
	s_mov_b32 s14, 0
	s_and_saveexec_b32 s43, s42
	s_xor_b32 s42, exec_lo, s43
	s_cbranch_execz .LBB6_3271
; %bb.2838:                             ;   in Loop: Header=BB6_2703 Depth=2
	v_cmp_eq_u16_sdwa s44, v12, v114 src0_sel:BYTE_1 src1_sel:DWORD
	s_mov_b32 s14, -1
	s_and_saveexec_b32 s43, s44
; %bb.2839:                             ;   in Loop: Header=BB6_2703 Depth=2
	s_xor_b32 s14, exec_lo, -1
; %bb.2840:                             ;   in Loop: Header=BB6_2703 Depth=2
	s_or_b32 exec_lo, exec_lo, s43
	s_and_b32 s14, s14, exec_lo
	s_or_saveexec_b32 s42, s42
	v_mov_b32_e32 v5, 0x7f800001
	s_xor_b32 exec_lo, exec_lo, s42
	s_cbranch_execnz .LBB6_3272
.LBB6_2841:                             ;   in Loop: Header=BB6_2703 Depth=2
	s_or_b32 exec_lo, exec_lo, s42
	s_and_saveexec_b32 s42, s14
	s_cbranch_execz .LBB6_2843
.LBB6_2842:                             ;   in Loop: Header=BB6_2703 Depth=2
	v_and_b32_sdwa v5, v115, v12 dst_sel:DWORD dst_unused:UNUSED_PAD src0_sel:DWORD src1_sel:BYTE_1
	v_and_b32_e32 v6, 7, v5
	v_bfe_u32 v10, v5, 3, 4
	v_ffbh_u32_e32 v8, v6
	v_cmp_eq_u32_e32 vcc_lo, 0, v10
	v_min_u32_e32 v8, 32, v8
	v_subrev_nc_u32_e32 v9, 28, v8
	v_sub_nc_u32_e32 v8, 29, v8
	v_lshlrev_b32_e32 v5, v9, v5
	v_lshlrev_b32_sdwa v9, v116, v12 dst_sel:DWORD dst_unused:UNUSED_PAD src0_sel:DWORD src1_sel:BYTE_1
	v_cndmask_b32_e32 v8, v10, v8, vcc_lo
	v_and_b32_e32 v5, 7, v5
	v_lshl_add_u32 v8, v8, 23, 0x3b800000
	v_cndmask_b32_e32 v5, v6, v5, vcc_lo
	v_and_b32_e32 v6, 0x80000000, v9
	v_lshlrev_b32_e32 v5, 20, v5
	v_or3_b32 v5, v6, v8, v5
.LBB6_2843:                             ;   in Loop: Header=BB6_2703 Depth=2
	s_or_b32 exec_lo, exec_lo, s42
	v_mul_f32_e32 v5, s41, v5
	v_mov_b32_e32 v25, 0x8000
	s_mov_b32 s42, exec_lo
	v_and_b32_e32 v6, 0x7f800000, v5
	v_cmpx_ne_u32_e32 0x7f800000, v6
	s_cbranch_execz .LBB6_2851
; %bb.2844:                             ;   in Loop: Header=BB6_2703 Depth=2
	v_mov_b32_e32 v25, 0
	s_mov_b32 s43, exec_lo
	v_cmpx_ne_u32_e32 0, v5
	s_cbranch_execz .LBB6_2850
; %bb.2845:                             ;   in Loop: Header=BB6_2703 Depth=2
	v_bfe_u32 v6, v5, 23, 8
	v_and_b32_e32 v8, 0x7fffff, v5
	v_sub_nc_u32_e32 v9, 0x78, v6
	v_cmp_gt_u32_e32 vcc_lo, 0x79, v6
	v_or_b32_e32 v10, 0x800000, v8
	v_cndmask_b32_e32 v9, 0, v9, vcc_lo
	v_cmp_eq_u32_e32 vcc_lo, 0, v6
	v_add_nc_u32_e32 v6, 0xffffff89, v6
	v_cndmask_b32_e64 v9, v9, 0x77, vcc_lo
	v_cndmask_b32_e32 v8, v10, v8, vcc_lo
	v_cndmask_b32_e64 v6, v6, 0xffffff8a, vcc_lo
	v_lshl_add_u32 v10, 0x100000, v9, -1
	v_lshrrev_b32_e32 v11, v9, v8
	v_lshlrev_b32_e64 v23, v9, 0x80000
	v_add_nc_u32_e32 v9, v9, v6
	v_and_b32_e32 v8, v10, v8
	v_bfe_u32 v20, v11, 20, 1
	v_cmp_eq_u32_e64 s14, v8, v23
	v_add_nc_u32_e32 v10, -1, v20
	v_cndmask_b32_e64 v8, 0, v10, s14
	v_lshrrev_b32_e32 v10, 23, v11
	s_mov_b32 s14, exec_lo
	v_add_nc_u32_e32 v8, v8, v11
	v_xor_b32_e32 v10, 1, v10
	v_and_b32_e32 v6, 0xfffff, v8
	v_add_nc_u32_e32 v8, v6, v11
                                        ; implicit-def: $vgpr6
	v_cmpx_ne_u32_e64 v9, v10
	s_xor_b32 s14, exec_lo, s14
; %bb.2846:                             ;   in Loop: Header=BB6_2703 Depth=2
	v_cmp_lt_u32_e32 vcc_lo, 0xffffff, v8
	v_sub_nc_u32_e32 v6, v9, v10
	v_cndmask_b32_e64 v9, 0, 1, vcc_lo
	v_add_co_ci_u32_e64 v6, null, 0, v6, vcc_lo
	v_lshrrev_b32_e32 v8, v9, v8
; %bb.2847:                             ;   in Loop: Header=BB6_2703 Depth=2
	s_andn2_saveexec_b32 s14, s14
; %bb.2848:                             ;   in Loop: Header=BB6_2703 Depth=2
	v_bfe_u32 v6, v8, 23, 1
; %bb.2849:                             ;   in Loop: Header=BB6_2703 Depth=2
	s_or_b32 exec_lo, exec_lo, s14
	v_lshrrev_b32_e32 v8, 20, v8
	v_min_i32_e32 v9, 15, v6
	v_cmp_gt_i32_e32 vcc_lo, 16, v6
	v_and_b32_sdwa v5, v5, v114 dst_sel:DWORD dst_unused:UNUSED_PAD src0_sel:BYTE_3 src1_sel:DWORD
	v_lshlrev_b32_e32 v9, 3, v9
	v_cndmask_b32_e32 v8, 7, v8, vcc_lo
	v_and_b32_e32 v9, 0xf8, v9
	v_and_b32_e32 v10, 7, v8
	v_or_b32_e32 v6, v6, v8
	v_or3_b32 v5, v5, v9, v10
	v_cmp_ne_u32_e32 vcc_lo, 0, v6
	v_lshlrev_b32_e32 v5, 8, v5
	v_cndmask_b32_e32 v25, 0, v5, vcc_lo
.LBB6_2850:                             ;   in Loop: Header=BB6_2703 Depth=2
	s_or_b32 exec_lo, exec_lo, s43
.LBB6_2851:                             ;   in Loop: Header=BB6_2703 Depth=2
	s_or_b32 exec_lo, exec_lo, s42
	v_and_b32_sdwa v6, v12, v117 dst_sel:DWORD dst_unused:UNUSED_PAD src0_sel:WORD_1 src1_sel:DWORD
	s_mov_b32 s14, 0
	s_mov_b32 s42, exec_lo
	v_cmpx_lt_i16_e32 0x7f, v6
	s_xor_b32 s42, exec_lo, s42
	s_cbranch_execz .LBB6_3273
; %bb.2852:                             ;   in Loop: Header=BB6_2703 Depth=2
	s_mov_b32 s14, -1
	s_mov_b32 s43, exec_lo
	v_cmpx_eq_u16_e32 0x80, v6
; %bb.2853:                             ;   in Loop: Header=BB6_2703 Depth=2
	s_xor_b32 s14, exec_lo, -1
; %bb.2854:                             ;   in Loop: Header=BB6_2703 Depth=2
	s_or_b32 exec_lo, exec_lo, s43
	s_and_b32 s14, s14, exec_lo
                                        ; implicit-def: $vgpr6
	s_or_saveexec_b32 s42, s42
	v_mov_b32_e32 v5, 0x7f800001
	s_xor_b32 exec_lo, exec_lo, s42
	s_cbranch_execnz .LBB6_3274
.LBB6_2855:                             ;   in Loop: Header=BB6_2703 Depth=2
	s_or_b32 exec_lo, exec_lo, s42
	s_and_saveexec_b32 s42, s14
	s_cbranch_execz .LBB6_2857
.LBB6_2856:                             ;   in Loop: Header=BB6_2703 Depth=2
	v_bfe_u32 v5, v12, 16, 3
	v_bfe_u32 v9, v12, 19, 4
	v_lshlrev_b32_e32 v10, 8, v12
	v_ffbh_u32_e32 v6, v5
	v_cmp_eq_u32_e32 vcc_lo, 0, v9
	v_min_u32_e32 v6, 32, v6
	v_subrev_nc_u32_e32 v8, 28, v6
	v_sub_nc_u32_e32 v6, 29, v6
	v_lshlrev_b32_sdwa v8, v8, v12 dst_sel:DWORD dst_unused:UNUSED_PAD src0_sel:DWORD src1_sel:WORD_1
	v_cndmask_b32_e32 v6, v9, v6, vcc_lo
	v_and_b32_e32 v8, 7, v8
	v_lshl_add_u32 v6, v6, 23, 0x3b800000
	v_cndmask_b32_e32 v5, v5, v8, vcc_lo
	v_and_b32_e32 v8, 0x80000000, v10
	v_lshlrev_b32_e32 v5, 20, v5
	v_or3_b32 v5, v8, v6, v5
.LBB6_2857:                             ;   in Loop: Header=BB6_2703 Depth=2
	s_or_b32 exec_lo, exec_lo, s42
	v_mul_f32_e32 v5, s41, v5
	v_mov_b32_e32 v9, 0x80
	s_mov_b32 s42, exec_lo
	v_and_b32_e32 v6, 0x7f800000, v5
	v_cmpx_ne_u32_e32 0x7f800000, v6
	s_cbranch_execz .LBB6_2865
; %bb.2858:                             ;   in Loop: Header=BB6_2703 Depth=2
	v_mov_b32_e32 v9, 0
	s_mov_b32 s43, exec_lo
	v_cmpx_ne_u32_e32 0, v5
	s_cbranch_execz .LBB6_2864
; %bb.2859:                             ;   in Loop: Header=BB6_2703 Depth=2
	v_bfe_u32 v6, v5, 23, 8
	v_and_b32_e32 v8, 0x7fffff, v5
	v_sub_nc_u32_e32 v9, 0x78, v6
	v_cmp_gt_u32_e32 vcc_lo, 0x79, v6
	v_or_b32_e32 v10, 0x800000, v8
	v_cndmask_b32_e32 v9, 0, v9, vcc_lo
	v_cmp_eq_u32_e32 vcc_lo, 0, v6
	v_add_nc_u32_e32 v6, 0xffffff89, v6
	v_cndmask_b32_e64 v9, v9, 0x77, vcc_lo
	v_cndmask_b32_e32 v8, v10, v8, vcc_lo
	v_cndmask_b32_e64 v6, v6, 0xffffff8a, vcc_lo
	v_lshl_add_u32 v10, 0x100000, v9, -1
	v_lshrrev_b32_e32 v11, v9, v8
	v_lshlrev_b32_e64 v23, v9, 0x80000
	v_add_nc_u32_e32 v9, v9, v6
	v_and_b32_e32 v8, v10, v8
	v_bfe_u32 v20, v11, 20, 1
	v_cmp_eq_u32_e64 s14, v8, v23
	v_add_nc_u32_e32 v10, -1, v20
	v_cndmask_b32_e64 v8, 0, v10, s14
	v_lshrrev_b32_e32 v10, 23, v11
	s_mov_b32 s14, exec_lo
	v_add_nc_u32_e32 v8, v8, v11
	v_xor_b32_e32 v10, 1, v10
	v_and_b32_e32 v6, 0xfffff, v8
	v_add_nc_u32_e32 v8, v6, v11
                                        ; implicit-def: $vgpr6
	v_cmpx_ne_u32_e64 v9, v10
	s_xor_b32 s14, exec_lo, s14
; %bb.2860:                             ;   in Loop: Header=BB6_2703 Depth=2
	v_cmp_lt_u32_e32 vcc_lo, 0xffffff, v8
	v_sub_nc_u32_e32 v6, v9, v10
	v_cndmask_b32_e64 v9, 0, 1, vcc_lo
	v_add_co_ci_u32_e64 v6, null, 0, v6, vcc_lo
	v_lshrrev_b32_e32 v8, v9, v8
; %bb.2861:                             ;   in Loop: Header=BB6_2703 Depth=2
	s_andn2_saveexec_b32 s14, s14
; %bb.2862:                             ;   in Loop: Header=BB6_2703 Depth=2
	v_bfe_u32 v6, v8, 23, 1
; %bb.2863:                             ;   in Loop: Header=BB6_2703 Depth=2
	s_or_b32 exec_lo, exec_lo, s14
	v_lshrrev_b32_e32 v8, 20, v8
	v_min_i32_e32 v9, 15, v6
	v_cmp_gt_i32_e32 vcc_lo, 16, v6
	v_and_b32_sdwa v5, v5, v114 dst_sel:DWORD dst_unused:UNUSED_PAD src0_sel:BYTE_3 src1_sel:DWORD
	v_lshlrev_b32_e32 v9, 3, v9
	v_cndmask_b32_e32 v8, 7, v8, vcc_lo
	v_and_b32_e32 v9, 0xf8, v9
	v_and_b32_e32 v10, 7, v8
	v_or_b32_e32 v6, v6, v8
	v_or3_b32 v5, v9, v5, v10
	v_cmp_ne_u32_e32 vcc_lo, 0, v6
	v_cndmask_b32_e32 v9, 0, v5, vcc_lo
.LBB6_2864:                             ;   in Loop: Header=BB6_2703 Depth=2
	s_or_b32 exec_lo, exec_lo, s43
.LBB6_2865:                             ;   in Loop: Header=BB6_2703 Depth=2
	s_or_b32 exec_lo, exec_lo, s42
	v_cmp_gt_i16_sdwa s42, v12, v113 src0_sel:BYTE_3 src1_sel:DWORD
	s_mov_b32 s14, 0
	s_and_saveexec_b32 s43, s42
	s_xor_b32 s42, exec_lo, s43
	s_cbranch_execz .LBB6_3275
; %bb.2866:                             ;   in Loop: Header=BB6_2703 Depth=2
	v_cmp_eq_u16_sdwa s44, v12, v114 src0_sel:BYTE_3 src1_sel:DWORD
	s_mov_b32 s14, -1
	s_and_saveexec_b32 s43, s44
; %bb.2867:                             ;   in Loop: Header=BB6_2703 Depth=2
	s_xor_b32 s14, exec_lo, -1
; %bb.2868:                             ;   in Loop: Header=BB6_2703 Depth=2
	s_or_b32 exec_lo, exec_lo, s43
	s_and_b32 s14, s14, exec_lo
	s_or_saveexec_b32 s42, s42
	v_mov_b32_e32 v5, 0x7f800001
	s_xor_b32 exec_lo, exec_lo, s42
	s_cbranch_execnz .LBB6_3276
.LBB6_2869:                             ;   in Loop: Header=BB6_2703 Depth=2
	s_or_b32 exec_lo, exec_lo, s42
	s_and_saveexec_b32 s42, s14
	s_cbranch_execz .LBB6_2871
.LBB6_2870:                             ;   in Loop: Header=BB6_2703 Depth=2
	v_bfe_u32 v5, v12, 24, 3
	v_bfe_u32 v10, v12, 27, 4
	v_ffbh_u32_e32 v6, v5
	v_cmp_eq_u32_e32 vcc_lo, 0, v10
	v_min_u32_e32 v6, 32, v6
	v_subrev_nc_u32_e32 v8, 28, v6
	v_sub_nc_u32_e32 v6, 29, v6
	v_lshlrev_b32_sdwa v8, v8, v12 dst_sel:DWORD dst_unused:UNUSED_PAD src0_sel:DWORD src1_sel:BYTE_3
	v_cndmask_b32_e32 v6, v10, v6, vcc_lo
	v_and_b32_e32 v8, 7, v8
	v_lshl_add_u32 v6, v6, 23, 0x3b800000
	v_cndmask_b32_e32 v5, v5, v8, vcc_lo
	v_and_b32_e32 v8, 0x80000000, v12
	v_lshlrev_b32_e32 v5, 20, v5
	v_or3_b32 v5, v8, v6, v5
.LBB6_2871:                             ;   in Loop: Header=BB6_2703 Depth=2
	s_or_b32 exec_lo, exec_lo, s42
	v_mul_f32_e32 v5, s41, v5
	v_mov_b32_e32 v23, 0x8000
	s_mov_b32 s42, exec_lo
	v_and_b32_e32 v6, 0x7f800000, v5
	v_cmpx_ne_u32_e32 0x7f800000, v6
	s_cbranch_execz .LBB6_2879
; %bb.2872:                             ;   in Loop: Header=BB6_2703 Depth=2
	v_mov_b32_e32 v23, 0
	s_mov_b32 s43, exec_lo
	v_cmpx_ne_u32_e32 0, v5
	s_cbranch_execz .LBB6_2878
; %bb.2873:                             ;   in Loop: Header=BB6_2703 Depth=2
	v_bfe_u32 v6, v5, 23, 8
	v_and_b32_e32 v8, 0x7fffff, v5
	v_sub_nc_u32_e32 v10, 0x78, v6
	v_cmp_gt_u32_e32 vcc_lo, 0x79, v6
	v_or_b32_e32 v11, 0x800000, v8
	v_cndmask_b32_e32 v10, 0, v10, vcc_lo
	v_cmp_eq_u32_e32 vcc_lo, 0, v6
	v_add_nc_u32_e32 v6, 0xffffff89, v6
	v_cndmask_b32_e64 v10, v10, 0x77, vcc_lo
	v_cndmask_b32_e32 v8, v11, v8, vcc_lo
	v_cndmask_b32_e64 v6, v6, 0xffffff8a, vcc_lo
	v_lshl_add_u32 v11, 0x100000, v10, -1
	v_lshrrev_b32_e32 v12, v10, v8
	v_lshlrev_b32_e64 v23, v10, 0x80000
	v_add_nc_u32_e32 v10, v10, v6
	v_and_b32_e32 v8, v11, v8
	v_bfe_u32 v20, v12, 20, 1
	v_cmp_eq_u32_e64 s14, v8, v23
	v_add_nc_u32_e32 v11, -1, v20
	v_cndmask_b32_e64 v8, 0, v11, s14
	v_lshrrev_b32_e32 v11, 23, v12
	s_mov_b32 s14, exec_lo
	v_add_nc_u32_e32 v8, v8, v12
	v_xor_b32_e32 v11, 1, v11
	v_and_b32_e32 v6, 0xfffff, v8
	v_add_nc_u32_e32 v8, v6, v12
                                        ; implicit-def: $vgpr6
	v_cmpx_ne_u32_e64 v10, v11
	s_xor_b32 s14, exec_lo, s14
; %bb.2874:                             ;   in Loop: Header=BB6_2703 Depth=2
	v_cmp_lt_u32_e32 vcc_lo, 0xffffff, v8
	v_sub_nc_u32_e32 v6, v10, v11
	v_cndmask_b32_e64 v10, 0, 1, vcc_lo
	v_add_co_ci_u32_e64 v6, null, 0, v6, vcc_lo
	v_lshrrev_b32_e32 v8, v10, v8
; %bb.2875:                             ;   in Loop: Header=BB6_2703 Depth=2
	s_andn2_saveexec_b32 s14, s14
; %bb.2876:                             ;   in Loop: Header=BB6_2703 Depth=2
	v_bfe_u32 v6, v8, 23, 1
; %bb.2877:                             ;   in Loop: Header=BB6_2703 Depth=2
	s_or_b32 exec_lo, exec_lo, s14
	v_lshrrev_b32_e32 v8, 20, v8
	v_min_i32_e32 v10, 15, v6
	v_cmp_gt_i32_e32 vcc_lo, 16, v6
	v_and_b32_sdwa v5, v5, v114 dst_sel:DWORD dst_unused:UNUSED_PAD src0_sel:BYTE_3 src1_sel:DWORD
	v_lshlrev_b32_e32 v10, 3, v10
	v_cndmask_b32_e32 v8, 7, v8, vcc_lo
	v_and_b32_e32 v10, 0xf8, v10
	v_and_b32_e32 v11, 7, v8
	v_or_b32_e32 v6, v6, v8
	v_or3_b32 v5, v5, v10, v11
	v_cmp_ne_u32_e32 vcc_lo, 0, v6
	v_lshlrev_b32_e32 v5, 8, v5
	v_cndmask_b32_e32 v23, 0, v5, vcc_lo
.LBB6_2878:                             ;   in Loop: Header=BB6_2703 Depth=2
	s_or_b32 exec_lo, exec_lo, s43
.LBB6_2879:                             ;   in Loop: Header=BB6_2703 Depth=2
	s_or_b32 exec_lo, exec_lo, s42
	v_cmp_gt_i16_sdwa s42, v13, v113 src0_sel:BYTE_0 src1_sel:DWORD
	s_mov_b32 s14, 0
	s_and_saveexec_b32 s43, s42
	s_xor_b32 s42, exec_lo, s43
	s_cbranch_execz .LBB6_3277
; %bb.2880:                             ;   in Loop: Header=BB6_2703 Depth=2
	v_cmp_eq_u16_sdwa s44, v13, v114 src0_sel:BYTE_0 src1_sel:DWORD
	s_mov_b32 s14, -1
	s_and_saveexec_b32 s43, s44
; %bb.2881:                             ;   in Loop: Header=BB6_2703 Depth=2
	s_xor_b32 s14, exec_lo, -1
; %bb.2882:                             ;   in Loop: Header=BB6_2703 Depth=2
	s_or_b32 exec_lo, exec_lo, s43
	s_and_b32 s14, s14, exec_lo
	s_or_saveexec_b32 s42, s42
	v_mov_b32_e32 v5, 0x7f800001
	s_xor_b32 exec_lo, exec_lo, s42
	s_cbranch_execnz .LBB6_3278
.LBB6_2883:                             ;   in Loop: Header=BB6_2703 Depth=2
	s_or_b32 exec_lo, exec_lo, s42
	s_and_saveexec_b32 s42, s14
	s_cbranch_execz .LBB6_2885
.LBB6_2884:                             ;   in Loop: Header=BB6_2703 Depth=2
	v_and_b32_e32 v5, 7, v13
	v_bfe_u32 v10, v13, 3, 4
	v_lshlrev_b32_e32 v11, 24, v13
	v_ffbh_u32_e32 v6, v5
	v_cmp_eq_u32_e32 vcc_lo, 0, v10
	v_min_u32_e32 v6, 32, v6
	v_subrev_nc_u32_e32 v8, 28, v6
	v_sub_nc_u32_e32 v6, 29, v6
	v_lshlrev_b32_e32 v8, v8, v13
	v_cndmask_b32_e32 v6, v10, v6, vcc_lo
	v_and_b32_e32 v8, 7, v8
	v_lshl_add_u32 v6, v6, 23, 0x3b800000
	v_cndmask_b32_e32 v5, v5, v8, vcc_lo
	v_and_b32_e32 v8, 0x80000000, v11
	v_lshlrev_b32_e32 v5, 20, v5
	v_or3_b32 v5, v8, v6, v5
.LBB6_2885:                             ;   in Loop: Header=BB6_2703 Depth=2
	s_or_b32 exec_lo, exec_lo, s42
	v_mul_f32_e32 v5, s41, v5
	v_and_b32_e32 v6, 0x7f800000, v5
	v_cmp_ne_u32_e32 vcc_lo, 0x7f800000, v6
	v_mov_b32_e32 v6, 0x80
	s_and_saveexec_b32 s42, vcc_lo
	s_cbranch_execz .LBB6_2893
; %bb.2886:                             ;   in Loop: Header=BB6_2703 Depth=2
	v_mov_b32_e32 v6, 0
	s_mov_b32 s43, exec_lo
	v_cmpx_ne_u32_e32 0, v5
	s_cbranch_execz .LBB6_2892
; %bb.2887:                             ;   in Loop: Header=BB6_2703 Depth=2
	v_bfe_u32 v6, v5, 23, 8
	v_and_b32_e32 v8, 0x7fffff, v5
	v_sub_nc_u32_e32 v10, 0x78, v6
	v_cmp_gt_u32_e32 vcc_lo, 0x79, v6
	v_or_b32_e32 v11, 0x800000, v8
	v_cndmask_b32_e32 v10, 0, v10, vcc_lo
	v_cmp_eq_u32_e32 vcc_lo, 0, v6
	v_add_nc_u32_e32 v6, 0xffffff89, v6
	v_cndmask_b32_e64 v10, v10, 0x77, vcc_lo
	v_cndmask_b32_e32 v8, v11, v8, vcc_lo
	v_cndmask_b32_e64 v6, v6, 0xffffff8a, vcc_lo
	v_lshl_add_u32 v11, 0x100000, v10, -1
	v_lshrrev_b32_e32 v12, v10, v8
	v_lshlrev_b32_e64 v30, v10, 0x80000
	v_add_nc_u32_e32 v10, v10, v6
	v_and_b32_e32 v8, v11, v8
	v_bfe_u32 v20, v12, 20, 1
	v_cmp_eq_u32_e64 s14, v8, v30
	v_add_nc_u32_e32 v11, -1, v20
	v_cndmask_b32_e64 v8, 0, v11, s14
	v_lshrrev_b32_e32 v11, 23, v12
	s_mov_b32 s14, exec_lo
	v_add_nc_u32_e32 v8, v8, v12
	v_xor_b32_e32 v11, 1, v11
	v_and_b32_e32 v6, 0xfffff, v8
	v_add_nc_u32_e32 v8, v6, v12
                                        ; implicit-def: $vgpr6
	v_cmpx_ne_u32_e64 v10, v11
	s_xor_b32 s14, exec_lo, s14
; %bb.2888:                             ;   in Loop: Header=BB6_2703 Depth=2
	v_cmp_lt_u32_e32 vcc_lo, 0xffffff, v8
	v_sub_nc_u32_e32 v6, v10, v11
	v_cndmask_b32_e64 v10, 0, 1, vcc_lo
	v_add_co_ci_u32_e64 v6, null, 0, v6, vcc_lo
	v_lshrrev_b32_e32 v8, v10, v8
; %bb.2889:                             ;   in Loop: Header=BB6_2703 Depth=2
	s_andn2_saveexec_b32 s14, s14
; %bb.2890:                             ;   in Loop: Header=BB6_2703 Depth=2
	v_bfe_u32 v6, v8, 23, 1
; %bb.2891:                             ;   in Loop: Header=BB6_2703 Depth=2
	s_or_b32 exec_lo, exec_lo, s14
	v_lshrrev_b32_e32 v8, 20, v8
	v_min_i32_e32 v10, 15, v6
	v_cmp_gt_i32_e32 vcc_lo, 16, v6
	v_and_b32_sdwa v5, v5, v114 dst_sel:DWORD dst_unused:UNUSED_PAD src0_sel:BYTE_3 src1_sel:DWORD
	v_lshlrev_b32_e32 v10, 3, v10
	v_cndmask_b32_e32 v8, 7, v8, vcc_lo
	v_and_b32_e32 v10, 0xf8, v10
	v_and_b32_e32 v11, 7, v8
	v_or_b32_e32 v6, v6, v8
	v_or3_b32 v5, v10, v5, v11
	v_cmp_ne_u32_e32 vcc_lo, 0, v6
	v_cndmask_b32_e32 v6, 0, v5, vcc_lo
.LBB6_2892:                             ;   in Loop: Header=BB6_2703 Depth=2
	s_or_b32 exec_lo, exec_lo, s43
.LBB6_2893:                             ;   in Loop: Header=BB6_2703 Depth=2
	s_or_b32 exec_lo, exec_lo, s42
	v_cmp_gt_i16_sdwa s42, v13, v113 src0_sel:BYTE_1 src1_sel:DWORD
	s_mov_b32 s14, 0
	s_and_saveexec_b32 s43, s42
	s_xor_b32 s42, exec_lo, s43
	s_cbranch_execz .LBB6_3279
; %bb.2894:                             ;   in Loop: Header=BB6_2703 Depth=2
	v_cmp_eq_u16_sdwa s44, v13, v114 src0_sel:BYTE_1 src1_sel:DWORD
	s_mov_b32 s14, -1
	s_and_saveexec_b32 s43, s44
; %bb.2895:                             ;   in Loop: Header=BB6_2703 Depth=2
	s_xor_b32 s14, exec_lo, -1
; %bb.2896:                             ;   in Loop: Header=BB6_2703 Depth=2
	s_or_b32 exec_lo, exec_lo, s43
	s_and_b32 s14, s14, exec_lo
	s_or_saveexec_b32 s42, s42
	v_mov_b32_e32 v5, 0x7f800001
	s_xor_b32 exec_lo, exec_lo, s42
	s_cbranch_execnz .LBB6_3280
.LBB6_2897:                             ;   in Loop: Header=BB6_2703 Depth=2
	s_or_b32 exec_lo, exec_lo, s42
	s_and_saveexec_b32 s42, s14
	s_cbranch_execz .LBB6_2899
.LBB6_2898:                             ;   in Loop: Header=BB6_2703 Depth=2
	v_and_b32_sdwa v5, v115, v13 dst_sel:DWORD dst_unused:UNUSED_PAD src0_sel:DWORD src1_sel:BYTE_1
	v_and_b32_e32 v8, 7, v5
	v_bfe_u32 v12, v5, 3, 4
	v_ffbh_u32_e32 v10, v8
	v_cmp_eq_u32_e32 vcc_lo, 0, v12
	v_min_u32_e32 v10, 32, v10
	v_subrev_nc_u32_e32 v11, 28, v10
	v_sub_nc_u32_e32 v10, 29, v10
	v_lshlrev_b32_e32 v5, v11, v5
	v_lshlrev_b32_sdwa v11, v116, v13 dst_sel:DWORD dst_unused:UNUSED_PAD src0_sel:DWORD src1_sel:BYTE_1
	v_cndmask_b32_e32 v10, v12, v10, vcc_lo
	v_and_b32_e32 v5, 7, v5
	v_lshl_add_u32 v10, v10, 23, 0x3b800000
	v_cndmask_b32_e32 v5, v8, v5, vcc_lo
	v_and_b32_e32 v8, 0x80000000, v11
	v_lshlrev_b32_e32 v5, 20, v5
	v_or3_b32 v5, v8, v10, v5
.LBB6_2899:                             ;   in Loop: Header=BB6_2703 Depth=2
	s_or_b32 exec_lo, exec_lo, s42
	v_mul_f32_e32 v5, s41, v5
	v_mov_b32_e32 v20, 0x8000
	s_mov_b32 s42, exec_lo
	v_and_b32_e32 v8, 0x7f800000, v5
	v_cmpx_ne_u32_e32 0x7f800000, v8
	s_cbranch_execz .LBB6_2907
; %bb.2900:                             ;   in Loop: Header=BB6_2703 Depth=2
	v_mov_b32_e32 v20, 0
	s_mov_b32 s43, exec_lo
	v_cmpx_ne_u32_e32 0, v5
	s_cbranch_execz .LBB6_2906
; %bb.2901:                             ;   in Loop: Header=BB6_2703 Depth=2
	v_bfe_u32 v8, v5, 23, 8
	v_and_b32_e32 v10, 0x7fffff, v5
	v_sub_nc_u32_e32 v11, 0x78, v8
	v_cmp_gt_u32_e32 vcc_lo, 0x79, v8
	v_or_b32_e32 v12, 0x800000, v10
	v_cndmask_b32_e32 v11, 0, v11, vcc_lo
	v_cmp_eq_u32_e32 vcc_lo, 0, v8
	v_add_nc_u32_e32 v8, 0xffffff89, v8
	v_cndmask_b32_e64 v11, v11, 0x77, vcc_lo
	v_cndmask_b32_e32 v10, v12, v10, vcc_lo
	v_cndmask_b32_e64 v8, v8, 0xffffff8a, vcc_lo
	v_lshl_add_u32 v12, 0x100000, v11, -1
	v_lshrrev_b32_e32 v20, v11, v10
	v_lshlrev_b32_e64 v31, v11, 0x80000
	v_add_nc_u32_e32 v11, v11, v8
	v_and_b32_e32 v10, v12, v10
	v_bfe_u32 v30, v20, 20, 1
	v_cmp_eq_u32_e64 s14, v10, v31
	v_add_nc_u32_e32 v12, -1, v30
	v_cndmask_b32_e64 v10, 0, v12, s14
	v_lshrrev_b32_e32 v12, 23, v20
	s_mov_b32 s14, exec_lo
	v_add_nc_u32_e32 v10, v10, v20
	v_xor_b32_e32 v12, 1, v12
	v_and_b32_e32 v8, 0xfffff, v10
	v_add_nc_u32_e32 v10, v8, v20
                                        ; implicit-def: $vgpr8
	v_cmpx_ne_u32_e64 v11, v12
	s_xor_b32 s14, exec_lo, s14
; %bb.2902:                             ;   in Loop: Header=BB6_2703 Depth=2
	v_cmp_lt_u32_e32 vcc_lo, 0xffffff, v10
	v_sub_nc_u32_e32 v8, v11, v12
	v_cndmask_b32_e64 v11, 0, 1, vcc_lo
	v_add_co_ci_u32_e64 v8, null, 0, v8, vcc_lo
	v_lshrrev_b32_e32 v10, v11, v10
; %bb.2903:                             ;   in Loop: Header=BB6_2703 Depth=2
	s_andn2_saveexec_b32 s14, s14
; %bb.2904:                             ;   in Loop: Header=BB6_2703 Depth=2
	v_bfe_u32 v8, v10, 23, 1
; %bb.2905:                             ;   in Loop: Header=BB6_2703 Depth=2
	s_or_b32 exec_lo, exec_lo, s14
	v_lshrrev_b32_e32 v10, 20, v10
	v_min_i32_e32 v11, 15, v8
	v_cmp_gt_i32_e32 vcc_lo, 16, v8
	v_and_b32_sdwa v5, v5, v114 dst_sel:DWORD dst_unused:UNUSED_PAD src0_sel:BYTE_3 src1_sel:DWORD
	v_lshlrev_b32_e32 v11, 3, v11
	v_cndmask_b32_e32 v10, 7, v10, vcc_lo
	v_and_b32_e32 v11, 0xf8, v11
	v_and_b32_e32 v12, 7, v10
	v_or_b32_e32 v8, v8, v10
	v_or3_b32 v5, v5, v11, v12
	v_cmp_ne_u32_e32 vcc_lo, 0, v8
	v_lshlrev_b32_e32 v5, 8, v5
	v_cndmask_b32_e32 v20, 0, v5, vcc_lo
.LBB6_2906:                             ;   in Loop: Header=BB6_2703 Depth=2
	s_or_b32 exec_lo, exec_lo, s43
.LBB6_2907:                             ;   in Loop: Header=BB6_2703 Depth=2
	s_or_b32 exec_lo, exec_lo, s42
	v_and_b32_sdwa v8, v13, v117 dst_sel:DWORD dst_unused:UNUSED_PAD src0_sel:WORD_1 src1_sel:DWORD
	s_mov_b32 s14, 0
	s_mov_b32 s42, exec_lo
	v_cmpx_lt_i16_e32 0x7f, v8
	s_xor_b32 s42, exec_lo, s42
	s_cbranch_execz .LBB6_3281
; %bb.2908:                             ;   in Loop: Header=BB6_2703 Depth=2
	s_mov_b32 s14, -1
	s_mov_b32 s43, exec_lo
	v_cmpx_eq_u16_e32 0x80, v8
; %bb.2909:                             ;   in Loop: Header=BB6_2703 Depth=2
	s_xor_b32 s14, exec_lo, -1
; %bb.2910:                             ;   in Loop: Header=BB6_2703 Depth=2
	s_or_b32 exec_lo, exec_lo, s43
	s_and_b32 s14, s14, exec_lo
                                        ; implicit-def: $vgpr8
	s_or_saveexec_b32 s42, s42
	v_mov_b32_e32 v5, 0x7f800001
	s_xor_b32 exec_lo, exec_lo, s42
	s_cbranch_execnz .LBB6_3282
.LBB6_2911:                             ;   in Loop: Header=BB6_2703 Depth=2
	s_or_b32 exec_lo, exec_lo, s42
	s_and_saveexec_b32 s42, s14
	s_cbranch_execz .LBB6_2913
.LBB6_2912:                             ;   in Loop: Header=BB6_2703 Depth=2
	v_bfe_u32 v5, v13, 16, 3
	v_bfe_u32 v11, v13, 19, 4
	v_lshlrev_b32_e32 v12, 8, v13
	v_ffbh_u32_e32 v8, v5
	v_cmp_eq_u32_e32 vcc_lo, 0, v11
	v_min_u32_e32 v8, 32, v8
	v_subrev_nc_u32_e32 v10, 28, v8
	v_sub_nc_u32_e32 v8, 29, v8
	v_lshlrev_b32_sdwa v10, v10, v13 dst_sel:DWORD dst_unused:UNUSED_PAD src0_sel:DWORD src1_sel:WORD_1
	v_cndmask_b32_e32 v8, v11, v8, vcc_lo
	v_and_b32_e32 v10, 7, v10
	v_lshl_add_u32 v8, v8, 23, 0x3b800000
	v_cndmask_b32_e32 v5, v5, v10, vcc_lo
	v_and_b32_e32 v10, 0x80000000, v12
	v_lshlrev_b32_e32 v5, 20, v5
	v_or3_b32 v5, v10, v8, v5
.LBB6_2913:                             ;   in Loop: Header=BB6_2703 Depth=2
	s_or_b32 exec_lo, exec_lo, s42
	v_mul_f32_e32 v8, s41, v5
	v_and_b32_e32 v5, 0x7f800000, v8
	v_cmp_ne_u32_e32 vcc_lo, 0x7f800000, v5
	v_mov_b32_e32 v5, 0x80
	s_and_saveexec_b32 s42, vcc_lo
	s_cbranch_execz .LBB6_2921
; %bb.2914:                             ;   in Loop: Header=BB6_2703 Depth=2
	v_mov_b32_e32 v5, 0
	s_mov_b32 s43, exec_lo
	v_cmpx_ne_u32_e32 0, v8
	s_cbranch_execz .LBB6_2920
; %bb.2915:                             ;   in Loop: Header=BB6_2703 Depth=2
	v_bfe_u32 v5, v8, 23, 8
	v_and_b32_e32 v10, 0x7fffff, v8
	v_sub_nc_u32_e32 v11, 0x78, v5
	v_cmp_gt_u32_e32 vcc_lo, 0x79, v5
	v_or_b32_e32 v12, 0x800000, v10
	v_cndmask_b32_e32 v11, 0, v11, vcc_lo
	v_cmp_eq_u32_e32 vcc_lo, 0, v5
	v_add_nc_u32_e32 v5, 0xffffff89, v5
	v_cndmask_b32_e64 v11, v11, 0x77, vcc_lo
	v_cndmask_b32_e32 v10, v12, v10, vcc_lo
	v_cndmask_b32_e64 v5, v5, 0xffffff8a, vcc_lo
	v_lshl_add_u32 v12, 0x100000, v11, -1
	v_lshrrev_b32_e32 v30, v11, v10
	v_lshlrev_b32_e64 v32, v11, 0x80000
	v_add_nc_u32_e32 v11, v11, v5
	v_and_b32_e32 v10, v12, v10
	v_bfe_u32 v31, v30, 20, 1
	v_cmp_eq_u32_e64 s14, v10, v32
	v_add_nc_u32_e32 v12, -1, v31
	v_cndmask_b32_e64 v10, 0, v12, s14
	v_lshrrev_b32_e32 v12, 23, v30
	s_mov_b32 s14, exec_lo
	v_add_nc_u32_e32 v10, v10, v30
	v_xor_b32_e32 v12, 1, v12
	v_and_b32_e32 v5, 0xfffff, v10
	v_add_nc_u32_e32 v10, v5, v30
                                        ; implicit-def: $vgpr5
	v_cmpx_ne_u32_e64 v11, v12
	s_xor_b32 s14, exec_lo, s14
; %bb.2916:                             ;   in Loop: Header=BB6_2703 Depth=2
	v_cmp_lt_u32_e32 vcc_lo, 0xffffff, v10
	v_sub_nc_u32_e32 v5, v11, v12
	v_cndmask_b32_e64 v11, 0, 1, vcc_lo
	v_add_co_ci_u32_e64 v5, null, 0, v5, vcc_lo
	v_lshrrev_b32_e32 v10, v11, v10
; %bb.2917:                             ;   in Loop: Header=BB6_2703 Depth=2
	s_andn2_saveexec_b32 s14, s14
; %bb.2918:                             ;   in Loop: Header=BB6_2703 Depth=2
	v_bfe_u32 v5, v10, 23, 1
; %bb.2919:                             ;   in Loop: Header=BB6_2703 Depth=2
	s_or_b32 exec_lo, exec_lo, s14
	v_lshrrev_b32_e32 v10, 20, v10
	v_min_i32_e32 v11, 15, v5
	v_cmp_gt_i32_e32 vcc_lo, 16, v5
	v_and_b32_sdwa v8, v8, v114 dst_sel:DWORD dst_unused:UNUSED_PAD src0_sel:BYTE_3 src1_sel:DWORD
	v_lshlrev_b32_e32 v11, 3, v11
	v_cndmask_b32_e32 v10, 7, v10, vcc_lo
	v_and_b32_e32 v11, 0xf8, v11
	v_and_b32_e32 v12, 7, v10
	v_or_b32_e32 v5, v5, v10
	v_or3_b32 v8, v11, v8, v12
	v_cmp_ne_u32_e32 vcc_lo, 0, v5
	v_cndmask_b32_e32 v5, 0, v8, vcc_lo
.LBB6_2920:                             ;   in Loop: Header=BB6_2703 Depth=2
	s_or_b32 exec_lo, exec_lo, s43
.LBB6_2921:                             ;   in Loop: Header=BB6_2703 Depth=2
	s_or_b32 exec_lo, exec_lo, s42
	v_cmp_gt_i16_sdwa s42, v13, v113 src0_sel:BYTE_3 src1_sel:DWORD
	s_mov_b32 s14, 0
	s_and_saveexec_b32 s43, s42
	s_xor_b32 s42, exec_lo, s43
	s_cbranch_execz .LBB6_3283
; %bb.2922:                             ;   in Loop: Header=BB6_2703 Depth=2
	v_cmp_eq_u16_sdwa s44, v13, v114 src0_sel:BYTE_3 src1_sel:DWORD
	s_mov_b32 s14, -1
	s_and_saveexec_b32 s43, s44
; %bb.2923:                             ;   in Loop: Header=BB6_2703 Depth=2
	s_xor_b32 s14, exec_lo, -1
; %bb.2924:                             ;   in Loop: Header=BB6_2703 Depth=2
	s_or_b32 exec_lo, exec_lo, s43
	s_and_b32 s14, s14, exec_lo
	s_or_saveexec_b32 s42, s42
	v_mov_b32_e32 v8, 0x7f800001
	s_xor_b32 exec_lo, exec_lo, s42
	s_cbranch_execnz .LBB6_3284
.LBB6_2925:                             ;   in Loop: Header=BB6_2703 Depth=2
	s_or_b32 exec_lo, exec_lo, s42
	s_and_saveexec_b32 s42, s14
	s_cbranch_execz .LBB6_2927
.LBB6_2926:                             ;   in Loop: Header=BB6_2703 Depth=2
	v_bfe_u32 v8, v13, 24, 3
	v_bfe_u32 v12, v13, 27, 4
	v_ffbh_u32_e32 v10, v8
	v_cmp_eq_u32_e32 vcc_lo, 0, v12
	v_min_u32_e32 v10, 32, v10
	v_subrev_nc_u32_e32 v11, 28, v10
	v_sub_nc_u32_e32 v10, 29, v10
	v_lshlrev_b32_sdwa v11, v11, v13 dst_sel:DWORD dst_unused:UNUSED_PAD src0_sel:DWORD src1_sel:BYTE_3
	v_cndmask_b32_e32 v10, v12, v10, vcc_lo
	v_and_b32_e32 v11, 7, v11
	v_lshl_add_u32 v10, v10, 23, 0x3b800000
	v_cndmask_b32_e32 v8, v8, v11, vcc_lo
	v_and_b32_e32 v11, 0x80000000, v13
	v_lshlrev_b32_e32 v8, 20, v8
	v_or3_b32 v8, v11, v10, v8
.LBB6_2927:                             ;   in Loop: Header=BB6_2703 Depth=2
	s_or_b32 exec_lo, exec_lo, s42
	v_mul_f32_e32 v10, s41, v8
	v_and_b32_e32 v8, 0x7f800000, v10
	v_cmp_ne_u32_e32 vcc_lo, 0x7f800000, v8
	v_mov_b32_e32 v8, 0x8000
	s_and_saveexec_b32 s41, vcc_lo
	s_cbranch_execz .LBB6_2935
; %bb.2928:                             ;   in Loop: Header=BB6_2703 Depth=2
	v_mov_b32_e32 v8, 0
	s_mov_b32 s42, exec_lo
	v_cmpx_ne_u32_e32 0, v10
	s_cbranch_execz .LBB6_2934
; %bb.2929:                             ;   in Loop: Header=BB6_2703 Depth=2
	v_bfe_u32 v8, v10, 23, 8
	v_and_b32_e32 v11, 0x7fffff, v10
	v_sub_nc_u32_e32 v12, 0x78, v8
	v_cmp_gt_u32_e32 vcc_lo, 0x79, v8
	v_or_b32_e32 v13, 0x800000, v11
	v_cndmask_b32_e32 v12, 0, v12, vcc_lo
	v_cmp_eq_u32_e32 vcc_lo, 0, v8
	v_add_nc_u32_e32 v8, 0xffffff89, v8
	v_cndmask_b32_e64 v12, v12, 0x77, vcc_lo
	v_cndmask_b32_e32 v11, v13, v11, vcc_lo
	v_cndmask_b32_e64 v8, v8, 0xffffff8a, vcc_lo
	v_lshl_add_u32 v13, 0x100000, v12, -1
	v_lshrrev_b32_e32 v30, v12, v11
	v_lshlrev_b32_e64 v32, v12, 0x80000
	v_add_nc_u32_e32 v12, v12, v8
	v_and_b32_e32 v11, v13, v11
	v_bfe_u32 v31, v30, 20, 1
	v_cmp_eq_u32_e64 s14, v11, v32
	v_add_nc_u32_e32 v13, -1, v31
	v_cndmask_b32_e64 v11, 0, v13, s14
	v_lshrrev_b32_e32 v13, 23, v30
	s_mov_b32 s14, exec_lo
	v_add_nc_u32_e32 v11, v11, v30
	v_xor_b32_e32 v13, 1, v13
	v_and_b32_e32 v8, 0xfffff, v11
	v_add_nc_u32_e32 v11, v8, v30
                                        ; implicit-def: $vgpr8
	v_cmpx_ne_u32_e64 v12, v13
	s_xor_b32 s14, exec_lo, s14
; %bb.2930:                             ;   in Loop: Header=BB6_2703 Depth=2
	v_cmp_lt_u32_e32 vcc_lo, 0xffffff, v11
	v_sub_nc_u32_e32 v8, v12, v13
	v_cndmask_b32_e64 v12, 0, 1, vcc_lo
	v_add_co_ci_u32_e64 v8, null, 0, v8, vcc_lo
	v_lshrrev_b32_e32 v11, v12, v11
; %bb.2931:                             ;   in Loop: Header=BB6_2703 Depth=2
	s_andn2_saveexec_b32 s14, s14
; %bb.2932:                             ;   in Loop: Header=BB6_2703 Depth=2
	v_bfe_u32 v8, v11, 23, 1
; %bb.2933:                             ;   in Loop: Header=BB6_2703 Depth=2
	s_or_b32 exec_lo, exec_lo, s14
	v_lshrrev_b32_e32 v11, 20, v11
	v_min_i32_e32 v12, 15, v8
	v_cmp_gt_i32_e32 vcc_lo, 16, v8
	v_and_b32_sdwa v10, v10, v114 dst_sel:DWORD dst_unused:UNUSED_PAD src0_sel:BYTE_3 src1_sel:DWORD
	v_lshlrev_b32_e32 v12, 3, v12
	v_cndmask_b32_e32 v11, 7, v11, vcc_lo
	v_and_b32_e32 v12, 0xf8, v12
	v_and_b32_e32 v13, 7, v11
	v_or_b32_e32 v8, v8, v11
	v_or3_b32 v10, v10, v12, v13
	v_cmp_ne_u32_e32 vcc_lo, 0, v8
	v_lshlrev_b32_e32 v10, 8, v10
	v_cndmask_b32_e32 v8, 0, v10, vcc_lo
.LBB6_2934:                             ;   in Loop: Header=BB6_2703 Depth=2
	s_or_b32 exec_lo, exec_lo, s42
.LBB6_2935:                             ;   in Loop: Header=BB6_2703 Depth=2
	s_or_b32 exec_lo, exec_lo, s41
	global_load_dwordx4 v[10:13], v[18:19], off slc
	v_or_b32_e32 v30, v7, v4
	s_mov_b32 s14, 0
	v_cmp_gt_i16_sdwa s41, v30, v113 src0_sel:BYTE_0 src1_sel:DWORD
	s_and_saveexec_b32 s42, s41
	s_xor_b32 s41, exec_lo, s42
	s_cbranch_execz .LBB6_3285
; %bb.2936:                             ;   in Loop: Header=BB6_2703 Depth=2
	v_cmp_eq_u16_sdwa s43, v30, v114 src0_sel:BYTE_0 src1_sel:DWORD
	s_mov_b32 s14, -1
	s_and_saveexec_b32 s42, s43
; %bb.2937:                             ;   in Loop: Header=BB6_2703 Depth=2
	s_xor_b32 s14, exec_lo, -1
; %bb.2938:                             ;   in Loop: Header=BB6_2703 Depth=2
	s_or_b32 exec_lo, exec_lo, s42
	s_and_b32 s14, s14, exec_lo
	s_or_saveexec_b32 s41, s41
	v_mov_b32_e32 v4, 0x7f800001
	s_xor_b32 exec_lo, exec_lo, s41
	s_cbranch_execnz .LBB6_3286
.LBB6_2939:                             ;   in Loop: Header=BB6_2703 Depth=2
	s_or_b32 exec_lo, exec_lo, s41
	s_and_saveexec_b32 s41, s14
	s_cbranch_execz .LBB6_2941
.LBB6_2940:                             ;   in Loop: Header=BB6_2703 Depth=2
	v_and_b32_e32 v4, 7, v30
	v_bfe_u32 v32, v30, 3, 4
	v_lshlrev_b32_e32 v33, 24, v30
	v_ffbh_u32_e32 v7, v4
	v_cmp_eq_u32_e32 vcc_lo, 0, v32
	v_min_u32_e32 v7, 32, v7
	v_subrev_nc_u32_e32 v31, 28, v7
	v_sub_nc_u32_e32 v7, 29, v7
	v_lshlrev_b32_e32 v31, v31, v30
	v_cndmask_b32_e32 v7, v32, v7, vcc_lo
	v_and_b32_e32 v31, 7, v31
	v_lshl_add_u32 v7, v7, 23, 0x3b800000
	v_cndmask_b32_e32 v4, v4, v31, vcc_lo
	v_and_b32_e32 v31, 0x80000000, v33
	v_lshlrev_b32_e32 v4, 20, v4
	v_or3_b32 v4, v31, v7, v4
.LBB6_2941:                             ;   in Loop: Header=BB6_2703 Depth=2
	s_or_b32 exec_lo, exec_lo, s41
	s_waitcnt vmcnt(0)
	v_cmp_gt_i16_sdwa s41, v10, v113 src0_sel:BYTE_0 src1_sel:DWORD
	s_mov_b32 s14, 0
	s_and_saveexec_b32 s42, s41
	s_xor_b32 s41, exec_lo, s42
	s_cbranch_execz .LBB6_3287
; %bb.2942:                             ;   in Loop: Header=BB6_2703 Depth=2
	v_cmp_eq_u16_sdwa s43, v10, v114 src0_sel:BYTE_0 src1_sel:DWORD
	s_mov_b32 s14, -1
	s_and_saveexec_b32 s42, s43
; %bb.2943:                             ;   in Loop: Header=BB6_2703 Depth=2
	s_xor_b32 s14, exec_lo, -1
; %bb.2944:                             ;   in Loop: Header=BB6_2703 Depth=2
	s_or_b32 exec_lo, exec_lo, s42
	s_and_b32 s14, s14, exec_lo
	s_or_saveexec_b32 s41, s41
	v_mov_b32_e32 v7, 0x7f800001
	s_xor_b32 exec_lo, exec_lo, s41
	s_cbranch_execnz .LBB6_3288
.LBB6_2945:                             ;   in Loop: Header=BB6_2703 Depth=2
	s_or_b32 exec_lo, exec_lo, s41
	s_and_saveexec_b32 s41, s14
	s_cbranch_execz .LBB6_2947
.LBB6_2946:                             ;   in Loop: Header=BB6_2703 Depth=2
	v_and_b32_e32 v7, 7, v10
	v_bfe_u32 v33, v10, 3, 4
	v_lshlrev_b32_e32 v34, 24, v10
	v_ffbh_u32_e32 v31, v7
	v_cmp_eq_u32_e32 vcc_lo, 0, v33
	v_min_u32_e32 v31, 32, v31
	v_subrev_nc_u32_e32 v32, 28, v31
	v_sub_nc_u32_e32 v31, 29, v31
	v_lshlrev_b32_e32 v32, v32, v10
	v_cndmask_b32_e32 v31, v33, v31, vcc_lo
	v_and_b32_e32 v32, 7, v32
	v_lshl_add_u32 v31, v31, 23, 0x3b800000
	v_cndmask_b32_e32 v7, v7, v32, vcc_lo
	v_and_b32_e32 v32, 0x80000000, v34
	v_lshlrev_b32_e32 v7, 20, v7
	v_or3_b32 v7, v32, v31, v7
.LBB6_2947:                             ;   in Loop: Header=BB6_2703 Depth=2
	s_or_b32 exec_lo, exec_lo, s41
	v_add_f32_e32 v7, v4, v7
	v_and_b32_e32 v4, 0x7f800000, v7
	v_cmp_ne_u32_e32 vcc_lo, 0x7f800000, v4
	v_mov_b32_e32 v4, 0x80
	s_and_saveexec_b32 s41, vcc_lo
	s_cbranch_execz .LBB6_2955
; %bb.2948:                             ;   in Loop: Header=BB6_2703 Depth=2
	v_mov_b32_e32 v4, 0
	s_mov_b32 s42, exec_lo
	v_cmpx_ne_u32_e32 0, v7
	s_cbranch_execz .LBB6_2954
; %bb.2949:                             ;   in Loop: Header=BB6_2703 Depth=2
	v_bfe_u32 v4, v7, 23, 8
	v_and_b32_e32 v31, 0x7fffff, v7
	v_sub_nc_u32_e32 v32, 0x78, v4
	v_cmp_gt_u32_e32 vcc_lo, 0x79, v4
	v_or_b32_e32 v33, 0x800000, v31
	v_cndmask_b32_e32 v32, 0, v32, vcc_lo
	v_cmp_eq_u32_e32 vcc_lo, 0, v4
	v_add_nc_u32_e32 v4, 0xffffff89, v4
	v_cndmask_b32_e64 v32, v32, 0x77, vcc_lo
	v_cndmask_b32_e32 v31, v33, v31, vcc_lo
	v_cndmask_b32_e64 v4, v4, 0xffffff8a, vcc_lo
	v_lshl_add_u32 v33, 0x100000, v32, -1
	v_lshrrev_b32_e32 v34, v32, v31
	v_lshlrev_b32_e64 v36, v32, 0x80000
	v_add_nc_u32_e32 v32, v32, v4
	v_and_b32_e32 v31, v33, v31
	v_bfe_u32 v35, v34, 20, 1
	v_cmp_eq_u32_e64 s14, v31, v36
	v_add_nc_u32_e32 v33, -1, v35
	v_cndmask_b32_e64 v31, 0, v33, s14
	v_lshrrev_b32_e32 v33, 23, v34
	s_mov_b32 s14, exec_lo
	v_add_nc_u32_e32 v31, v31, v34
	v_xor_b32_e32 v33, 1, v33
	v_and_b32_e32 v4, 0xfffff, v31
	v_add_nc_u32_e32 v31, v4, v34
                                        ; implicit-def: $vgpr4
	v_cmpx_ne_u32_e64 v32, v33
	s_xor_b32 s14, exec_lo, s14
; %bb.2950:                             ;   in Loop: Header=BB6_2703 Depth=2
	v_cmp_lt_u32_e32 vcc_lo, 0xffffff, v31
	v_sub_nc_u32_e32 v4, v32, v33
	v_cndmask_b32_e64 v32, 0, 1, vcc_lo
	v_add_co_ci_u32_e64 v4, null, 0, v4, vcc_lo
	v_lshrrev_b32_e32 v31, v32, v31
; %bb.2951:                             ;   in Loop: Header=BB6_2703 Depth=2
	s_andn2_saveexec_b32 s14, s14
; %bb.2952:                             ;   in Loop: Header=BB6_2703 Depth=2
	v_bfe_u32 v4, v31, 23, 1
; %bb.2953:                             ;   in Loop: Header=BB6_2703 Depth=2
	s_or_b32 exec_lo, exec_lo, s14
	v_lshrrev_b32_e32 v31, 20, v31
	v_min_i32_e32 v32, 15, v4
	v_cmp_gt_i32_e32 vcc_lo, 16, v4
	v_and_b32_sdwa v7, v7, v114 dst_sel:DWORD dst_unused:UNUSED_PAD src0_sel:BYTE_3 src1_sel:DWORD
	v_lshlrev_b32_e32 v32, 3, v32
	v_cndmask_b32_e32 v31, 7, v31, vcc_lo
	v_and_b32_e32 v32, 0xf8, v32
	v_and_b32_e32 v33, 7, v31
	v_or_b32_e32 v4, v4, v31
	v_or3_b32 v7, v32, v7, v33
	v_cmp_ne_u32_e32 vcc_lo, 0, v4
	v_cndmask_b32_e32 v4, 0, v7, vcc_lo
.LBB6_2954:                             ;   in Loop: Header=BB6_2703 Depth=2
	s_or_b32 exec_lo, exec_lo, s42
.LBB6_2955:                             ;   in Loop: Header=BB6_2703 Depth=2
	s_or_b32 exec_lo, exec_lo, s41
	v_cmp_gt_i16_sdwa s41, v30, v113 src0_sel:BYTE_1 src1_sel:DWORD
	s_mov_b32 s14, 0
	s_and_saveexec_b32 s42, s41
	s_xor_b32 s41, exec_lo, s42
	s_cbranch_execz .LBB6_3289
; %bb.2956:                             ;   in Loop: Header=BB6_2703 Depth=2
	v_cmp_eq_u16_sdwa s43, v30, v114 src0_sel:BYTE_1 src1_sel:DWORD
	s_mov_b32 s14, -1
	s_and_saveexec_b32 s42, s43
; %bb.2957:                             ;   in Loop: Header=BB6_2703 Depth=2
	s_xor_b32 s14, exec_lo, -1
; %bb.2958:                             ;   in Loop: Header=BB6_2703 Depth=2
	s_or_b32 exec_lo, exec_lo, s42
	s_and_b32 s14, s14, exec_lo
	s_or_saveexec_b32 s41, s41
	v_mov_b32_e32 v7, 0x7f800001
	s_xor_b32 exec_lo, exec_lo, s41
	s_cbranch_execnz .LBB6_3290
.LBB6_2959:                             ;   in Loop: Header=BB6_2703 Depth=2
	s_or_b32 exec_lo, exec_lo, s41
	s_and_saveexec_b32 s41, s14
	s_cbranch_execz .LBB6_2961
.LBB6_2960:                             ;   in Loop: Header=BB6_2703 Depth=2
	v_and_b32_sdwa v7, v115, v30 dst_sel:DWORD dst_unused:UNUSED_PAD src0_sel:DWORD src1_sel:BYTE_1
	v_and_b32_e32 v31, 7, v7
	v_bfe_u32 v34, v7, 3, 4
	v_ffbh_u32_e32 v32, v31
	v_cmp_eq_u32_e32 vcc_lo, 0, v34
	v_min_u32_e32 v32, 32, v32
	v_subrev_nc_u32_e32 v33, 28, v32
	v_sub_nc_u32_e32 v32, 29, v32
	v_lshlrev_b32_e32 v7, v33, v7
	v_lshlrev_b32_sdwa v33, v116, v30 dst_sel:DWORD dst_unused:UNUSED_PAD src0_sel:DWORD src1_sel:BYTE_1
	v_cndmask_b32_e32 v32, v34, v32, vcc_lo
	v_and_b32_e32 v7, 7, v7
	v_lshl_add_u32 v32, v32, 23, 0x3b800000
	v_cndmask_b32_e32 v7, v31, v7, vcc_lo
	v_and_b32_e32 v31, 0x80000000, v33
	v_lshlrev_b32_e32 v7, 20, v7
	v_or3_b32 v7, v31, v32, v7
.LBB6_2961:                             ;   in Loop: Header=BB6_2703 Depth=2
	s_or_b32 exec_lo, exec_lo, s41
	v_cmp_gt_i16_sdwa s41, v10, v113 src0_sel:BYTE_1 src1_sel:DWORD
	s_mov_b32 s14, 0
	s_and_saveexec_b32 s42, s41
	s_xor_b32 s41, exec_lo, s42
	s_cbranch_execz .LBB6_3291
; %bb.2962:                             ;   in Loop: Header=BB6_2703 Depth=2
	v_cmp_eq_u16_sdwa s43, v10, v114 src0_sel:BYTE_1 src1_sel:DWORD
	s_mov_b32 s14, -1
	s_and_saveexec_b32 s42, s43
; %bb.2963:                             ;   in Loop: Header=BB6_2703 Depth=2
	s_xor_b32 s14, exec_lo, -1
; %bb.2964:                             ;   in Loop: Header=BB6_2703 Depth=2
	s_or_b32 exec_lo, exec_lo, s42
	s_and_b32 s14, s14, exec_lo
	s_or_saveexec_b32 s41, s41
	v_mov_b32_e32 v31, 0x7f800001
	s_xor_b32 exec_lo, exec_lo, s41
	s_cbranch_execnz .LBB6_3292
.LBB6_2965:                             ;   in Loop: Header=BB6_2703 Depth=2
	s_or_b32 exec_lo, exec_lo, s41
	s_and_saveexec_b32 s41, s14
	s_cbranch_execz .LBB6_2967
.LBB6_2966:                             ;   in Loop: Header=BB6_2703 Depth=2
	v_and_b32_sdwa v31, v115, v10 dst_sel:DWORD dst_unused:UNUSED_PAD src0_sel:DWORD src1_sel:BYTE_1
	v_and_b32_e32 v32, 7, v31
	v_bfe_u32 v35, v31, 3, 4
	v_ffbh_u32_e32 v33, v32
	v_cmp_eq_u32_e32 vcc_lo, 0, v35
	v_min_u32_e32 v33, 32, v33
	v_subrev_nc_u32_e32 v34, 28, v33
	v_sub_nc_u32_e32 v33, 29, v33
	v_lshlrev_b32_e32 v31, v34, v31
	v_lshlrev_b32_sdwa v34, v116, v10 dst_sel:DWORD dst_unused:UNUSED_PAD src0_sel:DWORD src1_sel:BYTE_1
	v_cndmask_b32_e32 v33, v35, v33, vcc_lo
	v_and_b32_e32 v31, 7, v31
	v_lshl_add_u32 v33, v33, 23, 0x3b800000
	v_cndmask_b32_e32 v31, v32, v31, vcc_lo
	v_and_b32_e32 v32, 0x80000000, v34
	v_lshlrev_b32_e32 v31, 20, v31
	v_or3_b32 v31, v32, v33, v31
.LBB6_2967:                             ;   in Loop: Header=BB6_2703 Depth=2
	s_or_b32 exec_lo, exec_lo, s41
	v_add_f32_e32 v31, v7, v31
	v_and_b32_e32 v7, 0x7f800000, v31
	v_cmp_ne_u32_e32 vcc_lo, 0x7f800000, v7
	v_mov_b32_e32 v7, 0x8000
	s_and_saveexec_b32 s41, vcc_lo
	s_cbranch_execz .LBB6_2975
; %bb.2968:                             ;   in Loop: Header=BB6_2703 Depth=2
	v_mov_b32_e32 v7, 0
	s_mov_b32 s42, exec_lo
	v_cmpx_ne_u32_e32 0, v31
	s_cbranch_execz .LBB6_2974
; %bb.2969:                             ;   in Loop: Header=BB6_2703 Depth=2
	v_bfe_u32 v7, v31, 23, 8
	v_and_b32_e32 v32, 0x7fffff, v31
	v_sub_nc_u32_e32 v33, 0x78, v7
	v_cmp_gt_u32_e32 vcc_lo, 0x79, v7
	v_or_b32_e32 v34, 0x800000, v32
	v_cndmask_b32_e32 v33, 0, v33, vcc_lo
	v_cmp_eq_u32_e32 vcc_lo, 0, v7
	v_add_nc_u32_e32 v7, 0xffffff89, v7
	v_cndmask_b32_e64 v33, v33, 0x77, vcc_lo
	v_cndmask_b32_e32 v32, v34, v32, vcc_lo
	v_cndmask_b32_e64 v7, v7, 0xffffff8a, vcc_lo
	v_lshl_add_u32 v34, 0x100000, v33, -1
	v_lshrrev_b32_e32 v35, v33, v32
	v_lshlrev_b32_e64 v37, v33, 0x80000
	v_add_nc_u32_e32 v33, v33, v7
	v_and_b32_e32 v32, v34, v32
	v_bfe_u32 v36, v35, 20, 1
	v_cmp_eq_u32_e64 s14, v32, v37
	v_add_nc_u32_e32 v34, -1, v36
	v_cndmask_b32_e64 v32, 0, v34, s14
	v_lshrrev_b32_e32 v34, 23, v35
	s_mov_b32 s14, exec_lo
	v_add_nc_u32_e32 v32, v32, v35
	v_xor_b32_e32 v34, 1, v34
	v_and_b32_e32 v7, 0xfffff, v32
	v_add_nc_u32_e32 v32, v7, v35
                                        ; implicit-def: $vgpr7
	v_cmpx_ne_u32_e64 v33, v34
	s_xor_b32 s14, exec_lo, s14
; %bb.2970:                             ;   in Loop: Header=BB6_2703 Depth=2
	v_cmp_lt_u32_e32 vcc_lo, 0xffffff, v32
	v_sub_nc_u32_e32 v7, v33, v34
	v_cndmask_b32_e64 v33, 0, 1, vcc_lo
	v_add_co_ci_u32_e64 v7, null, 0, v7, vcc_lo
	v_lshrrev_b32_e32 v32, v33, v32
; %bb.2971:                             ;   in Loop: Header=BB6_2703 Depth=2
	s_andn2_saveexec_b32 s14, s14
; %bb.2972:                             ;   in Loop: Header=BB6_2703 Depth=2
	v_bfe_u32 v7, v32, 23, 1
; %bb.2973:                             ;   in Loop: Header=BB6_2703 Depth=2
	s_or_b32 exec_lo, exec_lo, s14
	v_lshrrev_b32_e32 v32, 20, v32
	v_min_i32_e32 v33, 15, v7
	v_cmp_gt_i32_e32 vcc_lo, 16, v7
	v_and_b32_sdwa v31, v31, v114 dst_sel:DWORD dst_unused:UNUSED_PAD src0_sel:BYTE_3 src1_sel:DWORD
	v_lshlrev_b32_e32 v33, 3, v33
	v_cndmask_b32_e32 v32, 7, v32, vcc_lo
	v_and_b32_e32 v33, 0xf8, v33
	v_and_b32_e32 v34, 7, v32
	v_or_b32_e32 v7, v7, v32
	v_or3_b32 v31, v31, v33, v34
	v_cmp_ne_u32_e32 vcc_lo, 0, v7
	v_lshlrev_b32_e32 v31, 8, v31
	v_cndmask_b32_e32 v7, 0, v31, vcc_lo
.LBB6_2974:                             ;   in Loop: Header=BB6_2703 Depth=2
	s_or_b32 exec_lo, exec_lo, s42
.LBB6_2975:                             ;   in Loop: Header=BB6_2703 Depth=2
	s_or_b32 exec_lo, exec_lo, s41
	v_or_b32_e32 v29, v29, v22
	s_mov_b32 s14, 0
	v_cmp_gt_i16_sdwa s41, v29, v113 src0_sel:BYTE_0 src1_sel:DWORD
	s_and_saveexec_b32 s42, s41
	s_xor_b32 s41, exec_lo, s42
	s_cbranch_execz .LBB6_3293
; %bb.2976:                             ;   in Loop: Header=BB6_2703 Depth=2
	v_cmp_eq_u16_sdwa s43, v29, v114 src0_sel:BYTE_0 src1_sel:DWORD
	s_mov_b32 s14, -1
	s_and_saveexec_b32 s42, s43
; %bb.2977:                             ;   in Loop: Header=BB6_2703 Depth=2
	s_xor_b32 s14, exec_lo, -1
; %bb.2978:                             ;   in Loop: Header=BB6_2703 Depth=2
	s_or_b32 exec_lo, exec_lo, s42
	s_and_b32 s14, s14, exec_lo
	s_or_saveexec_b32 s41, s41
	v_mov_b32_e32 v22, 0x7f800001
	s_xor_b32 exec_lo, exec_lo, s41
	s_cbranch_execnz .LBB6_3294
.LBB6_2979:                             ;   in Loop: Header=BB6_2703 Depth=2
	s_or_b32 exec_lo, exec_lo, s41
	v_lshl_or_b32 v29, v29, 16, v30
	s_and_saveexec_b32 s41, s14
	s_cbranch_execz .LBB6_2981
.LBB6_2980:                             ;   in Loop: Header=BB6_2703 Depth=2
	v_bfe_u32 v22, v29, 16, 3
	v_bfe_u32 v32, v29, 19, 4
	v_lshlrev_b32_e32 v33, 8, v29
	v_ffbh_u32_e32 v30, v22
	v_cmp_eq_u32_e32 vcc_lo, 0, v32
	v_min_u32_e32 v30, 32, v30
	v_subrev_nc_u32_e32 v31, 28, v30
	v_sub_nc_u32_e32 v30, 29, v30
	v_lshlrev_b32_sdwa v31, v31, v29 dst_sel:DWORD dst_unused:UNUSED_PAD src0_sel:DWORD src1_sel:WORD_1
	v_cndmask_b32_e32 v30, v32, v30, vcc_lo
	v_and_b32_e32 v31, 7, v31
	v_lshl_add_u32 v30, v30, 23, 0x3b800000
	v_cndmask_b32_e32 v22, v22, v31, vcc_lo
	v_and_b32_e32 v31, 0x80000000, v33
	v_lshlrev_b32_e32 v22, 20, v22
	v_or3_b32 v22, v31, v30, v22
.LBB6_2981:                             ;   in Loop: Header=BB6_2703 Depth=2
	s_or_b32 exec_lo, exec_lo, s41
	v_and_b32_sdwa v31, v10, v117 dst_sel:DWORD dst_unused:UNUSED_PAD src0_sel:WORD_1 src1_sel:DWORD
	s_mov_b32 s14, 0
	s_mov_b32 s41, exec_lo
	v_cmpx_lt_i16_e32 0x7f, v31
	s_xor_b32 s41, exec_lo, s41
	s_cbranch_execz .LBB6_3295
; %bb.2982:                             ;   in Loop: Header=BB6_2703 Depth=2
	s_mov_b32 s14, -1
	s_mov_b32 s42, exec_lo
	v_cmpx_eq_u16_e32 0x80, v31
; %bb.2983:                             ;   in Loop: Header=BB6_2703 Depth=2
	s_xor_b32 s14, exec_lo, -1
; %bb.2984:                             ;   in Loop: Header=BB6_2703 Depth=2
	s_or_b32 exec_lo, exec_lo, s42
	s_and_b32 s14, s14, exec_lo
                                        ; implicit-def: $vgpr31
	s_or_saveexec_b32 s41, s41
	v_mov_b32_e32 v30, 0x7f800001
	s_xor_b32 exec_lo, exec_lo, s41
	s_cbranch_execnz .LBB6_3296
.LBB6_2985:                             ;   in Loop: Header=BB6_2703 Depth=2
	s_or_b32 exec_lo, exec_lo, s41
	s_and_saveexec_b32 s41, s14
	s_cbranch_execz .LBB6_2987
.LBB6_2986:                             ;   in Loop: Header=BB6_2703 Depth=2
	v_and_b32_sdwa v30, v10, v118 dst_sel:DWORD dst_unused:UNUSED_PAD src0_sel:WORD_1 src1_sel:DWORD
	v_bfe_u32 v33, v10, 19, 4
	v_lshlrev_b32_sdwa v34, v116, v10 dst_sel:DWORD dst_unused:UNUSED_PAD src0_sel:DWORD src1_sel:WORD_1
	v_ffbh_u32_e32 v31, v30
	v_cmp_eq_u32_e32 vcc_lo, 0, v33
	v_min_u32_e32 v31, 32, v31
	v_subrev_nc_u32_e32 v32, 28, v31
	v_sub_nc_u32_e32 v31, 29, v31
	v_lshlrev_b32_sdwa v32, v32, v10 dst_sel:DWORD dst_unused:UNUSED_PAD src0_sel:DWORD src1_sel:WORD_1
	v_cndmask_b32_e32 v31, v33, v31, vcc_lo
	v_and_b32_e32 v32, 7, v32
	v_lshl_add_u32 v31, v31, 23, 0x3b800000
	v_cndmask_b32_e32 v30, v30, v32, vcc_lo
	v_and_b32_e32 v32, 0x80000000, v34
	v_lshlrev_b32_e32 v30, 20, v30
	v_or3_b32 v30, v32, v31, v30
.LBB6_2987:                             ;   in Loop: Header=BB6_2703 Depth=2
	s_or_b32 exec_lo, exec_lo, s41
	v_add_f32_e32 v30, v22, v30
	v_and_b32_e32 v22, 0x7f800000, v30
	v_cmp_ne_u32_e32 vcc_lo, 0x7f800000, v22
	v_mov_b32_e32 v22, 0x80
	s_and_saveexec_b32 s41, vcc_lo
	s_cbranch_execz .LBB6_2995
; %bb.2988:                             ;   in Loop: Header=BB6_2703 Depth=2
	v_mov_b32_e32 v22, 0
	s_mov_b32 s42, exec_lo
	v_cmpx_ne_u32_e32 0, v30
	s_cbranch_execz .LBB6_2994
; %bb.2989:                             ;   in Loop: Header=BB6_2703 Depth=2
	v_bfe_u32 v22, v30, 23, 8
	v_and_b32_e32 v31, 0x7fffff, v30
	v_sub_nc_u32_e32 v32, 0x78, v22
	v_cmp_gt_u32_e32 vcc_lo, 0x79, v22
	v_or_b32_e32 v33, 0x800000, v31
	v_cndmask_b32_e32 v32, 0, v32, vcc_lo
	v_cmp_eq_u32_e32 vcc_lo, 0, v22
	v_add_nc_u32_e32 v22, 0xffffff89, v22
	v_cndmask_b32_e64 v32, v32, 0x77, vcc_lo
	v_cndmask_b32_e32 v31, v33, v31, vcc_lo
	v_cndmask_b32_e64 v22, v22, 0xffffff8a, vcc_lo
	v_lshl_add_u32 v33, 0x100000, v32, -1
	v_lshrrev_b32_e32 v34, v32, v31
	v_lshlrev_b32_e64 v36, v32, 0x80000
	v_add_nc_u32_e32 v32, v32, v22
	v_and_b32_e32 v31, v33, v31
	v_bfe_u32 v35, v34, 20, 1
	v_cmp_eq_u32_e64 s14, v31, v36
	v_add_nc_u32_e32 v33, -1, v35
	v_cndmask_b32_e64 v31, 0, v33, s14
	v_lshrrev_b32_e32 v33, 23, v34
	s_mov_b32 s14, exec_lo
	v_add_nc_u32_e32 v31, v31, v34
	v_xor_b32_e32 v33, 1, v33
	v_and_b32_e32 v22, 0xfffff, v31
	v_add_nc_u32_e32 v31, v22, v34
                                        ; implicit-def: $vgpr22
	v_cmpx_ne_u32_e64 v32, v33
	s_xor_b32 s14, exec_lo, s14
; %bb.2990:                             ;   in Loop: Header=BB6_2703 Depth=2
	v_cmp_lt_u32_e32 vcc_lo, 0xffffff, v31
	v_sub_nc_u32_e32 v22, v32, v33
	v_cndmask_b32_e64 v32, 0, 1, vcc_lo
	v_add_co_ci_u32_e64 v22, null, 0, v22, vcc_lo
	v_lshrrev_b32_e32 v31, v32, v31
; %bb.2991:                             ;   in Loop: Header=BB6_2703 Depth=2
	s_andn2_saveexec_b32 s14, s14
; %bb.2992:                             ;   in Loop: Header=BB6_2703 Depth=2
	v_bfe_u32 v22, v31, 23, 1
; %bb.2993:                             ;   in Loop: Header=BB6_2703 Depth=2
	s_or_b32 exec_lo, exec_lo, s14
	v_lshrrev_b32_e32 v31, 20, v31
	v_min_i32_e32 v32, 15, v22
	v_cmp_gt_i32_e32 vcc_lo, 16, v22
	v_and_b32_sdwa v30, v30, v114 dst_sel:DWORD dst_unused:UNUSED_PAD src0_sel:BYTE_3 src1_sel:DWORD
	v_lshlrev_b32_e32 v32, 3, v32
	v_cndmask_b32_e32 v31, 7, v31, vcc_lo
	v_and_b32_e32 v32, 0xf8, v32
	v_and_b32_e32 v33, 7, v31
	v_or_b32_e32 v22, v22, v31
	v_or3_b32 v30, v32, v30, v33
	v_cmp_ne_u32_e32 vcc_lo, 0, v22
	v_cndmask_b32_e32 v22, 0, v30, vcc_lo
.LBB6_2994:                             ;   in Loop: Header=BB6_2703 Depth=2
	s_or_b32 exec_lo, exec_lo, s42
.LBB6_2995:                             ;   in Loop: Header=BB6_2703 Depth=2
	s_or_b32 exec_lo, exec_lo, s41
	v_cmp_gt_i16_sdwa s41, v29, v113 src0_sel:BYTE_3 src1_sel:DWORD
	s_mov_b32 s14, 0
	s_and_saveexec_b32 s42, s41
	s_xor_b32 s41, exec_lo, s42
	s_cbranch_execz .LBB6_3297
; %bb.2996:                             ;   in Loop: Header=BB6_2703 Depth=2
	v_cmp_eq_u16_sdwa s43, v29, v114 src0_sel:BYTE_3 src1_sel:DWORD
	s_mov_b32 s14, -1
	s_and_saveexec_b32 s42, s43
; %bb.2997:                             ;   in Loop: Header=BB6_2703 Depth=2
	s_xor_b32 s14, exec_lo, -1
; %bb.2998:                             ;   in Loop: Header=BB6_2703 Depth=2
	s_or_b32 exec_lo, exec_lo, s42
	s_and_b32 s14, s14, exec_lo
	s_or_saveexec_b32 s41, s41
	v_mov_b32_e32 v30, 0x7f800001
	s_xor_b32 exec_lo, exec_lo, s41
	s_cbranch_execnz .LBB6_3298
.LBB6_2999:                             ;   in Loop: Header=BB6_2703 Depth=2
	s_or_b32 exec_lo, exec_lo, s41
	s_and_saveexec_b32 s41, s14
	s_cbranch_execz .LBB6_3001
.LBB6_3000:                             ;   in Loop: Header=BB6_2703 Depth=2
	v_bfe_u32 v30, v29, 24, 3
	v_bfe_u32 v33, v29, 27, 4
	v_ffbh_u32_e32 v31, v30
	v_cmp_eq_u32_e32 vcc_lo, 0, v33
	v_min_u32_e32 v31, 32, v31
	v_subrev_nc_u32_e32 v32, 28, v31
	v_sub_nc_u32_e32 v31, 29, v31
	v_lshlrev_b32_sdwa v32, v32, v29 dst_sel:DWORD dst_unused:UNUSED_PAD src0_sel:DWORD src1_sel:BYTE_3
	v_cndmask_b32_e32 v31, v33, v31, vcc_lo
	v_and_b32_e32 v29, 0x80000000, v29
	v_and_b32_e32 v32, 7, v32
	v_lshl_add_u32 v31, v31, 23, 0x3b800000
	v_cndmask_b32_e32 v30, v30, v32, vcc_lo
	v_lshlrev_b32_e32 v30, 20, v30
	v_or3_b32 v30, v29, v31, v30
.LBB6_3001:                             ;   in Loop: Header=BB6_2703 Depth=2
	s_or_b32 exec_lo, exec_lo, s41
	v_cmp_gt_i16_sdwa s41, v10, v113 src0_sel:BYTE_3 src1_sel:DWORD
	s_mov_b32 s14, 0
	s_and_saveexec_b32 s42, s41
	s_xor_b32 s41, exec_lo, s42
	s_cbranch_execz .LBB6_3299
; %bb.3002:                             ;   in Loop: Header=BB6_2703 Depth=2
	v_cmp_eq_u16_sdwa s43, v10, v114 src0_sel:BYTE_3 src1_sel:DWORD
	s_mov_b32 s14, -1
	s_and_saveexec_b32 s42, s43
; %bb.3003:                             ;   in Loop: Header=BB6_2703 Depth=2
	s_xor_b32 s14, exec_lo, -1
; %bb.3004:                             ;   in Loop: Header=BB6_2703 Depth=2
	s_or_b32 exec_lo, exec_lo, s42
	s_and_b32 s14, s14, exec_lo
	s_or_saveexec_b32 s41, s41
	v_mov_b32_e32 v29, 0x7f800001
	s_xor_b32 exec_lo, exec_lo, s41
	s_cbranch_execnz .LBB6_3300
.LBB6_3005:                             ;   in Loop: Header=BB6_2703 Depth=2
	s_or_b32 exec_lo, exec_lo, s41
	s_and_saveexec_b32 s41, s14
	s_cbranch_execz .LBB6_3007
.LBB6_3006:                             ;   in Loop: Header=BB6_2703 Depth=2
	v_and_b32_sdwa v29, v10, v118 dst_sel:DWORD dst_unused:UNUSED_PAD src0_sel:BYTE_3 src1_sel:DWORD
	v_bfe_u32 v33, v10, 27, 4
	v_ffbh_u32_e32 v31, v29
	v_cmp_eq_u32_e32 vcc_lo, 0, v33
	v_min_u32_e32 v31, 32, v31
	v_subrev_nc_u32_e32 v32, 28, v31
	v_sub_nc_u32_e32 v31, 29, v31
	v_lshlrev_b32_sdwa v32, v32, v10 dst_sel:DWORD dst_unused:UNUSED_PAD src0_sel:DWORD src1_sel:BYTE_3
	v_cndmask_b32_e32 v31, v33, v31, vcc_lo
	v_and_b32_e32 v10, 0x80000000, v10
	v_and_b32_e32 v32, 7, v32
	v_lshl_add_u32 v31, v31, 23, 0x3b800000
	v_cndmask_b32_e32 v29, v29, v32, vcc_lo
	v_lshlrev_b32_e32 v29, 20, v29
	v_or3_b32 v29, v10, v31, v29
.LBB6_3007:                             ;   in Loop: Header=BB6_2703 Depth=2
	s_or_b32 exec_lo, exec_lo, s41
	v_add_f32_e32 v29, v30, v29
	v_and_b32_e32 v10, 0x7f800000, v29
	v_cmp_ne_u32_e32 vcc_lo, 0x7f800000, v10
	v_mov_b32_e32 v10, 0x8000
	s_and_saveexec_b32 s41, vcc_lo
	s_cbranch_execz .LBB6_3015
; %bb.3008:                             ;   in Loop: Header=BB6_2703 Depth=2
	v_mov_b32_e32 v10, 0
	s_mov_b32 s42, exec_lo
	v_cmpx_ne_u32_e32 0, v29
	s_cbranch_execz .LBB6_3014
; %bb.3009:                             ;   in Loop: Header=BB6_2703 Depth=2
	v_bfe_u32 v10, v29, 23, 8
	v_and_b32_e32 v30, 0x7fffff, v29
	v_sub_nc_u32_e32 v31, 0x78, v10
	v_cmp_gt_u32_e32 vcc_lo, 0x79, v10
	v_or_b32_e32 v32, 0x800000, v30
	v_cndmask_b32_e32 v31, 0, v31, vcc_lo
	v_cmp_eq_u32_e32 vcc_lo, 0, v10
	v_add_nc_u32_e32 v10, 0xffffff89, v10
	v_cndmask_b32_e64 v31, v31, 0x77, vcc_lo
	v_cndmask_b32_e32 v30, v32, v30, vcc_lo
	v_cndmask_b32_e64 v10, v10, 0xffffff8a, vcc_lo
	v_lshl_add_u32 v32, 0x100000, v31, -1
	v_lshrrev_b32_e32 v33, v31, v30
	v_lshlrev_b32_e64 v35, v31, 0x80000
	v_add_nc_u32_e32 v31, v31, v10
	v_and_b32_e32 v30, v32, v30
	v_bfe_u32 v34, v33, 20, 1
	v_cmp_eq_u32_e64 s14, v30, v35
	v_add_nc_u32_e32 v32, -1, v34
	v_cndmask_b32_e64 v30, 0, v32, s14
	v_lshrrev_b32_e32 v32, 23, v33
	s_mov_b32 s14, exec_lo
	v_add_nc_u32_e32 v30, v30, v33
	v_xor_b32_e32 v32, 1, v32
	v_and_b32_e32 v10, 0xfffff, v30
	v_add_nc_u32_e32 v30, v10, v33
                                        ; implicit-def: $vgpr10
	v_cmpx_ne_u32_e64 v31, v32
	s_xor_b32 s14, exec_lo, s14
; %bb.3010:                             ;   in Loop: Header=BB6_2703 Depth=2
	v_cmp_lt_u32_e32 vcc_lo, 0xffffff, v30
	v_sub_nc_u32_e32 v10, v31, v32
	v_cndmask_b32_e64 v31, 0, 1, vcc_lo
	v_add_co_ci_u32_e64 v10, null, 0, v10, vcc_lo
	v_lshrrev_b32_e32 v30, v31, v30
; %bb.3011:                             ;   in Loop: Header=BB6_2703 Depth=2
	s_andn2_saveexec_b32 s14, s14
; %bb.3012:                             ;   in Loop: Header=BB6_2703 Depth=2
	v_bfe_u32 v10, v30, 23, 1
; %bb.3013:                             ;   in Loop: Header=BB6_2703 Depth=2
	s_or_b32 exec_lo, exec_lo, s14
	v_lshrrev_b32_e32 v30, 20, v30
	v_min_i32_e32 v31, 15, v10
	v_cmp_gt_i32_e32 vcc_lo, 16, v10
	v_and_b32_sdwa v29, v29, v114 dst_sel:DWORD dst_unused:UNUSED_PAD src0_sel:BYTE_3 src1_sel:DWORD
	v_lshlrev_b32_e32 v31, 3, v31
	v_cndmask_b32_e32 v30, 7, v30, vcc_lo
	v_and_b32_e32 v31, 0xf8, v31
	v_and_b32_e32 v32, 7, v30
	v_or_b32_e32 v10, v10, v30
	v_or3_b32 v29, v29, v31, v32
	v_cmp_ne_u32_e32 vcc_lo, 0, v10
	v_lshlrev_b32_e32 v29, 8, v29
	v_cndmask_b32_e32 v10, 0, v29, vcc_lo
.LBB6_3014:                             ;   in Loop: Header=BB6_2703 Depth=2
	s_or_b32 exec_lo, exec_lo, s42
.LBB6_3015:                             ;   in Loop: Header=BB6_2703 Depth=2
	s_or_b32 exec_lo, exec_lo, s41
	v_or_b32_e32 v29, v28, v26
	s_mov_b32 s14, 0
	v_cmp_gt_i16_sdwa s41, v29, v113 src0_sel:BYTE_0 src1_sel:DWORD
	s_and_saveexec_b32 s42, s41
	s_xor_b32 s41, exec_lo, s42
	s_cbranch_execz .LBB6_3301
; %bb.3016:                             ;   in Loop: Header=BB6_2703 Depth=2
	v_cmp_eq_u16_sdwa s43, v29, v114 src0_sel:BYTE_0 src1_sel:DWORD
	s_mov_b32 s14, -1
	s_and_saveexec_b32 s42, s43
; %bb.3017:                             ;   in Loop: Header=BB6_2703 Depth=2
	s_xor_b32 s14, exec_lo, -1
; %bb.3018:                             ;   in Loop: Header=BB6_2703 Depth=2
	s_or_b32 exec_lo, exec_lo, s42
	s_and_b32 s14, s14, exec_lo
	s_or_saveexec_b32 s41, s41
	v_mov_b32_e32 v26, 0x7f800001
	s_xor_b32 exec_lo, exec_lo, s41
	s_cbranch_execnz .LBB6_3302
.LBB6_3019:                             ;   in Loop: Header=BB6_2703 Depth=2
	s_or_b32 exec_lo, exec_lo, s41
	s_and_saveexec_b32 s41, s14
	s_cbranch_execz .LBB6_3021
.LBB6_3020:                             ;   in Loop: Header=BB6_2703 Depth=2
	v_and_b32_e32 v26, 7, v29
	v_bfe_u32 v31, v29, 3, 4
	v_lshlrev_b32_e32 v32, 24, v29
	v_ffbh_u32_e32 v28, v26
	v_cmp_eq_u32_e32 vcc_lo, 0, v31
	v_min_u32_e32 v28, 32, v28
	v_subrev_nc_u32_e32 v30, 28, v28
	v_sub_nc_u32_e32 v28, 29, v28
	v_lshlrev_b32_e32 v30, v30, v29
	v_cndmask_b32_e32 v28, v31, v28, vcc_lo
	v_and_b32_e32 v30, 7, v30
	v_lshl_add_u32 v28, v28, 23, 0x3b800000
	v_cndmask_b32_e32 v26, v26, v30, vcc_lo
	v_and_b32_e32 v30, 0x80000000, v32
	v_lshlrev_b32_e32 v26, 20, v26
	v_or3_b32 v26, v30, v28, v26
.LBB6_3021:                             ;   in Loop: Header=BB6_2703 Depth=2
	s_or_b32 exec_lo, exec_lo, s41
	v_cmp_gt_i16_sdwa s41, v11, v113 src0_sel:BYTE_0 src1_sel:DWORD
	s_mov_b32 s14, 0
	s_and_saveexec_b32 s42, s41
	s_xor_b32 s41, exec_lo, s42
	s_cbranch_execz .LBB6_3303
; %bb.3022:                             ;   in Loop: Header=BB6_2703 Depth=2
	v_cmp_eq_u16_sdwa s43, v11, v114 src0_sel:BYTE_0 src1_sel:DWORD
	s_mov_b32 s14, -1
	s_and_saveexec_b32 s42, s43
; %bb.3023:                             ;   in Loop: Header=BB6_2703 Depth=2
	s_xor_b32 s14, exec_lo, -1
; %bb.3024:                             ;   in Loop: Header=BB6_2703 Depth=2
	s_or_b32 exec_lo, exec_lo, s42
	s_and_b32 s14, s14, exec_lo
	s_or_saveexec_b32 s41, s41
	v_mov_b32_e32 v28, 0x7f800001
	s_xor_b32 exec_lo, exec_lo, s41
	s_cbranch_execnz .LBB6_3304
.LBB6_3025:                             ;   in Loop: Header=BB6_2703 Depth=2
	s_or_b32 exec_lo, exec_lo, s41
	s_and_saveexec_b32 s41, s14
	s_cbranch_execz .LBB6_3027
.LBB6_3026:                             ;   in Loop: Header=BB6_2703 Depth=2
	v_and_b32_e32 v28, 7, v11
	v_bfe_u32 v32, v11, 3, 4
	v_lshlrev_b32_e32 v33, 24, v11
	v_ffbh_u32_e32 v30, v28
	v_cmp_eq_u32_e32 vcc_lo, 0, v32
	v_min_u32_e32 v30, 32, v30
	v_subrev_nc_u32_e32 v31, 28, v30
	v_sub_nc_u32_e32 v30, 29, v30
	v_lshlrev_b32_e32 v31, v31, v11
	v_cndmask_b32_e32 v30, v32, v30, vcc_lo
	v_and_b32_e32 v31, 7, v31
	v_lshl_add_u32 v30, v30, 23, 0x3b800000
	v_cndmask_b32_e32 v28, v28, v31, vcc_lo
	v_and_b32_e32 v31, 0x80000000, v33
	v_lshlrev_b32_e32 v28, 20, v28
	v_or3_b32 v28, v31, v30, v28
.LBB6_3027:                             ;   in Loop: Header=BB6_2703 Depth=2
	s_or_b32 exec_lo, exec_lo, s41
	v_add_f32_e32 v28, v26, v28
	v_and_b32_e32 v26, 0x7f800000, v28
	v_cmp_ne_u32_e32 vcc_lo, 0x7f800000, v26
	v_mov_b32_e32 v26, 0x80
	s_and_saveexec_b32 s41, vcc_lo
	s_cbranch_execz .LBB6_3035
; %bb.3028:                             ;   in Loop: Header=BB6_2703 Depth=2
	v_mov_b32_e32 v26, 0
	s_mov_b32 s42, exec_lo
	v_cmpx_ne_u32_e32 0, v28
	s_cbranch_execz .LBB6_3034
; %bb.3029:                             ;   in Loop: Header=BB6_2703 Depth=2
	v_bfe_u32 v26, v28, 23, 8
	v_and_b32_e32 v30, 0x7fffff, v28
	v_sub_nc_u32_e32 v31, 0x78, v26
	v_cmp_gt_u32_e32 vcc_lo, 0x79, v26
	v_or_b32_e32 v32, 0x800000, v30
	v_cndmask_b32_e32 v31, 0, v31, vcc_lo
	v_cmp_eq_u32_e32 vcc_lo, 0, v26
	v_add_nc_u32_e32 v26, 0xffffff89, v26
	v_cndmask_b32_e64 v31, v31, 0x77, vcc_lo
	v_cndmask_b32_e32 v30, v32, v30, vcc_lo
	v_cndmask_b32_e64 v26, v26, 0xffffff8a, vcc_lo
	v_lshl_add_u32 v32, 0x100000, v31, -1
	v_lshrrev_b32_e32 v33, v31, v30
	v_lshlrev_b32_e64 v35, v31, 0x80000
	v_add_nc_u32_e32 v31, v31, v26
	v_and_b32_e32 v30, v32, v30
	v_bfe_u32 v34, v33, 20, 1
	v_cmp_eq_u32_e64 s14, v30, v35
	v_add_nc_u32_e32 v32, -1, v34
	v_cndmask_b32_e64 v30, 0, v32, s14
	v_lshrrev_b32_e32 v32, 23, v33
	s_mov_b32 s14, exec_lo
	v_add_nc_u32_e32 v30, v30, v33
	v_xor_b32_e32 v32, 1, v32
	v_and_b32_e32 v26, 0xfffff, v30
	v_add_nc_u32_e32 v30, v26, v33
                                        ; implicit-def: $vgpr26
	v_cmpx_ne_u32_e64 v31, v32
	s_xor_b32 s14, exec_lo, s14
; %bb.3030:                             ;   in Loop: Header=BB6_2703 Depth=2
	v_cmp_lt_u32_e32 vcc_lo, 0xffffff, v30
	v_sub_nc_u32_e32 v26, v31, v32
	v_cndmask_b32_e64 v31, 0, 1, vcc_lo
	v_add_co_ci_u32_e64 v26, null, 0, v26, vcc_lo
	v_lshrrev_b32_e32 v30, v31, v30
; %bb.3031:                             ;   in Loop: Header=BB6_2703 Depth=2
	s_andn2_saveexec_b32 s14, s14
; %bb.3032:                             ;   in Loop: Header=BB6_2703 Depth=2
	v_bfe_u32 v26, v30, 23, 1
; %bb.3033:                             ;   in Loop: Header=BB6_2703 Depth=2
	s_or_b32 exec_lo, exec_lo, s14
	v_lshrrev_b32_e32 v30, 20, v30
	v_min_i32_e32 v31, 15, v26
	v_cmp_gt_i32_e32 vcc_lo, 16, v26
	v_and_b32_sdwa v28, v28, v114 dst_sel:DWORD dst_unused:UNUSED_PAD src0_sel:BYTE_3 src1_sel:DWORD
	v_lshlrev_b32_e32 v31, 3, v31
	v_cndmask_b32_e32 v30, 7, v30, vcc_lo
	v_and_b32_e32 v31, 0xf8, v31
	v_and_b32_e32 v32, 7, v30
	v_or_b32_e32 v26, v26, v30
	v_or3_b32 v28, v31, v28, v32
	v_cmp_ne_u32_e32 vcc_lo, 0, v26
	v_cndmask_b32_e32 v26, 0, v28, vcc_lo
.LBB6_3034:                             ;   in Loop: Header=BB6_2703 Depth=2
	s_or_b32 exec_lo, exec_lo, s42
.LBB6_3035:                             ;   in Loop: Header=BB6_2703 Depth=2
	s_or_b32 exec_lo, exec_lo, s41
	v_cmp_gt_i16_sdwa s41, v29, v113 src0_sel:BYTE_1 src1_sel:DWORD
	s_mov_b32 s14, 0
	s_and_saveexec_b32 s42, s41
	s_xor_b32 s41, exec_lo, s42
	s_cbranch_execz .LBB6_3305
; %bb.3036:                             ;   in Loop: Header=BB6_2703 Depth=2
	v_cmp_eq_u16_sdwa s43, v29, v114 src0_sel:BYTE_1 src1_sel:DWORD
	s_mov_b32 s14, -1
	s_and_saveexec_b32 s42, s43
; %bb.3037:                             ;   in Loop: Header=BB6_2703 Depth=2
	s_xor_b32 s14, exec_lo, -1
; %bb.3038:                             ;   in Loop: Header=BB6_2703 Depth=2
	s_or_b32 exec_lo, exec_lo, s42
	s_and_b32 s14, s14, exec_lo
	s_or_saveexec_b32 s41, s41
	v_mov_b32_e32 v28, 0x7f800001
	s_xor_b32 exec_lo, exec_lo, s41
	s_cbranch_execnz .LBB6_3306
.LBB6_3039:                             ;   in Loop: Header=BB6_2703 Depth=2
	s_or_b32 exec_lo, exec_lo, s41
	s_and_saveexec_b32 s41, s14
	s_cbranch_execz .LBB6_3041
.LBB6_3040:                             ;   in Loop: Header=BB6_2703 Depth=2
	v_and_b32_sdwa v28, v115, v29 dst_sel:DWORD dst_unused:UNUSED_PAD src0_sel:DWORD src1_sel:BYTE_1
	v_and_b32_e32 v30, 7, v28
	v_bfe_u32 v33, v28, 3, 4
	v_ffbh_u32_e32 v31, v30
	v_cmp_eq_u32_e32 vcc_lo, 0, v33
	v_min_u32_e32 v31, 32, v31
	v_subrev_nc_u32_e32 v32, 28, v31
	v_sub_nc_u32_e32 v31, 29, v31
	v_lshlrev_b32_e32 v28, v32, v28
	v_lshlrev_b32_sdwa v32, v116, v29 dst_sel:DWORD dst_unused:UNUSED_PAD src0_sel:DWORD src1_sel:BYTE_1
	v_cndmask_b32_e32 v31, v33, v31, vcc_lo
	v_and_b32_e32 v28, 7, v28
	v_lshl_add_u32 v31, v31, 23, 0x3b800000
	v_cndmask_b32_e32 v28, v30, v28, vcc_lo
	v_and_b32_e32 v30, 0x80000000, v32
	v_lshlrev_b32_e32 v28, 20, v28
	v_or3_b32 v28, v30, v31, v28
.LBB6_3041:                             ;   in Loop: Header=BB6_2703 Depth=2
	s_or_b32 exec_lo, exec_lo, s41
	v_cmp_gt_i16_sdwa s41, v11, v113 src0_sel:BYTE_1 src1_sel:DWORD
	s_mov_b32 s14, 0
	s_and_saveexec_b32 s42, s41
	s_xor_b32 s41, exec_lo, s42
	s_cbranch_execz .LBB6_3307
; %bb.3042:                             ;   in Loop: Header=BB6_2703 Depth=2
	v_cmp_eq_u16_sdwa s43, v11, v114 src0_sel:BYTE_1 src1_sel:DWORD
	s_mov_b32 s14, -1
	s_and_saveexec_b32 s42, s43
; %bb.3043:                             ;   in Loop: Header=BB6_2703 Depth=2
	s_xor_b32 s14, exec_lo, -1
; %bb.3044:                             ;   in Loop: Header=BB6_2703 Depth=2
	s_or_b32 exec_lo, exec_lo, s42
	s_and_b32 s14, s14, exec_lo
	s_or_saveexec_b32 s41, s41
	v_mov_b32_e32 v30, 0x7f800001
	s_xor_b32 exec_lo, exec_lo, s41
	s_cbranch_execnz .LBB6_3308
.LBB6_3045:                             ;   in Loop: Header=BB6_2703 Depth=2
	s_or_b32 exec_lo, exec_lo, s41
	s_and_saveexec_b32 s41, s14
	s_cbranch_execz .LBB6_3047
.LBB6_3046:                             ;   in Loop: Header=BB6_2703 Depth=2
	v_and_b32_sdwa v30, v115, v11 dst_sel:DWORD dst_unused:UNUSED_PAD src0_sel:DWORD src1_sel:BYTE_1
	v_and_b32_e32 v31, 7, v30
	v_bfe_u32 v34, v30, 3, 4
	v_ffbh_u32_e32 v32, v31
	v_cmp_eq_u32_e32 vcc_lo, 0, v34
	v_min_u32_e32 v32, 32, v32
	v_subrev_nc_u32_e32 v33, 28, v32
	v_sub_nc_u32_e32 v32, 29, v32
	v_lshlrev_b32_e32 v30, v33, v30
	v_lshlrev_b32_sdwa v33, v116, v11 dst_sel:DWORD dst_unused:UNUSED_PAD src0_sel:DWORD src1_sel:BYTE_1
	v_cndmask_b32_e32 v32, v34, v32, vcc_lo
	v_and_b32_e32 v30, 7, v30
	v_lshl_add_u32 v32, v32, 23, 0x3b800000
	v_cndmask_b32_e32 v30, v31, v30, vcc_lo
	v_and_b32_e32 v31, 0x80000000, v33
	v_lshlrev_b32_e32 v30, 20, v30
	v_or3_b32 v30, v31, v32, v30
.LBB6_3047:                             ;   in Loop: Header=BB6_2703 Depth=2
	s_or_b32 exec_lo, exec_lo, s41
	v_add_f32_e32 v30, v28, v30
	v_and_b32_e32 v28, 0x7f800000, v30
	v_cmp_ne_u32_e32 vcc_lo, 0x7f800000, v28
	v_mov_b32_e32 v28, 0x8000
	s_and_saveexec_b32 s41, vcc_lo
	s_cbranch_execz .LBB6_3055
; %bb.3048:                             ;   in Loop: Header=BB6_2703 Depth=2
	v_mov_b32_e32 v28, 0
	s_mov_b32 s42, exec_lo
	v_cmpx_ne_u32_e32 0, v30
	s_cbranch_execz .LBB6_3054
; %bb.3049:                             ;   in Loop: Header=BB6_2703 Depth=2
	v_bfe_u32 v28, v30, 23, 8
	v_and_b32_e32 v31, 0x7fffff, v30
	v_sub_nc_u32_e32 v32, 0x78, v28
	v_cmp_gt_u32_e32 vcc_lo, 0x79, v28
	v_or_b32_e32 v33, 0x800000, v31
	v_cndmask_b32_e32 v32, 0, v32, vcc_lo
	v_cmp_eq_u32_e32 vcc_lo, 0, v28
	v_add_nc_u32_e32 v28, 0xffffff89, v28
	v_cndmask_b32_e64 v32, v32, 0x77, vcc_lo
	v_cndmask_b32_e32 v31, v33, v31, vcc_lo
	v_cndmask_b32_e64 v28, v28, 0xffffff8a, vcc_lo
	v_lshl_add_u32 v33, 0x100000, v32, -1
	v_lshrrev_b32_e32 v34, v32, v31
	v_lshlrev_b32_e64 v36, v32, 0x80000
	v_add_nc_u32_e32 v32, v32, v28
	v_and_b32_e32 v31, v33, v31
	v_bfe_u32 v35, v34, 20, 1
	v_cmp_eq_u32_e64 s14, v31, v36
	v_add_nc_u32_e32 v33, -1, v35
	v_cndmask_b32_e64 v31, 0, v33, s14
	v_lshrrev_b32_e32 v33, 23, v34
	s_mov_b32 s14, exec_lo
	v_add_nc_u32_e32 v31, v31, v34
	v_xor_b32_e32 v33, 1, v33
	v_and_b32_e32 v28, 0xfffff, v31
	v_add_nc_u32_e32 v31, v28, v34
                                        ; implicit-def: $vgpr28
	v_cmpx_ne_u32_e64 v32, v33
	s_xor_b32 s14, exec_lo, s14
; %bb.3050:                             ;   in Loop: Header=BB6_2703 Depth=2
	v_cmp_lt_u32_e32 vcc_lo, 0xffffff, v31
	v_sub_nc_u32_e32 v28, v32, v33
	v_cndmask_b32_e64 v32, 0, 1, vcc_lo
	v_add_co_ci_u32_e64 v28, null, 0, v28, vcc_lo
	v_lshrrev_b32_e32 v31, v32, v31
; %bb.3051:                             ;   in Loop: Header=BB6_2703 Depth=2
	s_andn2_saveexec_b32 s14, s14
; %bb.3052:                             ;   in Loop: Header=BB6_2703 Depth=2
	v_bfe_u32 v28, v31, 23, 1
; %bb.3053:                             ;   in Loop: Header=BB6_2703 Depth=2
	s_or_b32 exec_lo, exec_lo, s14
	v_lshrrev_b32_e32 v31, 20, v31
	v_min_i32_e32 v32, 15, v28
	v_cmp_gt_i32_e32 vcc_lo, 16, v28
	v_and_b32_sdwa v30, v30, v114 dst_sel:DWORD dst_unused:UNUSED_PAD src0_sel:BYTE_3 src1_sel:DWORD
	v_lshlrev_b32_e32 v32, 3, v32
	v_cndmask_b32_e32 v31, 7, v31, vcc_lo
	v_and_b32_e32 v32, 0xf8, v32
	v_and_b32_e32 v33, 7, v31
	v_or_b32_e32 v28, v28, v31
	v_or3_b32 v30, v30, v32, v33
	v_cmp_ne_u32_e32 vcc_lo, 0, v28
	v_lshlrev_b32_e32 v30, 8, v30
	v_cndmask_b32_e32 v28, 0, v30, vcc_lo
.LBB6_3054:                             ;   in Loop: Header=BB6_2703 Depth=2
	s_or_b32 exec_lo, exec_lo, s42
.LBB6_3055:                             ;   in Loop: Header=BB6_2703 Depth=2
	s_or_b32 exec_lo, exec_lo, s41
	v_or_b32_e32 v27, v27, v24
	s_mov_b32 s14, 0
	v_cmp_gt_i16_sdwa s41, v27, v113 src0_sel:BYTE_0 src1_sel:DWORD
	s_and_saveexec_b32 s42, s41
	s_xor_b32 s41, exec_lo, s42
	s_cbranch_execz .LBB6_3309
; %bb.3056:                             ;   in Loop: Header=BB6_2703 Depth=2
	v_cmp_eq_u16_sdwa s43, v27, v114 src0_sel:BYTE_0 src1_sel:DWORD
	s_mov_b32 s14, -1
	s_and_saveexec_b32 s42, s43
; %bb.3057:                             ;   in Loop: Header=BB6_2703 Depth=2
	s_xor_b32 s14, exec_lo, -1
; %bb.3058:                             ;   in Loop: Header=BB6_2703 Depth=2
	s_or_b32 exec_lo, exec_lo, s42
	s_and_b32 s14, s14, exec_lo
	s_or_saveexec_b32 s41, s41
	v_mov_b32_e32 v24, 0x7f800001
	s_xor_b32 exec_lo, exec_lo, s41
	s_cbranch_execnz .LBB6_3310
.LBB6_3059:                             ;   in Loop: Header=BB6_2703 Depth=2
	s_or_b32 exec_lo, exec_lo, s41
	v_lshl_or_b32 v27, v27, 16, v29
	s_and_saveexec_b32 s41, s14
	s_cbranch_execz .LBB6_3061
.LBB6_3060:                             ;   in Loop: Header=BB6_2703 Depth=2
	v_bfe_u32 v24, v27, 16, 3
	v_bfe_u32 v31, v27, 19, 4
	v_lshlrev_b32_e32 v32, 8, v27
	v_ffbh_u32_e32 v29, v24
	v_cmp_eq_u32_e32 vcc_lo, 0, v31
	v_min_u32_e32 v29, 32, v29
	v_subrev_nc_u32_e32 v30, 28, v29
	v_sub_nc_u32_e32 v29, 29, v29
	v_lshlrev_b32_sdwa v30, v30, v27 dst_sel:DWORD dst_unused:UNUSED_PAD src0_sel:DWORD src1_sel:WORD_1
	v_cndmask_b32_e32 v29, v31, v29, vcc_lo
	v_and_b32_e32 v30, 7, v30
	v_lshl_add_u32 v29, v29, 23, 0x3b800000
	v_cndmask_b32_e32 v24, v24, v30, vcc_lo
	v_and_b32_e32 v30, 0x80000000, v32
	v_lshlrev_b32_e32 v24, 20, v24
	v_or3_b32 v24, v30, v29, v24
.LBB6_3061:                             ;   in Loop: Header=BB6_2703 Depth=2
	s_or_b32 exec_lo, exec_lo, s41
	v_and_b32_sdwa v30, v11, v117 dst_sel:DWORD dst_unused:UNUSED_PAD src0_sel:WORD_1 src1_sel:DWORD
	s_mov_b32 s14, 0
	s_mov_b32 s41, exec_lo
	v_cmpx_lt_i16_e32 0x7f, v30
	s_xor_b32 s41, exec_lo, s41
	s_cbranch_execz .LBB6_3311
; %bb.3062:                             ;   in Loop: Header=BB6_2703 Depth=2
	s_mov_b32 s14, -1
	s_mov_b32 s42, exec_lo
	v_cmpx_eq_u16_e32 0x80, v30
; %bb.3063:                             ;   in Loop: Header=BB6_2703 Depth=2
	s_xor_b32 s14, exec_lo, -1
; %bb.3064:                             ;   in Loop: Header=BB6_2703 Depth=2
	s_or_b32 exec_lo, exec_lo, s42
	s_and_b32 s14, s14, exec_lo
                                        ; implicit-def: $vgpr30
	s_or_saveexec_b32 s41, s41
	v_mov_b32_e32 v29, 0x7f800001
	s_xor_b32 exec_lo, exec_lo, s41
	s_cbranch_execnz .LBB6_3312
.LBB6_3065:                             ;   in Loop: Header=BB6_2703 Depth=2
	s_or_b32 exec_lo, exec_lo, s41
	s_and_saveexec_b32 s41, s14
	s_cbranch_execz .LBB6_3067
.LBB6_3066:                             ;   in Loop: Header=BB6_2703 Depth=2
	v_and_b32_sdwa v29, v11, v118 dst_sel:DWORD dst_unused:UNUSED_PAD src0_sel:WORD_1 src1_sel:DWORD
	v_bfe_u32 v32, v11, 19, 4
	v_lshlrev_b32_sdwa v33, v116, v11 dst_sel:DWORD dst_unused:UNUSED_PAD src0_sel:DWORD src1_sel:WORD_1
	v_ffbh_u32_e32 v30, v29
	v_cmp_eq_u32_e32 vcc_lo, 0, v32
	v_min_u32_e32 v30, 32, v30
	v_subrev_nc_u32_e32 v31, 28, v30
	v_sub_nc_u32_e32 v30, 29, v30
	v_lshlrev_b32_sdwa v31, v31, v11 dst_sel:DWORD dst_unused:UNUSED_PAD src0_sel:DWORD src1_sel:WORD_1
	v_cndmask_b32_e32 v30, v32, v30, vcc_lo
	v_and_b32_e32 v31, 7, v31
	v_lshl_add_u32 v30, v30, 23, 0x3b800000
	v_cndmask_b32_e32 v29, v29, v31, vcc_lo
	v_and_b32_e32 v31, 0x80000000, v33
	v_lshlrev_b32_e32 v29, 20, v29
	v_or3_b32 v29, v31, v30, v29
.LBB6_3067:                             ;   in Loop: Header=BB6_2703 Depth=2
	s_or_b32 exec_lo, exec_lo, s41
	v_add_f32_e32 v29, v24, v29
	v_and_b32_e32 v24, 0x7f800000, v29
	v_cmp_ne_u32_e32 vcc_lo, 0x7f800000, v24
	v_mov_b32_e32 v24, 0x80
	s_and_saveexec_b32 s41, vcc_lo
	s_cbranch_execz .LBB6_3075
; %bb.3068:                             ;   in Loop: Header=BB6_2703 Depth=2
	v_mov_b32_e32 v24, 0
	s_mov_b32 s42, exec_lo
	v_cmpx_ne_u32_e32 0, v29
	s_cbranch_execz .LBB6_3074
; %bb.3069:                             ;   in Loop: Header=BB6_2703 Depth=2
	v_bfe_u32 v24, v29, 23, 8
	v_and_b32_e32 v30, 0x7fffff, v29
	v_sub_nc_u32_e32 v31, 0x78, v24
	v_cmp_gt_u32_e32 vcc_lo, 0x79, v24
	v_or_b32_e32 v32, 0x800000, v30
	v_cndmask_b32_e32 v31, 0, v31, vcc_lo
	v_cmp_eq_u32_e32 vcc_lo, 0, v24
	v_add_nc_u32_e32 v24, 0xffffff89, v24
	v_cndmask_b32_e64 v31, v31, 0x77, vcc_lo
	v_cndmask_b32_e32 v30, v32, v30, vcc_lo
	v_cndmask_b32_e64 v24, v24, 0xffffff8a, vcc_lo
	v_lshl_add_u32 v32, 0x100000, v31, -1
	v_lshrrev_b32_e32 v33, v31, v30
	v_lshlrev_b32_e64 v35, v31, 0x80000
	v_add_nc_u32_e32 v31, v31, v24
	v_and_b32_e32 v30, v32, v30
	v_bfe_u32 v34, v33, 20, 1
	v_cmp_eq_u32_e64 s14, v30, v35
	v_add_nc_u32_e32 v32, -1, v34
	v_cndmask_b32_e64 v30, 0, v32, s14
	v_lshrrev_b32_e32 v32, 23, v33
	s_mov_b32 s14, exec_lo
	v_add_nc_u32_e32 v30, v30, v33
	v_xor_b32_e32 v32, 1, v32
	v_and_b32_e32 v24, 0xfffff, v30
	v_add_nc_u32_e32 v30, v24, v33
                                        ; implicit-def: $vgpr24
	v_cmpx_ne_u32_e64 v31, v32
	s_xor_b32 s14, exec_lo, s14
; %bb.3070:                             ;   in Loop: Header=BB6_2703 Depth=2
	v_cmp_lt_u32_e32 vcc_lo, 0xffffff, v30
	v_sub_nc_u32_e32 v24, v31, v32
	v_cndmask_b32_e64 v31, 0, 1, vcc_lo
	v_add_co_ci_u32_e64 v24, null, 0, v24, vcc_lo
	v_lshrrev_b32_e32 v30, v31, v30
; %bb.3071:                             ;   in Loop: Header=BB6_2703 Depth=2
	s_andn2_saveexec_b32 s14, s14
; %bb.3072:                             ;   in Loop: Header=BB6_2703 Depth=2
	v_bfe_u32 v24, v30, 23, 1
; %bb.3073:                             ;   in Loop: Header=BB6_2703 Depth=2
	s_or_b32 exec_lo, exec_lo, s14
	v_lshrrev_b32_e32 v30, 20, v30
	v_min_i32_e32 v31, 15, v24
	v_cmp_gt_i32_e32 vcc_lo, 16, v24
	v_and_b32_sdwa v29, v29, v114 dst_sel:DWORD dst_unused:UNUSED_PAD src0_sel:BYTE_3 src1_sel:DWORD
	v_lshlrev_b32_e32 v31, 3, v31
	v_cndmask_b32_e32 v30, 7, v30, vcc_lo
	v_and_b32_e32 v31, 0xf8, v31
	v_and_b32_e32 v32, 7, v30
	v_or_b32_e32 v24, v24, v30
	v_or3_b32 v29, v31, v29, v32
	v_cmp_ne_u32_e32 vcc_lo, 0, v24
	v_cndmask_b32_e32 v24, 0, v29, vcc_lo
.LBB6_3074:                             ;   in Loop: Header=BB6_2703 Depth=2
	s_or_b32 exec_lo, exec_lo, s42
.LBB6_3075:                             ;   in Loop: Header=BB6_2703 Depth=2
	s_or_b32 exec_lo, exec_lo, s41
	v_cmp_gt_i16_sdwa s41, v27, v113 src0_sel:BYTE_3 src1_sel:DWORD
	s_mov_b32 s14, 0
	s_and_saveexec_b32 s42, s41
	s_xor_b32 s41, exec_lo, s42
	s_cbranch_execz .LBB6_3313
; %bb.3076:                             ;   in Loop: Header=BB6_2703 Depth=2
	v_cmp_eq_u16_sdwa s43, v27, v114 src0_sel:BYTE_3 src1_sel:DWORD
	s_mov_b32 s14, -1
	s_and_saveexec_b32 s42, s43
; %bb.3077:                             ;   in Loop: Header=BB6_2703 Depth=2
	s_xor_b32 s14, exec_lo, -1
; %bb.3078:                             ;   in Loop: Header=BB6_2703 Depth=2
	s_or_b32 exec_lo, exec_lo, s42
	s_and_b32 s14, s14, exec_lo
	s_or_saveexec_b32 s41, s41
	v_mov_b32_e32 v29, 0x7f800001
	s_xor_b32 exec_lo, exec_lo, s41
	s_cbranch_execnz .LBB6_3314
.LBB6_3079:                             ;   in Loop: Header=BB6_2703 Depth=2
	s_or_b32 exec_lo, exec_lo, s41
	s_and_saveexec_b32 s41, s14
	s_cbranch_execz .LBB6_3081
.LBB6_3080:                             ;   in Loop: Header=BB6_2703 Depth=2
	v_bfe_u32 v29, v27, 24, 3
	v_bfe_u32 v32, v27, 27, 4
	v_ffbh_u32_e32 v30, v29
	v_cmp_eq_u32_e32 vcc_lo, 0, v32
	v_min_u32_e32 v30, 32, v30
	v_subrev_nc_u32_e32 v31, 28, v30
	v_sub_nc_u32_e32 v30, 29, v30
	v_lshlrev_b32_sdwa v31, v31, v27 dst_sel:DWORD dst_unused:UNUSED_PAD src0_sel:DWORD src1_sel:BYTE_3
	v_cndmask_b32_e32 v30, v32, v30, vcc_lo
	v_and_b32_e32 v27, 0x80000000, v27
	v_and_b32_e32 v31, 7, v31
	v_lshl_add_u32 v30, v30, 23, 0x3b800000
	v_cndmask_b32_e32 v29, v29, v31, vcc_lo
	v_lshlrev_b32_e32 v29, 20, v29
	v_or3_b32 v29, v27, v30, v29
.LBB6_3081:                             ;   in Loop: Header=BB6_2703 Depth=2
	s_or_b32 exec_lo, exec_lo, s41
	v_cmp_gt_i16_sdwa s41, v11, v113 src0_sel:BYTE_3 src1_sel:DWORD
	s_mov_b32 s14, 0
	s_and_saveexec_b32 s42, s41
	s_xor_b32 s41, exec_lo, s42
	s_cbranch_execz .LBB6_3315
; %bb.3082:                             ;   in Loop: Header=BB6_2703 Depth=2
	v_cmp_eq_u16_sdwa s43, v11, v114 src0_sel:BYTE_3 src1_sel:DWORD
	s_mov_b32 s14, -1
	s_and_saveexec_b32 s42, s43
; %bb.3083:                             ;   in Loop: Header=BB6_2703 Depth=2
	s_xor_b32 s14, exec_lo, -1
; %bb.3084:                             ;   in Loop: Header=BB6_2703 Depth=2
	s_or_b32 exec_lo, exec_lo, s42
	s_and_b32 s14, s14, exec_lo
	s_or_saveexec_b32 s41, s41
	v_mov_b32_e32 v27, 0x7f800001
	s_xor_b32 exec_lo, exec_lo, s41
	s_cbranch_execnz .LBB6_3316
.LBB6_3085:                             ;   in Loop: Header=BB6_2703 Depth=2
	s_or_b32 exec_lo, exec_lo, s41
	s_and_saveexec_b32 s41, s14
	s_cbranch_execz .LBB6_3087
.LBB6_3086:                             ;   in Loop: Header=BB6_2703 Depth=2
	v_and_b32_sdwa v27, v11, v118 dst_sel:DWORD dst_unused:UNUSED_PAD src0_sel:BYTE_3 src1_sel:DWORD
	v_bfe_u32 v32, v11, 27, 4
	v_ffbh_u32_e32 v30, v27
	v_cmp_eq_u32_e32 vcc_lo, 0, v32
	v_min_u32_e32 v30, 32, v30
	v_subrev_nc_u32_e32 v31, 28, v30
	v_sub_nc_u32_e32 v30, 29, v30
	v_lshlrev_b32_sdwa v31, v31, v11 dst_sel:DWORD dst_unused:UNUSED_PAD src0_sel:DWORD src1_sel:BYTE_3
	v_cndmask_b32_e32 v30, v32, v30, vcc_lo
	v_and_b32_e32 v11, 0x80000000, v11
	v_and_b32_e32 v31, 7, v31
	v_lshl_add_u32 v30, v30, 23, 0x3b800000
	v_cndmask_b32_e32 v27, v27, v31, vcc_lo
	v_lshlrev_b32_e32 v27, 20, v27
	v_or3_b32 v27, v11, v30, v27
.LBB6_3087:                             ;   in Loop: Header=BB6_2703 Depth=2
	s_or_b32 exec_lo, exec_lo, s41
	v_add_f32_e32 v27, v29, v27
	v_and_b32_e32 v11, 0x7f800000, v27
	v_cmp_ne_u32_e32 vcc_lo, 0x7f800000, v11
	v_mov_b32_e32 v11, 0x8000
	s_and_saveexec_b32 s41, vcc_lo
	s_cbranch_execz .LBB6_3095
; %bb.3088:                             ;   in Loop: Header=BB6_2703 Depth=2
	v_mov_b32_e32 v11, 0
	s_mov_b32 s42, exec_lo
	v_cmpx_ne_u32_e32 0, v27
	s_cbranch_execz .LBB6_3094
; %bb.3089:                             ;   in Loop: Header=BB6_2703 Depth=2
	v_bfe_u32 v11, v27, 23, 8
	v_and_b32_e32 v29, 0x7fffff, v27
	v_sub_nc_u32_e32 v30, 0x78, v11
	v_cmp_gt_u32_e32 vcc_lo, 0x79, v11
	v_or_b32_e32 v31, 0x800000, v29
	v_cndmask_b32_e32 v30, 0, v30, vcc_lo
	v_cmp_eq_u32_e32 vcc_lo, 0, v11
	v_add_nc_u32_e32 v11, 0xffffff89, v11
	v_cndmask_b32_e64 v30, v30, 0x77, vcc_lo
	v_cndmask_b32_e32 v29, v31, v29, vcc_lo
	v_cndmask_b32_e64 v11, v11, 0xffffff8a, vcc_lo
	v_lshl_add_u32 v31, 0x100000, v30, -1
	v_lshrrev_b32_e32 v32, v30, v29
	v_lshlrev_b32_e64 v34, v30, 0x80000
	v_add_nc_u32_e32 v30, v30, v11
	v_and_b32_e32 v29, v31, v29
	v_bfe_u32 v33, v32, 20, 1
	v_cmp_eq_u32_e64 s14, v29, v34
	v_add_nc_u32_e32 v31, -1, v33
	v_cndmask_b32_e64 v29, 0, v31, s14
	v_lshrrev_b32_e32 v31, 23, v32
	s_mov_b32 s14, exec_lo
	v_add_nc_u32_e32 v29, v29, v32
	v_xor_b32_e32 v31, 1, v31
	v_and_b32_e32 v11, 0xfffff, v29
	v_add_nc_u32_e32 v29, v11, v32
                                        ; implicit-def: $vgpr11
	v_cmpx_ne_u32_e64 v30, v31
	s_xor_b32 s14, exec_lo, s14
; %bb.3090:                             ;   in Loop: Header=BB6_2703 Depth=2
	v_cmp_lt_u32_e32 vcc_lo, 0xffffff, v29
	v_sub_nc_u32_e32 v11, v30, v31
	v_cndmask_b32_e64 v30, 0, 1, vcc_lo
	v_add_co_ci_u32_e64 v11, null, 0, v11, vcc_lo
	v_lshrrev_b32_e32 v29, v30, v29
; %bb.3091:                             ;   in Loop: Header=BB6_2703 Depth=2
	s_andn2_saveexec_b32 s14, s14
; %bb.3092:                             ;   in Loop: Header=BB6_2703 Depth=2
	v_bfe_u32 v11, v29, 23, 1
; %bb.3093:                             ;   in Loop: Header=BB6_2703 Depth=2
	s_or_b32 exec_lo, exec_lo, s14
	v_lshrrev_b32_e32 v29, 20, v29
	v_min_i32_e32 v30, 15, v11
	v_cmp_gt_i32_e32 vcc_lo, 16, v11
	v_and_b32_sdwa v27, v27, v114 dst_sel:DWORD dst_unused:UNUSED_PAD src0_sel:BYTE_3 src1_sel:DWORD
	v_lshlrev_b32_e32 v30, 3, v30
	v_cndmask_b32_e32 v29, 7, v29, vcc_lo
	v_and_b32_e32 v30, 0xf8, v30
	v_and_b32_e32 v31, 7, v29
	v_or_b32_e32 v11, v11, v29
	v_or3_b32 v27, v27, v30, v31
	v_cmp_ne_u32_e32 vcc_lo, 0, v11
	v_lshlrev_b32_e32 v27, 8, v27
	v_cndmask_b32_e32 v11, 0, v27, vcc_lo
.LBB6_3094:                             ;   in Loop: Header=BB6_2703 Depth=2
	s_or_b32 exec_lo, exec_lo, s42
.LBB6_3095:                             ;   in Loop: Header=BB6_2703 Depth=2
	s_or_b32 exec_lo, exec_lo, s41
	v_or_b32_e32 v27, v25, v21
	s_mov_b32 s14, 0
	v_cmp_gt_i16_sdwa s41, v27, v113 src0_sel:BYTE_0 src1_sel:DWORD
	s_and_saveexec_b32 s42, s41
	s_xor_b32 s41, exec_lo, s42
	s_cbranch_execz .LBB6_3317
; %bb.3096:                             ;   in Loop: Header=BB6_2703 Depth=2
	v_cmp_eq_u16_sdwa s43, v27, v114 src0_sel:BYTE_0 src1_sel:DWORD
	s_mov_b32 s14, -1
	s_and_saveexec_b32 s42, s43
; %bb.3097:                             ;   in Loop: Header=BB6_2703 Depth=2
	s_xor_b32 s14, exec_lo, -1
; %bb.3098:                             ;   in Loop: Header=BB6_2703 Depth=2
	s_or_b32 exec_lo, exec_lo, s42
	s_and_b32 s14, s14, exec_lo
	s_or_saveexec_b32 s41, s41
	v_mov_b32_e32 v21, 0x7f800001
	s_xor_b32 exec_lo, exec_lo, s41
	s_cbranch_execnz .LBB6_3318
.LBB6_3099:                             ;   in Loop: Header=BB6_2703 Depth=2
	s_or_b32 exec_lo, exec_lo, s41
	s_and_saveexec_b32 s41, s14
	s_cbranch_execz .LBB6_3101
.LBB6_3100:                             ;   in Loop: Header=BB6_2703 Depth=2
	v_and_b32_e32 v21, 7, v27
	v_bfe_u32 v30, v27, 3, 4
	v_lshlrev_b32_e32 v31, 24, v27
	v_ffbh_u32_e32 v25, v21
	v_cmp_eq_u32_e32 vcc_lo, 0, v30
	v_min_u32_e32 v25, 32, v25
	v_subrev_nc_u32_e32 v29, 28, v25
	v_sub_nc_u32_e32 v25, 29, v25
	v_lshlrev_b32_e32 v29, v29, v27
	v_cndmask_b32_e32 v25, v30, v25, vcc_lo
	v_and_b32_e32 v29, 7, v29
	v_lshl_add_u32 v25, v25, 23, 0x3b800000
	v_cndmask_b32_e32 v21, v21, v29, vcc_lo
	v_and_b32_e32 v29, 0x80000000, v31
	v_lshlrev_b32_e32 v21, 20, v21
	v_or3_b32 v21, v29, v25, v21
.LBB6_3101:                             ;   in Loop: Header=BB6_2703 Depth=2
	s_or_b32 exec_lo, exec_lo, s41
	v_cmp_gt_i16_sdwa s41, v12, v113 src0_sel:BYTE_0 src1_sel:DWORD
	s_mov_b32 s14, 0
	s_and_saveexec_b32 s42, s41
	s_xor_b32 s41, exec_lo, s42
	s_cbranch_execz .LBB6_3319
; %bb.3102:                             ;   in Loop: Header=BB6_2703 Depth=2
	v_cmp_eq_u16_sdwa s43, v12, v114 src0_sel:BYTE_0 src1_sel:DWORD
	s_mov_b32 s14, -1
	s_and_saveexec_b32 s42, s43
; %bb.3103:                             ;   in Loop: Header=BB6_2703 Depth=2
	s_xor_b32 s14, exec_lo, -1
; %bb.3104:                             ;   in Loop: Header=BB6_2703 Depth=2
	s_or_b32 exec_lo, exec_lo, s42
	s_and_b32 s14, s14, exec_lo
	s_or_saveexec_b32 s41, s41
	v_mov_b32_e32 v25, 0x7f800001
	s_xor_b32 exec_lo, exec_lo, s41
	s_cbranch_execnz .LBB6_3320
.LBB6_3105:                             ;   in Loop: Header=BB6_2703 Depth=2
	s_or_b32 exec_lo, exec_lo, s41
	s_and_saveexec_b32 s41, s14
	s_cbranch_execz .LBB6_3107
.LBB6_3106:                             ;   in Loop: Header=BB6_2703 Depth=2
	v_and_b32_e32 v25, 7, v12
	v_bfe_u32 v31, v12, 3, 4
	v_lshlrev_b32_e32 v32, 24, v12
	v_ffbh_u32_e32 v29, v25
	v_cmp_eq_u32_e32 vcc_lo, 0, v31
	v_min_u32_e32 v29, 32, v29
	v_subrev_nc_u32_e32 v30, 28, v29
	v_sub_nc_u32_e32 v29, 29, v29
	v_lshlrev_b32_e32 v30, v30, v12
	v_cndmask_b32_e32 v29, v31, v29, vcc_lo
	v_and_b32_e32 v30, 7, v30
	v_lshl_add_u32 v29, v29, 23, 0x3b800000
	v_cndmask_b32_e32 v25, v25, v30, vcc_lo
	v_and_b32_e32 v30, 0x80000000, v32
	v_lshlrev_b32_e32 v25, 20, v25
	v_or3_b32 v25, v30, v29, v25
.LBB6_3107:                             ;   in Loop: Header=BB6_2703 Depth=2
	s_or_b32 exec_lo, exec_lo, s41
	v_add_f32_e32 v25, v21, v25
	v_and_b32_e32 v21, 0x7f800000, v25
	v_cmp_ne_u32_e32 vcc_lo, 0x7f800000, v21
	v_mov_b32_e32 v21, 0x80
	s_and_saveexec_b32 s41, vcc_lo
	s_cbranch_execz .LBB6_3115
; %bb.3108:                             ;   in Loop: Header=BB6_2703 Depth=2
	v_mov_b32_e32 v21, 0
	s_mov_b32 s42, exec_lo
	v_cmpx_ne_u32_e32 0, v25
	s_cbranch_execz .LBB6_3114
; %bb.3109:                             ;   in Loop: Header=BB6_2703 Depth=2
	v_bfe_u32 v21, v25, 23, 8
	v_and_b32_e32 v29, 0x7fffff, v25
	v_sub_nc_u32_e32 v30, 0x78, v21
	v_cmp_gt_u32_e32 vcc_lo, 0x79, v21
	v_or_b32_e32 v31, 0x800000, v29
	v_cndmask_b32_e32 v30, 0, v30, vcc_lo
	v_cmp_eq_u32_e32 vcc_lo, 0, v21
	v_add_nc_u32_e32 v21, 0xffffff89, v21
	v_cndmask_b32_e64 v30, v30, 0x77, vcc_lo
	v_cndmask_b32_e32 v29, v31, v29, vcc_lo
	v_cndmask_b32_e64 v21, v21, 0xffffff8a, vcc_lo
	v_lshl_add_u32 v31, 0x100000, v30, -1
	v_lshrrev_b32_e32 v32, v30, v29
	v_lshlrev_b32_e64 v34, v30, 0x80000
	v_add_nc_u32_e32 v30, v30, v21
	v_and_b32_e32 v29, v31, v29
	v_bfe_u32 v33, v32, 20, 1
	v_cmp_eq_u32_e64 s14, v29, v34
	v_add_nc_u32_e32 v31, -1, v33
	v_cndmask_b32_e64 v29, 0, v31, s14
	v_lshrrev_b32_e32 v31, 23, v32
	s_mov_b32 s14, exec_lo
	v_add_nc_u32_e32 v29, v29, v32
	v_xor_b32_e32 v31, 1, v31
	v_and_b32_e32 v21, 0xfffff, v29
	v_add_nc_u32_e32 v29, v21, v32
                                        ; implicit-def: $vgpr21
	v_cmpx_ne_u32_e64 v30, v31
	s_xor_b32 s14, exec_lo, s14
; %bb.3110:                             ;   in Loop: Header=BB6_2703 Depth=2
	v_cmp_lt_u32_e32 vcc_lo, 0xffffff, v29
	v_sub_nc_u32_e32 v21, v30, v31
	v_cndmask_b32_e64 v30, 0, 1, vcc_lo
	v_add_co_ci_u32_e64 v21, null, 0, v21, vcc_lo
	v_lshrrev_b32_e32 v29, v30, v29
; %bb.3111:                             ;   in Loop: Header=BB6_2703 Depth=2
	s_andn2_saveexec_b32 s14, s14
; %bb.3112:                             ;   in Loop: Header=BB6_2703 Depth=2
	v_bfe_u32 v21, v29, 23, 1
; %bb.3113:                             ;   in Loop: Header=BB6_2703 Depth=2
	s_or_b32 exec_lo, exec_lo, s14
	v_lshrrev_b32_e32 v29, 20, v29
	v_min_i32_e32 v30, 15, v21
	v_cmp_gt_i32_e32 vcc_lo, 16, v21
	v_and_b32_sdwa v25, v25, v114 dst_sel:DWORD dst_unused:UNUSED_PAD src0_sel:BYTE_3 src1_sel:DWORD
	v_lshlrev_b32_e32 v30, 3, v30
	v_cndmask_b32_e32 v29, 7, v29, vcc_lo
	v_and_b32_e32 v30, 0xf8, v30
	v_and_b32_e32 v31, 7, v29
	v_or_b32_e32 v21, v21, v29
	v_or3_b32 v25, v30, v25, v31
	v_cmp_ne_u32_e32 vcc_lo, 0, v21
	v_cndmask_b32_e32 v21, 0, v25, vcc_lo
.LBB6_3114:                             ;   in Loop: Header=BB6_2703 Depth=2
	s_or_b32 exec_lo, exec_lo, s42
.LBB6_3115:                             ;   in Loop: Header=BB6_2703 Depth=2
	s_or_b32 exec_lo, exec_lo, s41
	v_cmp_gt_i16_sdwa s41, v27, v113 src0_sel:BYTE_1 src1_sel:DWORD
	s_mov_b32 s14, 0
	s_and_saveexec_b32 s42, s41
	s_xor_b32 s41, exec_lo, s42
	s_cbranch_execz .LBB6_3321
; %bb.3116:                             ;   in Loop: Header=BB6_2703 Depth=2
	v_cmp_eq_u16_sdwa s43, v27, v114 src0_sel:BYTE_1 src1_sel:DWORD
	s_mov_b32 s14, -1
	s_and_saveexec_b32 s42, s43
; %bb.3117:                             ;   in Loop: Header=BB6_2703 Depth=2
	s_xor_b32 s14, exec_lo, -1
; %bb.3118:                             ;   in Loop: Header=BB6_2703 Depth=2
	s_or_b32 exec_lo, exec_lo, s42
	s_and_b32 s14, s14, exec_lo
	s_or_saveexec_b32 s41, s41
	v_mov_b32_e32 v25, 0x7f800001
	s_xor_b32 exec_lo, exec_lo, s41
	s_cbranch_execnz .LBB6_3322
.LBB6_3119:                             ;   in Loop: Header=BB6_2703 Depth=2
	s_or_b32 exec_lo, exec_lo, s41
	s_and_saveexec_b32 s41, s14
	s_cbranch_execz .LBB6_3121
.LBB6_3120:                             ;   in Loop: Header=BB6_2703 Depth=2
	v_and_b32_sdwa v25, v115, v27 dst_sel:DWORD dst_unused:UNUSED_PAD src0_sel:DWORD src1_sel:BYTE_1
	v_and_b32_e32 v29, 7, v25
	v_bfe_u32 v32, v25, 3, 4
	v_ffbh_u32_e32 v30, v29
	v_cmp_eq_u32_e32 vcc_lo, 0, v32
	v_min_u32_e32 v30, 32, v30
	v_subrev_nc_u32_e32 v31, 28, v30
	v_sub_nc_u32_e32 v30, 29, v30
	v_lshlrev_b32_e32 v25, v31, v25
	v_lshlrev_b32_sdwa v31, v116, v27 dst_sel:DWORD dst_unused:UNUSED_PAD src0_sel:DWORD src1_sel:BYTE_1
	v_cndmask_b32_e32 v30, v32, v30, vcc_lo
	v_and_b32_e32 v25, 7, v25
	v_lshl_add_u32 v30, v30, 23, 0x3b800000
	v_cndmask_b32_e32 v25, v29, v25, vcc_lo
	v_and_b32_e32 v29, 0x80000000, v31
	v_lshlrev_b32_e32 v25, 20, v25
	v_or3_b32 v25, v29, v30, v25
.LBB6_3121:                             ;   in Loop: Header=BB6_2703 Depth=2
	s_or_b32 exec_lo, exec_lo, s41
	v_cmp_gt_i16_sdwa s41, v12, v113 src0_sel:BYTE_1 src1_sel:DWORD
	s_mov_b32 s14, 0
	s_and_saveexec_b32 s42, s41
	s_xor_b32 s41, exec_lo, s42
	s_cbranch_execz .LBB6_3323
; %bb.3122:                             ;   in Loop: Header=BB6_2703 Depth=2
	v_cmp_eq_u16_sdwa s43, v12, v114 src0_sel:BYTE_1 src1_sel:DWORD
	s_mov_b32 s14, -1
	s_and_saveexec_b32 s42, s43
; %bb.3123:                             ;   in Loop: Header=BB6_2703 Depth=2
	s_xor_b32 s14, exec_lo, -1
; %bb.3124:                             ;   in Loop: Header=BB6_2703 Depth=2
	s_or_b32 exec_lo, exec_lo, s42
	s_and_b32 s14, s14, exec_lo
	s_or_saveexec_b32 s41, s41
	v_mov_b32_e32 v29, 0x7f800001
	s_xor_b32 exec_lo, exec_lo, s41
	s_cbranch_execnz .LBB6_3324
.LBB6_3125:                             ;   in Loop: Header=BB6_2703 Depth=2
	s_or_b32 exec_lo, exec_lo, s41
	s_and_saveexec_b32 s41, s14
	s_cbranch_execz .LBB6_3127
.LBB6_3126:                             ;   in Loop: Header=BB6_2703 Depth=2
	v_and_b32_sdwa v29, v115, v12 dst_sel:DWORD dst_unused:UNUSED_PAD src0_sel:DWORD src1_sel:BYTE_1
	v_and_b32_e32 v30, 7, v29
	v_bfe_u32 v33, v29, 3, 4
	v_ffbh_u32_e32 v31, v30
	v_cmp_eq_u32_e32 vcc_lo, 0, v33
	v_min_u32_e32 v31, 32, v31
	v_subrev_nc_u32_e32 v32, 28, v31
	v_sub_nc_u32_e32 v31, 29, v31
	v_lshlrev_b32_e32 v29, v32, v29
	v_lshlrev_b32_sdwa v32, v116, v12 dst_sel:DWORD dst_unused:UNUSED_PAD src0_sel:DWORD src1_sel:BYTE_1
	v_cndmask_b32_e32 v31, v33, v31, vcc_lo
	v_and_b32_e32 v29, 7, v29
	v_lshl_add_u32 v31, v31, 23, 0x3b800000
	v_cndmask_b32_e32 v29, v30, v29, vcc_lo
	v_and_b32_e32 v30, 0x80000000, v32
	v_lshlrev_b32_e32 v29, 20, v29
	v_or3_b32 v29, v30, v31, v29
.LBB6_3127:                             ;   in Loop: Header=BB6_2703 Depth=2
	s_or_b32 exec_lo, exec_lo, s41
	v_add_f32_e32 v29, v25, v29
	v_and_b32_e32 v25, 0x7f800000, v29
	v_cmp_ne_u32_e32 vcc_lo, 0x7f800000, v25
	v_mov_b32_e32 v25, 0x8000
	s_and_saveexec_b32 s41, vcc_lo
	s_cbranch_execz .LBB6_3135
; %bb.3128:                             ;   in Loop: Header=BB6_2703 Depth=2
	v_mov_b32_e32 v25, 0
	s_mov_b32 s42, exec_lo
	v_cmpx_ne_u32_e32 0, v29
	s_cbranch_execz .LBB6_3134
; %bb.3129:                             ;   in Loop: Header=BB6_2703 Depth=2
	v_bfe_u32 v25, v29, 23, 8
	v_and_b32_e32 v30, 0x7fffff, v29
	v_sub_nc_u32_e32 v31, 0x78, v25
	v_cmp_gt_u32_e32 vcc_lo, 0x79, v25
	v_or_b32_e32 v32, 0x800000, v30
	v_cndmask_b32_e32 v31, 0, v31, vcc_lo
	v_cmp_eq_u32_e32 vcc_lo, 0, v25
	v_add_nc_u32_e32 v25, 0xffffff89, v25
	v_cndmask_b32_e64 v31, v31, 0x77, vcc_lo
	v_cndmask_b32_e32 v30, v32, v30, vcc_lo
	v_cndmask_b32_e64 v25, v25, 0xffffff8a, vcc_lo
	v_lshl_add_u32 v32, 0x100000, v31, -1
	v_lshrrev_b32_e32 v33, v31, v30
	v_lshlrev_b32_e64 v35, v31, 0x80000
	v_add_nc_u32_e32 v31, v31, v25
	v_and_b32_e32 v30, v32, v30
	v_bfe_u32 v34, v33, 20, 1
	v_cmp_eq_u32_e64 s14, v30, v35
	v_add_nc_u32_e32 v32, -1, v34
	v_cndmask_b32_e64 v30, 0, v32, s14
	v_lshrrev_b32_e32 v32, 23, v33
	s_mov_b32 s14, exec_lo
	v_add_nc_u32_e32 v30, v30, v33
	v_xor_b32_e32 v32, 1, v32
	v_and_b32_e32 v25, 0xfffff, v30
	v_add_nc_u32_e32 v30, v25, v33
                                        ; implicit-def: $vgpr25
	v_cmpx_ne_u32_e64 v31, v32
	s_xor_b32 s14, exec_lo, s14
; %bb.3130:                             ;   in Loop: Header=BB6_2703 Depth=2
	v_cmp_lt_u32_e32 vcc_lo, 0xffffff, v30
	v_sub_nc_u32_e32 v25, v31, v32
	v_cndmask_b32_e64 v31, 0, 1, vcc_lo
	v_add_co_ci_u32_e64 v25, null, 0, v25, vcc_lo
	v_lshrrev_b32_e32 v30, v31, v30
; %bb.3131:                             ;   in Loop: Header=BB6_2703 Depth=2
	s_andn2_saveexec_b32 s14, s14
; %bb.3132:                             ;   in Loop: Header=BB6_2703 Depth=2
	v_bfe_u32 v25, v30, 23, 1
; %bb.3133:                             ;   in Loop: Header=BB6_2703 Depth=2
	s_or_b32 exec_lo, exec_lo, s14
	v_lshrrev_b32_e32 v30, 20, v30
	v_min_i32_e32 v31, 15, v25
	v_cmp_gt_i32_e32 vcc_lo, 16, v25
	v_and_b32_sdwa v29, v29, v114 dst_sel:DWORD dst_unused:UNUSED_PAD src0_sel:BYTE_3 src1_sel:DWORD
	v_lshlrev_b32_e32 v31, 3, v31
	v_cndmask_b32_e32 v30, 7, v30, vcc_lo
	v_and_b32_e32 v31, 0xf8, v31
	v_and_b32_e32 v32, 7, v30
	v_or_b32_e32 v25, v25, v30
	v_or3_b32 v29, v29, v31, v32
	v_cmp_ne_u32_e32 vcc_lo, 0, v25
	v_lshlrev_b32_e32 v29, 8, v29
	v_cndmask_b32_e32 v25, 0, v29, vcc_lo
.LBB6_3134:                             ;   in Loop: Header=BB6_2703 Depth=2
	s_or_b32 exec_lo, exec_lo, s42
.LBB6_3135:                             ;   in Loop: Header=BB6_2703 Depth=2
	s_or_b32 exec_lo, exec_lo, s41
	v_or_b32_e32 v23, v23, v9
	s_mov_b32 s14, 0
	v_cmp_gt_i16_sdwa s41, v23, v113 src0_sel:BYTE_0 src1_sel:DWORD
	s_and_saveexec_b32 s42, s41
	s_xor_b32 s41, exec_lo, s42
	s_cbranch_execz .LBB6_3325
; %bb.3136:                             ;   in Loop: Header=BB6_2703 Depth=2
	v_cmp_eq_u16_sdwa s43, v23, v114 src0_sel:BYTE_0 src1_sel:DWORD
	s_mov_b32 s14, -1
	s_and_saveexec_b32 s42, s43
; %bb.3137:                             ;   in Loop: Header=BB6_2703 Depth=2
	s_xor_b32 s14, exec_lo, -1
; %bb.3138:                             ;   in Loop: Header=BB6_2703 Depth=2
	s_or_b32 exec_lo, exec_lo, s42
	s_and_b32 s14, s14, exec_lo
	s_or_saveexec_b32 s41, s41
	v_mov_b32_e32 v9, 0x7f800001
	s_xor_b32 exec_lo, exec_lo, s41
	s_cbranch_execnz .LBB6_3326
.LBB6_3139:                             ;   in Loop: Header=BB6_2703 Depth=2
	s_or_b32 exec_lo, exec_lo, s41
	v_lshl_or_b32 v23, v23, 16, v27
	s_and_saveexec_b32 s41, s14
	s_cbranch_execz .LBB6_3141
.LBB6_3140:                             ;   in Loop: Header=BB6_2703 Depth=2
	v_bfe_u32 v9, v23, 16, 3
	v_bfe_u32 v30, v23, 19, 4
	v_lshlrev_b32_e32 v31, 8, v23
	v_ffbh_u32_e32 v27, v9
	v_cmp_eq_u32_e32 vcc_lo, 0, v30
	v_min_u32_e32 v27, 32, v27
	v_subrev_nc_u32_e32 v29, 28, v27
	v_sub_nc_u32_e32 v27, 29, v27
	v_lshlrev_b32_sdwa v29, v29, v23 dst_sel:DWORD dst_unused:UNUSED_PAD src0_sel:DWORD src1_sel:WORD_1
	v_cndmask_b32_e32 v27, v30, v27, vcc_lo
	v_and_b32_e32 v29, 7, v29
	v_lshl_add_u32 v27, v27, 23, 0x3b800000
	v_cndmask_b32_e32 v9, v9, v29, vcc_lo
	v_and_b32_e32 v29, 0x80000000, v31
	v_lshlrev_b32_e32 v9, 20, v9
	v_or3_b32 v9, v29, v27, v9
.LBB6_3141:                             ;   in Loop: Header=BB6_2703 Depth=2
	s_or_b32 exec_lo, exec_lo, s41
	v_and_b32_sdwa v29, v12, v117 dst_sel:DWORD dst_unused:UNUSED_PAD src0_sel:WORD_1 src1_sel:DWORD
	s_mov_b32 s14, 0
	s_mov_b32 s41, exec_lo
	v_cmpx_lt_i16_e32 0x7f, v29
	s_xor_b32 s41, exec_lo, s41
	s_cbranch_execz .LBB6_3327
; %bb.3142:                             ;   in Loop: Header=BB6_2703 Depth=2
	s_mov_b32 s14, -1
	s_mov_b32 s42, exec_lo
	v_cmpx_eq_u16_e32 0x80, v29
; %bb.3143:                             ;   in Loop: Header=BB6_2703 Depth=2
	s_xor_b32 s14, exec_lo, -1
; %bb.3144:                             ;   in Loop: Header=BB6_2703 Depth=2
	s_or_b32 exec_lo, exec_lo, s42
	s_and_b32 s14, s14, exec_lo
                                        ; implicit-def: $vgpr29
	s_or_saveexec_b32 s41, s41
	v_mov_b32_e32 v27, 0x7f800001
	s_xor_b32 exec_lo, exec_lo, s41
	s_cbranch_execnz .LBB6_3328
.LBB6_3145:                             ;   in Loop: Header=BB6_2703 Depth=2
	s_or_b32 exec_lo, exec_lo, s41
	s_and_saveexec_b32 s41, s14
	s_cbranch_execz .LBB6_3147
.LBB6_3146:                             ;   in Loop: Header=BB6_2703 Depth=2
	v_and_b32_sdwa v27, v12, v118 dst_sel:DWORD dst_unused:UNUSED_PAD src0_sel:WORD_1 src1_sel:DWORD
	v_bfe_u32 v31, v12, 19, 4
	v_lshlrev_b32_sdwa v32, v116, v12 dst_sel:DWORD dst_unused:UNUSED_PAD src0_sel:DWORD src1_sel:WORD_1
	v_ffbh_u32_e32 v29, v27
	v_cmp_eq_u32_e32 vcc_lo, 0, v31
	v_min_u32_e32 v29, 32, v29
	v_subrev_nc_u32_e32 v30, 28, v29
	v_sub_nc_u32_e32 v29, 29, v29
	v_lshlrev_b32_sdwa v30, v30, v12 dst_sel:DWORD dst_unused:UNUSED_PAD src0_sel:DWORD src1_sel:WORD_1
	v_cndmask_b32_e32 v29, v31, v29, vcc_lo
	v_and_b32_e32 v30, 7, v30
	v_lshl_add_u32 v29, v29, 23, 0x3b800000
	v_cndmask_b32_e32 v27, v27, v30, vcc_lo
	v_and_b32_e32 v30, 0x80000000, v32
	v_lshlrev_b32_e32 v27, 20, v27
	v_or3_b32 v27, v30, v29, v27
.LBB6_3147:                             ;   in Loop: Header=BB6_2703 Depth=2
	s_or_b32 exec_lo, exec_lo, s41
	v_add_f32_e32 v27, v9, v27
	v_and_b32_e32 v9, 0x7f800000, v27
	v_cmp_ne_u32_e32 vcc_lo, 0x7f800000, v9
	v_mov_b32_e32 v9, 0x80
	s_and_saveexec_b32 s41, vcc_lo
	s_cbranch_execz .LBB6_3155
; %bb.3148:                             ;   in Loop: Header=BB6_2703 Depth=2
	v_mov_b32_e32 v9, 0
	s_mov_b32 s42, exec_lo
	v_cmpx_ne_u32_e32 0, v27
	s_cbranch_execz .LBB6_3154
; %bb.3149:                             ;   in Loop: Header=BB6_2703 Depth=2
	v_bfe_u32 v9, v27, 23, 8
	v_and_b32_e32 v29, 0x7fffff, v27
	v_sub_nc_u32_e32 v30, 0x78, v9
	v_cmp_gt_u32_e32 vcc_lo, 0x79, v9
	v_or_b32_e32 v31, 0x800000, v29
	v_cndmask_b32_e32 v30, 0, v30, vcc_lo
	v_cmp_eq_u32_e32 vcc_lo, 0, v9
	v_add_nc_u32_e32 v9, 0xffffff89, v9
	v_cndmask_b32_e64 v30, v30, 0x77, vcc_lo
	v_cndmask_b32_e32 v29, v31, v29, vcc_lo
	v_cndmask_b32_e64 v9, v9, 0xffffff8a, vcc_lo
	v_lshl_add_u32 v31, 0x100000, v30, -1
	v_lshrrev_b32_e32 v32, v30, v29
	v_lshlrev_b32_e64 v34, v30, 0x80000
	v_add_nc_u32_e32 v30, v30, v9
	v_and_b32_e32 v29, v31, v29
	v_bfe_u32 v33, v32, 20, 1
	v_cmp_eq_u32_e64 s14, v29, v34
	v_add_nc_u32_e32 v31, -1, v33
	v_cndmask_b32_e64 v29, 0, v31, s14
	v_lshrrev_b32_e32 v31, 23, v32
	s_mov_b32 s14, exec_lo
	v_add_nc_u32_e32 v29, v29, v32
	v_xor_b32_e32 v31, 1, v31
	v_and_b32_e32 v9, 0xfffff, v29
	v_add_nc_u32_e32 v29, v9, v32
                                        ; implicit-def: $vgpr9
	v_cmpx_ne_u32_e64 v30, v31
	s_xor_b32 s14, exec_lo, s14
; %bb.3150:                             ;   in Loop: Header=BB6_2703 Depth=2
	v_cmp_lt_u32_e32 vcc_lo, 0xffffff, v29
	v_sub_nc_u32_e32 v9, v30, v31
	v_cndmask_b32_e64 v30, 0, 1, vcc_lo
	v_add_co_ci_u32_e64 v9, null, 0, v9, vcc_lo
	v_lshrrev_b32_e32 v29, v30, v29
; %bb.3151:                             ;   in Loop: Header=BB6_2703 Depth=2
	s_andn2_saveexec_b32 s14, s14
; %bb.3152:                             ;   in Loop: Header=BB6_2703 Depth=2
	v_bfe_u32 v9, v29, 23, 1
; %bb.3153:                             ;   in Loop: Header=BB6_2703 Depth=2
	s_or_b32 exec_lo, exec_lo, s14
	v_lshrrev_b32_e32 v29, 20, v29
	v_min_i32_e32 v30, 15, v9
	v_cmp_gt_i32_e32 vcc_lo, 16, v9
	v_and_b32_sdwa v27, v27, v114 dst_sel:DWORD dst_unused:UNUSED_PAD src0_sel:BYTE_3 src1_sel:DWORD
	v_lshlrev_b32_e32 v30, 3, v30
	v_cndmask_b32_e32 v29, 7, v29, vcc_lo
	v_and_b32_e32 v30, 0xf8, v30
	v_and_b32_e32 v31, 7, v29
	v_or_b32_e32 v9, v9, v29
	v_or3_b32 v27, v30, v27, v31
	v_cmp_ne_u32_e32 vcc_lo, 0, v9
	v_cndmask_b32_e32 v9, 0, v27, vcc_lo
.LBB6_3154:                             ;   in Loop: Header=BB6_2703 Depth=2
	s_or_b32 exec_lo, exec_lo, s42
.LBB6_3155:                             ;   in Loop: Header=BB6_2703 Depth=2
	s_or_b32 exec_lo, exec_lo, s41
	v_cmp_gt_i16_sdwa s41, v23, v113 src0_sel:BYTE_3 src1_sel:DWORD
	s_mov_b32 s14, 0
	s_and_saveexec_b32 s42, s41
	s_xor_b32 s41, exec_lo, s42
	s_cbranch_execz .LBB6_3329
; %bb.3156:                             ;   in Loop: Header=BB6_2703 Depth=2
	v_cmp_eq_u16_sdwa s43, v23, v114 src0_sel:BYTE_3 src1_sel:DWORD
	s_mov_b32 s14, -1
	s_and_saveexec_b32 s42, s43
; %bb.3157:                             ;   in Loop: Header=BB6_2703 Depth=2
	s_xor_b32 s14, exec_lo, -1
; %bb.3158:                             ;   in Loop: Header=BB6_2703 Depth=2
	s_or_b32 exec_lo, exec_lo, s42
	s_and_b32 s14, s14, exec_lo
	s_or_saveexec_b32 s41, s41
	v_mov_b32_e32 v27, 0x7f800001
	s_xor_b32 exec_lo, exec_lo, s41
	s_cbranch_execnz .LBB6_3330
.LBB6_3159:                             ;   in Loop: Header=BB6_2703 Depth=2
	s_or_b32 exec_lo, exec_lo, s41
	s_and_saveexec_b32 s41, s14
	s_cbranch_execz .LBB6_3161
.LBB6_3160:                             ;   in Loop: Header=BB6_2703 Depth=2
	v_bfe_u32 v27, v23, 24, 3
	v_bfe_u32 v31, v23, 27, 4
	v_ffbh_u32_e32 v29, v27
	v_cmp_eq_u32_e32 vcc_lo, 0, v31
	v_min_u32_e32 v29, 32, v29
	v_subrev_nc_u32_e32 v30, 28, v29
	v_sub_nc_u32_e32 v29, 29, v29
	v_lshlrev_b32_sdwa v30, v30, v23 dst_sel:DWORD dst_unused:UNUSED_PAD src0_sel:DWORD src1_sel:BYTE_3
	v_cndmask_b32_e32 v29, v31, v29, vcc_lo
	v_and_b32_e32 v23, 0x80000000, v23
	v_and_b32_e32 v30, 7, v30
	v_lshl_add_u32 v29, v29, 23, 0x3b800000
	v_cndmask_b32_e32 v27, v27, v30, vcc_lo
	v_lshlrev_b32_e32 v27, 20, v27
	v_or3_b32 v27, v23, v29, v27
.LBB6_3161:                             ;   in Loop: Header=BB6_2703 Depth=2
	s_or_b32 exec_lo, exec_lo, s41
	v_cmp_gt_i16_sdwa s41, v12, v113 src0_sel:BYTE_3 src1_sel:DWORD
	s_mov_b32 s14, 0
	s_and_saveexec_b32 s42, s41
	s_xor_b32 s41, exec_lo, s42
	s_cbranch_execz .LBB6_3331
; %bb.3162:                             ;   in Loop: Header=BB6_2703 Depth=2
	v_cmp_eq_u16_sdwa s43, v12, v114 src0_sel:BYTE_3 src1_sel:DWORD
	s_mov_b32 s14, -1
	s_and_saveexec_b32 s42, s43
; %bb.3163:                             ;   in Loop: Header=BB6_2703 Depth=2
	s_xor_b32 s14, exec_lo, -1
; %bb.3164:                             ;   in Loop: Header=BB6_2703 Depth=2
	s_or_b32 exec_lo, exec_lo, s42
	s_and_b32 s14, s14, exec_lo
	s_or_saveexec_b32 s41, s41
	v_mov_b32_e32 v23, 0x7f800001
	s_xor_b32 exec_lo, exec_lo, s41
	s_cbranch_execnz .LBB6_3332
.LBB6_3165:                             ;   in Loop: Header=BB6_2703 Depth=2
	s_or_b32 exec_lo, exec_lo, s41
	s_and_saveexec_b32 s41, s14
	s_cbranch_execz .LBB6_3167
.LBB6_3166:                             ;   in Loop: Header=BB6_2703 Depth=2
	v_and_b32_sdwa v23, v12, v118 dst_sel:DWORD dst_unused:UNUSED_PAD src0_sel:BYTE_3 src1_sel:DWORD
	v_bfe_u32 v31, v12, 27, 4
	v_ffbh_u32_e32 v29, v23
	v_cmp_eq_u32_e32 vcc_lo, 0, v31
	v_min_u32_e32 v29, 32, v29
	v_subrev_nc_u32_e32 v30, 28, v29
	v_sub_nc_u32_e32 v29, 29, v29
	v_lshlrev_b32_sdwa v30, v30, v12 dst_sel:DWORD dst_unused:UNUSED_PAD src0_sel:DWORD src1_sel:BYTE_3
	v_cndmask_b32_e32 v29, v31, v29, vcc_lo
	v_and_b32_e32 v12, 0x80000000, v12
	v_and_b32_e32 v30, 7, v30
	v_lshl_add_u32 v29, v29, 23, 0x3b800000
	v_cndmask_b32_e32 v23, v23, v30, vcc_lo
	v_lshlrev_b32_e32 v23, 20, v23
	v_or3_b32 v23, v12, v29, v23
.LBB6_3167:                             ;   in Loop: Header=BB6_2703 Depth=2
	s_or_b32 exec_lo, exec_lo, s41
	v_add_f32_e32 v23, v27, v23
	v_and_b32_e32 v12, 0x7f800000, v23
	v_cmp_ne_u32_e32 vcc_lo, 0x7f800000, v12
	v_mov_b32_e32 v12, 0x8000
	s_and_saveexec_b32 s41, vcc_lo
	s_cbranch_execz .LBB6_3175
; %bb.3168:                             ;   in Loop: Header=BB6_2703 Depth=2
	v_mov_b32_e32 v12, 0
	s_mov_b32 s42, exec_lo
	v_cmpx_ne_u32_e32 0, v23
	s_cbranch_execz .LBB6_3174
; %bb.3169:                             ;   in Loop: Header=BB6_2703 Depth=2
	v_bfe_u32 v12, v23, 23, 8
	v_and_b32_e32 v27, 0x7fffff, v23
	v_sub_nc_u32_e32 v29, 0x78, v12
	v_cmp_gt_u32_e32 vcc_lo, 0x79, v12
	v_or_b32_e32 v30, 0x800000, v27
	v_cndmask_b32_e32 v29, 0, v29, vcc_lo
	v_cmp_eq_u32_e32 vcc_lo, 0, v12
	v_add_nc_u32_e32 v12, 0xffffff89, v12
	v_cndmask_b32_e64 v29, v29, 0x77, vcc_lo
	v_cndmask_b32_e32 v27, v30, v27, vcc_lo
	v_cndmask_b32_e64 v12, v12, 0xffffff8a, vcc_lo
	v_lshl_add_u32 v30, 0x100000, v29, -1
	v_lshrrev_b32_e32 v31, v29, v27
	v_lshlrev_b32_e64 v33, v29, 0x80000
	v_add_nc_u32_e32 v29, v29, v12
	v_and_b32_e32 v27, v30, v27
	v_bfe_u32 v32, v31, 20, 1
	v_cmp_eq_u32_e64 s14, v27, v33
	v_add_nc_u32_e32 v30, -1, v32
	v_cndmask_b32_e64 v27, 0, v30, s14
	v_lshrrev_b32_e32 v30, 23, v31
	s_mov_b32 s14, exec_lo
	v_add_nc_u32_e32 v27, v27, v31
	v_xor_b32_e32 v30, 1, v30
	v_and_b32_e32 v12, 0xfffff, v27
	v_add_nc_u32_e32 v27, v12, v31
                                        ; implicit-def: $vgpr12
	v_cmpx_ne_u32_e64 v29, v30
	s_xor_b32 s14, exec_lo, s14
; %bb.3170:                             ;   in Loop: Header=BB6_2703 Depth=2
	v_cmp_lt_u32_e32 vcc_lo, 0xffffff, v27
	v_sub_nc_u32_e32 v12, v29, v30
	v_cndmask_b32_e64 v29, 0, 1, vcc_lo
	v_add_co_ci_u32_e64 v12, null, 0, v12, vcc_lo
	v_lshrrev_b32_e32 v27, v29, v27
; %bb.3171:                             ;   in Loop: Header=BB6_2703 Depth=2
	s_andn2_saveexec_b32 s14, s14
; %bb.3172:                             ;   in Loop: Header=BB6_2703 Depth=2
	v_bfe_u32 v12, v27, 23, 1
; %bb.3173:                             ;   in Loop: Header=BB6_2703 Depth=2
	s_or_b32 exec_lo, exec_lo, s14
	v_lshrrev_b32_e32 v27, 20, v27
	v_min_i32_e32 v29, 15, v12
	v_cmp_gt_i32_e32 vcc_lo, 16, v12
	v_and_b32_sdwa v23, v23, v114 dst_sel:DWORD dst_unused:UNUSED_PAD src0_sel:BYTE_3 src1_sel:DWORD
	v_lshlrev_b32_e32 v29, 3, v29
	v_cndmask_b32_e32 v27, 7, v27, vcc_lo
	v_and_b32_e32 v29, 0xf8, v29
	v_and_b32_e32 v30, 7, v27
	v_or_b32_e32 v12, v12, v27
	v_or3_b32 v23, v23, v29, v30
	v_cmp_ne_u32_e32 vcc_lo, 0, v12
	v_lshlrev_b32_e32 v23, 8, v23
	v_cndmask_b32_e32 v12, 0, v23, vcc_lo
.LBB6_3174:                             ;   in Loop: Header=BB6_2703 Depth=2
	s_or_b32 exec_lo, exec_lo, s42
.LBB6_3175:                             ;   in Loop: Header=BB6_2703 Depth=2
	s_or_b32 exec_lo, exec_lo, s41
	v_or_b32_e32 v20, v20, v6
	s_mov_b32 s14, 0
	v_cmp_gt_i16_sdwa s41, v20, v113 src0_sel:BYTE_0 src1_sel:DWORD
	s_and_saveexec_b32 s42, s41
	s_xor_b32 s41, exec_lo, s42
	s_cbranch_execz .LBB6_3333
; %bb.3176:                             ;   in Loop: Header=BB6_2703 Depth=2
	v_cmp_eq_u16_sdwa s43, v20, v114 src0_sel:BYTE_0 src1_sel:DWORD
	s_mov_b32 s14, -1
	s_and_saveexec_b32 s42, s43
; %bb.3177:                             ;   in Loop: Header=BB6_2703 Depth=2
	s_xor_b32 s14, exec_lo, -1
; %bb.3178:                             ;   in Loop: Header=BB6_2703 Depth=2
	s_or_b32 exec_lo, exec_lo, s42
	s_and_b32 s14, s14, exec_lo
	s_or_saveexec_b32 s41, s41
	v_mov_b32_e32 v6, 0x7f800001
	s_xor_b32 exec_lo, exec_lo, s41
	s_cbranch_execnz .LBB6_3334
.LBB6_3179:                             ;   in Loop: Header=BB6_2703 Depth=2
	s_or_b32 exec_lo, exec_lo, s41
	s_and_saveexec_b32 s41, s14
	s_cbranch_execz .LBB6_3181
.LBB6_3180:                             ;   in Loop: Header=BB6_2703 Depth=2
	v_and_b32_e32 v6, 7, v20
	v_bfe_u32 v29, v20, 3, 4
	v_lshlrev_b32_e32 v30, 24, v20
	v_ffbh_u32_e32 v23, v6
	v_cmp_eq_u32_e32 vcc_lo, 0, v29
	v_min_u32_e32 v23, 32, v23
	v_subrev_nc_u32_e32 v27, 28, v23
	v_sub_nc_u32_e32 v23, 29, v23
	v_lshlrev_b32_e32 v27, v27, v20
	v_cndmask_b32_e32 v23, v29, v23, vcc_lo
	v_and_b32_e32 v27, 7, v27
	v_lshl_add_u32 v23, v23, 23, 0x3b800000
	v_cndmask_b32_e32 v6, v6, v27, vcc_lo
	v_and_b32_e32 v27, 0x80000000, v30
	v_lshlrev_b32_e32 v6, 20, v6
	v_or3_b32 v6, v27, v23, v6
.LBB6_3181:                             ;   in Loop: Header=BB6_2703 Depth=2
	s_or_b32 exec_lo, exec_lo, s41
	v_cmp_gt_i16_sdwa s41, v13, v113 src0_sel:BYTE_0 src1_sel:DWORD
	s_mov_b32 s14, 0
	s_and_saveexec_b32 s42, s41
	s_xor_b32 s41, exec_lo, s42
	s_cbranch_execz .LBB6_3335
; %bb.3182:                             ;   in Loop: Header=BB6_2703 Depth=2
	v_cmp_eq_u16_sdwa s43, v13, v114 src0_sel:BYTE_0 src1_sel:DWORD
	s_mov_b32 s14, -1
	s_and_saveexec_b32 s42, s43
; %bb.3183:                             ;   in Loop: Header=BB6_2703 Depth=2
	s_xor_b32 s14, exec_lo, -1
; %bb.3184:                             ;   in Loop: Header=BB6_2703 Depth=2
	s_or_b32 exec_lo, exec_lo, s42
	s_and_b32 s14, s14, exec_lo
	s_or_saveexec_b32 s41, s41
	v_mov_b32_e32 v23, 0x7f800001
	s_xor_b32 exec_lo, exec_lo, s41
	s_cbranch_execnz .LBB6_3336
.LBB6_3185:                             ;   in Loop: Header=BB6_2703 Depth=2
	s_or_b32 exec_lo, exec_lo, s41
	s_and_saveexec_b32 s41, s14
	s_cbranch_execz .LBB6_3187
.LBB6_3186:                             ;   in Loop: Header=BB6_2703 Depth=2
	v_and_b32_e32 v23, 7, v13
	v_bfe_u32 v30, v13, 3, 4
	v_lshlrev_b32_e32 v31, 24, v13
	v_ffbh_u32_e32 v27, v23
	v_cmp_eq_u32_e32 vcc_lo, 0, v30
	v_min_u32_e32 v27, 32, v27
	v_subrev_nc_u32_e32 v29, 28, v27
	v_sub_nc_u32_e32 v27, 29, v27
	v_lshlrev_b32_e32 v29, v29, v13
	v_cndmask_b32_e32 v27, v30, v27, vcc_lo
	v_and_b32_e32 v29, 7, v29
	v_lshl_add_u32 v27, v27, 23, 0x3b800000
	v_cndmask_b32_e32 v23, v23, v29, vcc_lo
	v_and_b32_e32 v29, 0x80000000, v31
	v_lshlrev_b32_e32 v23, 20, v23
	v_or3_b32 v23, v29, v27, v23
.LBB6_3187:                             ;   in Loop: Header=BB6_2703 Depth=2
	s_or_b32 exec_lo, exec_lo, s41
	v_add_f32_e32 v23, v6, v23
	v_and_b32_e32 v6, 0x7f800000, v23
	v_cmp_ne_u32_e32 vcc_lo, 0x7f800000, v6
	v_mov_b32_e32 v6, 0x80
	s_and_saveexec_b32 s41, vcc_lo
	s_cbranch_execz .LBB6_3195
; %bb.3188:                             ;   in Loop: Header=BB6_2703 Depth=2
	v_mov_b32_e32 v6, 0
	s_mov_b32 s42, exec_lo
	v_cmpx_ne_u32_e32 0, v23
	s_cbranch_execz .LBB6_3194
; %bb.3189:                             ;   in Loop: Header=BB6_2703 Depth=2
	v_bfe_u32 v6, v23, 23, 8
	v_and_b32_e32 v27, 0x7fffff, v23
	v_sub_nc_u32_e32 v29, 0x78, v6
	v_cmp_gt_u32_e32 vcc_lo, 0x79, v6
	v_or_b32_e32 v30, 0x800000, v27
	v_cndmask_b32_e32 v29, 0, v29, vcc_lo
	v_cmp_eq_u32_e32 vcc_lo, 0, v6
	v_add_nc_u32_e32 v6, 0xffffff89, v6
	v_cndmask_b32_e64 v29, v29, 0x77, vcc_lo
	v_cndmask_b32_e32 v27, v30, v27, vcc_lo
	v_cndmask_b32_e64 v6, v6, 0xffffff8a, vcc_lo
	v_lshl_add_u32 v30, 0x100000, v29, -1
	v_lshrrev_b32_e32 v31, v29, v27
	v_lshlrev_b32_e64 v33, v29, 0x80000
	v_add_nc_u32_e32 v29, v29, v6
	v_and_b32_e32 v27, v30, v27
	v_bfe_u32 v32, v31, 20, 1
	v_cmp_eq_u32_e64 s14, v27, v33
	v_add_nc_u32_e32 v30, -1, v32
	v_cndmask_b32_e64 v27, 0, v30, s14
	v_lshrrev_b32_e32 v30, 23, v31
	s_mov_b32 s14, exec_lo
	v_add_nc_u32_e32 v27, v27, v31
	v_xor_b32_e32 v30, 1, v30
	v_and_b32_e32 v6, 0xfffff, v27
	v_add_nc_u32_e32 v27, v6, v31
                                        ; implicit-def: $vgpr6
	v_cmpx_ne_u32_e64 v29, v30
	s_xor_b32 s14, exec_lo, s14
; %bb.3190:                             ;   in Loop: Header=BB6_2703 Depth=2
	v_cmp_lt_u32_e32 vcc_lo, 0xffffff, v27
	v_sub_nc_u32_e32 v6, v29, v30
	v_cndmask_b32_e64 v29, 0, 1, vcc_lo
	v_add_co_ci_u32_e64 v6, null, 0, v6, vcc_lo
	v_lshrrev_b32_e32 v27, v29, v27
; %bb.3191:                             ;   in Loop: Header=BB6_2703 Depth=2
	s_andn2_saveexec_b32 s14, s14
; %bb.3192:                             ;   in Loop: Header=BB6_2703 Depth=2
	v_bfe_u32 v6, v27, 23, 1
; %bb.3193:                             ;   in Loop: Header=BB6_2703 Depth=2
	s_or_b32 exec_lo, exec_lo, s14
	v_lshrrev_b32_e32 v27, 20, v27
	v_min_i32_e32 v29, 15, v6
	v_cmp_gt_i32_e32 vcc_lo, 16, v6
	v_and_b32_sdwa v23, v23, v114 dst_sel:DWORD dst_unused:UNUSED_PAD src0_sel:BYTE_3 src1_sel:DWORD
	v_lshlrev_b32_e32 v29, 3, v29
	v_cndmask_b32_e32 v27, 7, v27, vcc_lo
	v_and_b32_e32 v29, 0xf8, v29
	v_and_b32_e32 v30, 7, v27
	v_or_b32_e32 v6, v6, v27
	v_or3_b32 v23, v29, v23, v30
	v_cmp_ne_u32_e32 vcc_lo, 0, v6
	v_cndmask_b32_e32 v6, 0, v23, vcc_lo
.LBB6_3194:                             ;   in Loop: Header=BB6_2703 Depth=2
	s_or_b32 exec_lo, exec_lo, s42
.LBB6_3195:                             ;   in Loop: Header=BB6_2703 Depth=2
	s_or_b32 exec_lo, exec_lo, s41
	v_cmp_gt_i16_sdwa s41, v20, v113 src0_sel:BYTE_1 src1_sel:DWORD
	s_mov_b32 s14, 0
	s_and_saveexec_b32 s42, s41
	s_xor_b32 s41, exec_lo, s42
	s_cbranch_execz .LBB6_3337
; %bb.3196:                             ;   in Loop: Header=BB6_2703 Depth=2
	v_cmp_eq_u16_sdwa s43, v20, v114 src0_sel:BYTE_1 src1_sel:DWORD
	s_mov_b32 s14, -1
	s_and_saveexec_b32 s42, s43
; %bb.3197:                             ;   in Loop: Header=BB6_2703 Depth=2
	s_xor_b32 s14, exec_lo, -1
; %bb.3198:                             ;   in Loop: Header=BB6_2703 Depth=2
	s_or_b32 exec_lo, exec_lo, s42
	s_and_b32 s14, s14, exec_lo
	s_or_saveexec_b32 s41, s41
	v_mov_b32_e32 v23, 0x7f800001
	s_xor_b32 exec_lo, exec_lo, s41
	s_cbranch_execnz .LBB6_3338
.LBB6_3199:                             ;   in Loop: Header=BB6_2703 Depth=2
	s_or_b32 exec_lo, exec_lo, s41
	s_and_saveexec_b32 s41, s14
	s_cbranch_execz .LBB6_3201
.LBB6_3200:                             ;   in Loop: Header=BB6_2703 Depth=2
	v_and_b32_sdwa v23, v115, v20 dst_sel:DWORD dst_unused:UNUSED_PAD src0_sel:DWORD src1_sel:BYTE_1
	v_and_b32_e32 v27, 7, v23
	v_bfe_u32 v31, v23, 3, 4
	v_ffbh_u32_e32 v29, v27
	v_cmp_eq_u32_e32 vcc_lo, 0, v31
	v_min_u32_e32 v29, 32, v29
	v_subrev_nc_u32_e32 v30, 28, v29
	v_sub_nc_u32_e32 v29, 29, v29
	v_lshlrev_b32_e32 v23, v30, v23
	v_lshlrev_b32_sdwa v30, v116, v20 dst_sel:DWORD dst_unused:UNUSED_PAD src0_sel:DWORD src1_sel:BYTE_1
	v_cndmask_b32_e32 v29, v31, v29, vcc_lo
	v_and_b32_e32 v23, 7, v23
	v_lshl_add_u32 v29, v29, 23, 0x3b800000
	v_cndmask_b32_e32 v23, v27, v23, vcc_lo
	v_and_b32_e32 v27, 0x80000000, v30
	v_lshlrev_b32_e32 v23, 20, v23
	v_or3_b32 v23, v27, v29, v23
.LBB6_3201:                             ;   in Loop: Header=BB6_2703 Depth=2
	s_or_b32 exec_lo, exec_lo, s41
	v_cmp_gt_i16_sdwa s41, v13, v113 src0_sel:BYTE_1 src1_sel:DWORD
	s_mov_b32 s14, 0
	s_and_saveexec_b32 s42, s41
	s_xor_b32 s41, exec_lo, s42
	s_cbranch_execz .LBB6_3339
; %bb.3202:                             ;   in Loop: Header=BB6_2703 Depth=2
	v_cmp_eq_u16_sdwa s43, v13, v114 src0_sel:BYTE_1 src1_sel:DWORD
	s_mov_b32 s14, -1
	s_and_saveexec_b32 s42, s43
; %bb.3203:                             ;   in Loop: Header=BB6_2703 Depth=2
	s_xor_b32 s14, exec_lo, -1
; %bb.3204:                             ;   in Loop: Header=BB6_2703 Depth=2
	s_or_b32 exec_lo, exec_lo, s42
	s_and_b32 s14, s14, exec_lo
	s_or_saveexec_b32 s41, s41
	v_mov_b32_e32 v27, 0x7f800001
	s_xor_b32 exec_lo, exec_lo, s41
	s_cbranch_execnz .LBB6_3340
.LBB6_3205:                             ;   in Loop: Header=BB6_2703 Depth=2
	s_or_b32 exec_lo, exec_lo, s41
	s_and_saveexec_b32 s41, s14
	s_cbranch_execz .LBB6_3207
.LBB6_3206:                             ;   in Loop: Header=BB6_2703 Depth=2
	v_and_b32_sdwa v27, v115, v13 dst_sel:DWORD dst_unused:UNUSED_PAD src0_sel:DWORD src1_sel:BYTE_1
	v_and_b32_e32 v29, 7, v27
	v_bfe_u32 v32, v27, 3, 4
	v_ffbh_u32_e32 v30, v29
	v_cmp_eq_u32_e32 vcc_lo, 0, v32
	v_min_u32_e32 v30, 32, v30
	v_subrev_nc_u32_e32 v31, 28, v30
	v_sub_nc_u32_e32 v30, 29, v30
	v_lshlrev_b32_e32 v27, v31, v27
	v_lshlrev_b32_sdwa v31, v116, v13 dst_sel:DWORD dst_unused:UNUSED_PAD src0_sel:DWORD src1_sel:BYTE_1
	v_cndmask_b32_e32 v30, v32, v30, vcc_lo
	v_and_b32_e32 v27, 7, v27
	v_lshl_add_u32 v30, v30, 23, 0x3b800000
	v_cndmask_b32_e32 v27, v29, v27, vcc_lo
	v_and_b32_e32 v29, 0x80000000, v31
	v_lshlrev_b32_e32 v27, 20, v27
	v_or3_b32 v27, v29, v30, v27
.LBB6_3207:                             ;   in Loop: Header=BB6_2703 Depth=2
	s_or_b32 exec_lo, exec_lo, s41
	v_add_f32_e32 v27, v23, v27
	v_and_b32_e32 v23, 0x7f800000, v27
	v_cmp_ne_u32_e32 vcc_lo, 0x7f800000, v23
	v_mov_b32_e32 v23, 0x8000
	s_and_saveexec_b32 s41, vcc_lo
	s_cbranch_execz .LBB6_3215
; %bb.3208:                             ;   in Loop: Header=BB6_2703 Depth=2
	v_mov_b32_e32 v23, 0
	s_mov_b32 s42, exec_lo
	v_cmpx_ne_u32_e32 0, v27
	s_cbranch_execz .LBB6_3214
; %bb.3209:                             ;   in Loop: Header=BB6_2703 Depth=2
	v_bfe_u32 v23, v27, 23, 8
	v_and_b32_e32 v29, 0x7fffff, v27
	v_sub_nc_u32_e32 v30, 0x78, v23
	v_cmp_gt_u32_e32 vcc_lo, 0x79, v23
	v_or_b32_e32 v31, 0x800000, v29
	v_cndmask_b32_e32 v30, 0, v30, vcc_lo
	v_cmp_eq_u32_e32 vcc_lo, 0, v23
	v_add_nc_u32_e32 v23, 0xffffff89, v23
	v_cndmask_b32_e64 v30, v30, 0x77, vcc_lo
	v_cndmask_b32_e32 v29, v31, v29, vcc_lo
	v_cndmask_b32_e64 v23, v23, 0xffffff8a, vcc_lo
	v_lshl_add_u32 v31, 0x100000, v30, -1
	v_lshrrev_b32_e32 v32, v30, v29
	v_lshlrev_b32_e64 v34, v30, 0x80000
	v_add_nc_u32_e32 v30, v30, v23
	v_and_b32_e32 v29, v31, v29
	v_bfe_u32 v33, v32, 20, 1
	v_cmp_eq_u32_e64 s14, v29, v34
	v_add_nc_u32_e32 v31, -1, v33
	v_cndmask_b32_e64 v29, 0, v31, s14
	v_lshrrev_b32_e32 v31, 23, v32
	s_mov_b32 s14, exec_lo
	v_add_nc_u32_e32 v29, v29, v32
	v_xor_b32_e32 v31, 1, v31
	v_and_b32_e32 v23, 0xfffff, v29
	v_add_nc_u32_e32 v29, v23, v32
                                        ; implicit-def: $vgpr23
	v_cmpx_ne_u32_e64 v30, v31
	s_xor_b32 s14, exec_lo, s14
; %bb.3210:                             ;   in Loop: Header=BB6_2703 Depth=2
	v_cmp_lt_u32_e32 vcc_lo, 0xffffff, v29
	v_sub_nc_u32_e32 v23, v30, v31
	v_cndmask_b32_e64 v30, 0, 1, vcc_lo
	v_add_co_ci_u32_e64 v23, null, 0, v23, vcc_lo
	v_lshrrev_b32_e32 v29, v30, v29
; %bb.3211:                             ;   in Loop: Header=BB6_2703 Depth=2
	s_andn2_saveexec_b32 s14, s14
; %bb.3212:                             ;   in Loop: Header=BB6_2703 Depth=2
	v_bfe_u32 v23, v29, 23, 1
; %bb.3213:                             ;   in Loop: Header=BB6_2703 Depth=2
	s_or_b32 exec_lo, exec_lo, s14
	v_lshrrev_b32_e32 v29, 20, v29
	v_min_i32_e32 v30, 15, v23
	v_cmp_gt_i32_e32 vcc_lo, 16, v23
	v_and_b32_sdwa v27, v27, v114 dst_sel:DWORD dst_unused:UNUSED_PAD src0_sel:BYTE_3 src1_sel:DWORD
	v_lshlrev_b32_e32 v30, 3, v30
	v_cndmask_b32_e32 v29, 7, v29, vcc_lo
	v_and_b32_e32 v30, 0xf8, v30
	v_and_b32_e32 v31, 7, v29
	v_or_b32_e32 v23, v23, v29
	v_or3_b32 v27, v27, v30, v31
	v_cmp_ne_u32_e32 vcc_lo, 0, v23
	v_lshlrev_b32_e32 v27, 8, v27
	v_cndmask_b32_e32 v23, 0, v27, vcc_lo
.LBB6_3214:                             ;   in Loop: Header=BB6_2703 Depth=2
	s_or_b32 exec_lo, exec_lo, s42
.LBB6_3215:                             ;   in Loop: Header=BB6_2703 Depth=2
	s_or_b32 exec_lo, exec_lo, s41
	v_or_b32_e32 v8, v8, v5
	s_mov_b32 s14, 0
	v_cmp_gt_i16_sdwa s41, v8, v113 src0_sel:BYTE_0 src1_sel:DWORD
	s_and_saveexec_b32 s42, s41
	s_xor_b32 s41, exec_lo, s42
	s_cbranch_execz .LBB6_3341
; %bb.3216:                             ;   in Loop: Header=BB6_2703 Depth=2
	v_cmp_eq_u16_sdwa s43, v8, v114 src0_sel:BYTE_0 src1_sel:DWORD
	s_mov_b32 s14, -1
	s_and_saveexec_b32 s42, s43
; %bb.3217:                             ;   in Loop: Header=BB6_2703 Depth=2
	s_xor_b32 s14, exec_lo, -1
; %bb.3218:                             ;   in Loop: Header=BB6_2703 Depth=2
	s_or_b32 exec_lo, exec_lo, s42
	s_and_b32 s14, s14, exec_lo
	s_or_saveexec_b32 s41, s41
	v_mov_b32_e32 v5, 0x7f800001
	s_xor_b32 exec_lo, exec_lo, s41
	s_cbranch_execnz .LBB6_3342
.LBB6_3219:                             ;   in Loop: Header=BB6_2703 Depth=2
	s_or_b32 exec_lo, exec_lo, s41
	v_lshl_or_b32 v8, v8, 16, v20
	s_and_saveexec_b32 s41, s14
	s_cbranch_execz .LBB6_3221
.LBB6_3220:                             ;   in Loop: Header=BB6_2703 Depth=2
	v_bfe_u32 v5, v8, 16, 3
	v_bfe_u32 v29, v8, 19, 4
	v_lshlrev_b32_e32 v30, 8, v8
	v_ffbh_u32_e32 v20, v5
	v_cmp_eq_u32_e32 vcc_lo, 0, v29
	v_min_u32_e32 v20, 32, v20
	v_subrev_nc_u32_e32 v27, 28, v20
	v_sub_nc_u32_e32 v20, 29, v20
	v_lshlrev_b32_sdwa v27, v27, v8 dst_sel:DWORD dst_unused:UNUSED_PAD src0_sel:DWORD src1_sel:WORD_1
	v_cndmask_b32_e32 v20, v29, v20, vcc_lo
	v_and_b32_e32 v27, 7, v27
	v_lshl_add_u32 v20, v20, 23, 0x3b800000
	v_cndmask_b32_e32 v5, v5, v27, vcc_lo
	v_and_b32_e32 v27, 0x80000000, v30
	v_lshlrev_b32_e32 v5, 20, v5
	v_or3_b32 v5, v27, v20, v5
.LBB6_3221:                             ;   in Loop: Header=BB6_2703 Depth=2
	s_or_b32 exec_lo, exec_lo, s41
	v_and_b32_sdwa v27, v13, v117 dst_sel:DWORD dst_unused:UNUSED_PAD src0_sel:WORD_1 src1_sel:DWORD
	s_mov_b32 s14, 0
	s_mov_b32 s41, exec_lo
	v_cmpx_lt_i16_e32 0x7f, v27
	s_xor_b32 s41, exec_lo, s41
	s_cbranch_execz .LBB6_3343
; %bb.3222:                             ;   in Loop: Header=BB6_2703 Depth=2
	s_mov_b32 s14, -1
	s_mov_b32 s42, exec_lo
	v_cmpx_eq_u16_e32 0x80, v27
; %bb.3223:                             ;   in Loop: Header=BB6_2703 Depth=2
	s_xor_b32 s14, exec_lo, -1
; %bb.3224:                             ;   in Loop: Header=BB6_2703 Depth=2
	s_or_b32 exec_lo, exec_lo, s42
	s_and_b32 s14, s14, exec_lo
                                        ; implicit-def: $vgpr27
	s_or_saveexec_b32 s41, s41
	v_mov_b32_e32 v20, 0x7f800001
	s_xor_b32 exec_lo, exec_lo, s41
	s_cbranch_execnz .LBB6_3344
.LBB6_3225:                             ;   in Loop: Header=BB6_2703 Depth=2
	s_or_b32 exec_lo, exec_lo, s41
	s_and_saveexec_b32 s41, s14
	s_cbranch_execz .LBB6_3227
.LBB6_3226:                             ;   in Loop: Header=BB6_2703 Depth=2
	v_and_b32_sdwa v20, v13, v118 dst_sel:DWORD dst_unused:UNUSED_PAD src0_sel:WORD_1 src1_sel:DWORD
	v_bfe_u32 v30, v13, 19, 4
	v_lshlrev_b32_sdwa v31, v116, v13 dst_sel:DWORD dst_unused:UNUSED_PAD src0_sel:DWORD src1_sel:WORD_1
	v_ffbh_u32_e32 v27, v20
	v_cmp_eq_u32_e32 vcc_lo, 0, v30
	v_min_u32_e32 v27, 32, v27
	v_subrev_nc_u32_e32 v29, 28, v27
	v_sub_nc_u32_e32 v27, 29, v27
	v_lshlrev_b32_sdwa v29, v29, v13 dst_sel:DWORD dst_unused:UNUSED_PAD src0_sel:DWORD src1_sel:WORD_1
	v_cndmask_b32_e32 v27, v30, v27, vcc_lo
	v_and_b32_e32 v29, 7, v29
	v_lshl_add_u32 v27, v27, 23, 0x3b800000
	v_cndmask_b32_e32 v20, v20, v29, vcc_lo
	v_and_b32_e32 v29, 0x80000000, v31
	v_lshlrev_b32_e32 v20, 20, v20
	v_or3_b32 v20, v29, v27, v20
.LBB6_3227:                             ;   in Loop: Header=BB6_2703 Depth=2
	s_or_b32 exec_lo, exec_lo, s41
	v_add_f32_e32 v20, v5, v20
	v_and_b32_e32 v5, 0x7f800000, v20
	v_cmp_ne_u32_e32 vcc_lo, 0x7f800000, v5
	v_mov_b32_e32 v5, 0x80
	s_and_saveexec_b32 s41, vcc_lo
	s_cbranch_execz .LBB6_3235
; %bb.3228:                             ;   in Loop: Header=BB6_2703 Depth=2
	v_mov_b32_e32 v5, 0
	s_mov_b32 s42, exec_lo
	v_cmpx_ne_u32_e32 0, v20
	s_cbranch_execz .LBB6_3234
; %bb.3229:                             ;   in Loop: Header=BB6_2703 Depth=2
	v_bfe_u32 v5, v20, 23, 8
	v_and_b32_e32 v27, 0x7fffff, v20
	v_sub_nc_u32_e32 v29, 0x78, v5
	v_cmp_gt_u32_e32 vcc_lo, 0x79, v5
	v_or_b32_e32 v30, 0x800000, v27
	v_cndmask_b32_e32 v29, 0, v29, vcc_lo
	v_cmp_eq_u32_e32 vcc_lo, 0, v5
	v_add_nc_u32_e32 v5, 0xffffff89, v5
	v_cndmask_b32_e64 v29, v29, 0x77, vcc_lo
	v_cndmask_b32_e32 v27, v30, v27, vcc_lo
	v_cndmask_b32_e64 v5, v5, 0xffffff8a, vcc_lo
	v_lshl_add_u32 v30, 0x100000, v29, -1
	v_lshrrev_b32_e32 v31, v29, v27
	v_lshlrev_b32_e64 v33, v29, 0x80000
	v_add_nc_u32_e32 v29, v29, v5
	v_and_b32_e32 v27, v30, v27
	v_bfe_u32 v32, v31, 20, 1
	v_cmp_eq_u32_e64 s14, v27, v33
	v_add_nc_u32_e32 v30, -1, v32
	v_cndmask_b32_e64 v27, 0, v30, s14
	v_lshrrev_b32_e32 v30, 23, v31
	s_mov_b32 s14, exec_lo
	v_add_nc_u32_e32 v27, v27, v31
	v_xor_b32_e32 v30, 1, v30
	v_and_b32_e32 v5, 0xfffff, v27
	v_add_nc_u32_e32 v27, v5, v31
                                        ; implicit-def: $vgpr5
	v_cmpx_ne_u32_e64 v29, v30
	s_xor_b32 s14, exec_lo, s14
; %bb.3230:                             ;   in Loop: Header=BB6_2703 Depth=2
	v_cmp_lt_u32_e32 vcc_lo, 0xffffff, v27
	v_sub_nc_u32_e32 v5, v29, v30
	v_cndmask_b32_e64 v29, 0, 1, vcc_lo
	v_add_co_ci_u32_e64 v5, null, 0, v5, vcc_lo
	v_lshrrev_b32_e32 v27, v29, v27
; %bb.3231:                             ;   in Loop: Header=BB6_2703 Depth=2
	s_andn2_saveexec_b32 s14, s14
; %bb.3232:                             ;   in Loop: Header=BB6_2703 Depth=2
	v_bfe_u32 v5, v27, 23, 1
; %bb.3233:                             ;   in Loop: Header=BB6_2703 Depth=2
	s_or_b32 exec_lo, exec_lo, s14
	v_lshrrev_b32_e32 v27, 20, v27
	v_min_i32_e32 v29, 15, v5
	v_cmp_gt_i32_e32 vcc_lo, 16, v5
	v_and_b32_sdwa v20, v20, v114 dst_sel:DWORD dst_unused:UNUSED_PAD src0_sel:BYTE_3 src1_sel:DWORD
	v_lshlrev_b32_e32 v29, 3, v29
	v_cndmask_b32_e32 v27, 7, v27, vcc_lo
	v_and_b32_e32 v29, 0xf8, v29
	v_and_b32_e32 v30, 7, v27
	v_or_b32_e32 v5, v5, v27
	v_or3_b32 v20, v29, v20, v30
	v_cmp_ne_u32_e32 vcc_lo, 0, v5
	v_cndmask_b32_e32 v5, 0, v20, vcc_lo
.LBB6_3234:                             ;   in Loop: Header=BB6_2703 Depth=2
	s_or_b32 exec_lo, exec_lo, s42
.LBB6_3235:                             ;   in Loop: Header=BB6_2703 Depth=2
	s_or_b32 exec_lo, exec_lo, s41
	v_cmp_gt_i16_sdwa s41, v8, v113 src0_sel:BYTE_3 src1_sel:DWORD
	s_mov_b32 s14, 0
	s_and_saveexec_b32 s42, s41
	s_xor_b32 s41, exec_lo, s42
	s_cbranch_execz .LBB6_3345
; %bb.3236:                             ;   in Loop: Header=BB6_2703 Depth=2
	v_cmp_eq_u16_sdwa s43, v8, v114 src0_sel:BYTE_3 src1_sel:DWORD
	s_mov_b32 s14, -1
	s_and_saveexec_b32 s42, s43
; %bb.3237:                             ;   in Loop: Header=BB6_2703 Depth=2
	s_xor_b32 s14, exec_lo, -1
; %bb.3238:                             ;   in Loop: Header=BB6_2703 Depth=2
	s_or_b32 exec_lo, exec_lo, s42
	s_and_b32 s14, s14, exec_lo
	s_or_saveexec_b32 s41, s41
	v_mov_b32_e32 v20, 0x7f800001
	s_xor_b32 exec_lo, exec_lo, s41
	s_cbranch_execnz .LBB6_3346
.LBB6_3239:                             ;   in Loop: Header=BB6_2703 Depth=2
	s_or_b32 exec_lo, exec_lo, s41
	s_and_saveexec_b32 s41, s14
	s_cbranch_execz .LBB6_3241
.LBB6_3240:                             ;   in Loop: Header=BB6_2703 Depth=2
	v_bfe_u32 v20, v8, 24, 3
	v_bfe_u32 v30, v8, 27, 4
	v_ffbh_u32_e32 v27, v20
	v_cmp_eq_u32_e32 vcc_lo, 0, v30
	v_min_u32_e32 v27, 32, v27
	v_subrev_nc_u32_e32 v29, 28, v27
	v_sub_nc_u32_e32 v27, 29, v27
	v_lshlrev_b32_sdwa v29, v29, v8 dst_sel:DWORD dst_unused:UNUSED_PAD src0_sel:DWORD src1_sel:BYTE_3
	v_cndmask_b32_e32 v27, v30, v27, vcc_lo
	v_and_b32_e32 v8, 0x80000000, v8
	v_and_b32_e32 v29, 7, v29
	v_lshl_add_u32 v27, v27, 23, 0x3b800000
	v_cndmask_b32_e32 v20, v20, v29, vcc_lo
	v_lshlrev_b32_e32 v20, 20, v20
	v_or3_b32 v20, v8, v27, v20
.LBB6_3241:                             ;   in Loop: Header=BB6_2703 Depth=2
	s_or_b32 exec_lo, exec_lo, s41
	v_cmp_gt_i16_sdwa s41, v13, v113 src0_sel:BYTE_3 src1_sel:DWORD
	s_mov_b32 s14, 0
	s_and_saveexec_b32 s42, s41
	s_xor_b32 s41, exec_lo, s42
	s_cbranch_execz .LBB6_3347
; %bb.3242:                             ;   in Loop: Header=BB6_2703 Depth=2
	v_cmp_eq_u16_sdwa s43, v13, v114 src0_sel:BYTE_3 src1_sel:DWORD
	s_mov_b32 s14, -1
	s_and_saveexec_b32 s42, s43
; %bb.3243:                             ;   in Loop: Header=BB6_2703 Depth=2
	s_xor_b32 s14, exec_lo, -1
; %bb.3244:                             ;   in Loop: Header=BB6_2703 Depth=2
	s_or_b32 exec_lo, exec_lo, s42
	s_and_b32 s14, s14, exec_lo
	s_or_saveexec_b32 s41, s41
	v_mov_b32_e32 v8, 0x7f800001
	s_xor_b32 exec_lo, exec_lo, s41
	s_cbranch_execnz .LBB6_3348
.LBB6_3245:                             ;   in Loop: Header=BB6_2703 Depth=2
	s_or_b32 exec_lo, exec_lo, s41
	s_and_saveexec_b32 s41, s14
	s_cbranch_execz .LBB6_3247
.LBB6_3246:                             ;   in Loop: Header=BB6_2703 Depth=2
	v_and_b32_sdwa v8, v13, v118 dst_sel:DWORD dst_unused:UNUSED_PAD src0_sel:BYTE_3 src1_sel:DWORD
	v_bfe_u32 v30, v13, 27, 4
	v_ffbh_u32_e32 v27, v8
	v_cmp_eq_u32_e32 vcc_lo, 0, v30
	v_min_u32_e32 v27, 32, v27
	v_subrev_nc_u32_e32 v29, 28, v27
	v_sub_nc_u32_e32 v27, 29, v27
	v_lshlrev_b32_sdwa v29, v29, v13 dst_sel:DWORD dst_unused:UNUSED_PAD src0_sel:DWORD src1_sel:BYTE_3
	v_cndmask_b32_e32 v27, v30, v27, vcc_lo
	v_and_b32_e32 v13, 0x80000000, v13
	v_and_b32_e32 v29, 7, v29
	v_lshl_add_u32 v27, v27, 23, 0x3b800000
	v_cndmask_b32_e32 v8, v8, v29, vcc_lo
	v_lshlrev_b32_e32 v8, 20, v8
	v_or3_b32 v8, v13, v27, v8
.LBB6_3247:                             ;   in Loop: Header=BB6_2703 Depth=2
	s_or_b32 exec_lo, exec_lo, s41
	v_add_f32_e32 v8, v20, v8
	v_and_b32_e32 v13, 0x7f800000, v8
	v_cmp_ne_u32_e32 vcc_lo, 0x7f800000, v13
	v_mov_b32_e32 v13, 0x8000
	s_and_saveexec_b32 s41, vcc_lo
	s_cbranch_execz .LBB6_2702
; %bb.3248:                             ;   in Loop: Header=BB6_2703 Depth=2
	v_mov_b32_e32 v13, 0
	s_mov_b32 s42, exec_lo
	v_cmpx_ne_u32_e32 0, v8
	s_cbranch_execz .LBB6_2701
; %bb.3249:                             ;   in Loop: Header=BB6_2703 Depth=2
	v_bfe_u32 v13, v8, 23, 8
	v_and_b32_e32 v20, 0x7fffff, v8
	v_sub_nc_u32_e32 v27, 0x78, v13
	v_cmp_gt_u32_e32 vcc_lo, 0x79, v13
	v_or_b32_e32 v29, 0x800000, v20
	v_cndmask_b32_e32 v27, 0, v27, vcc_lo
	v_cmp_eq_u32_e32 vcc_lo, 0, v13
	v_add_nc_u32_e32 v13, 0xffffff89, v13
	v_cndmask_b32_e64 v27, v27, 0x77, vcc_lo
	v_cndmask_b32_e32 v20, v29, v20, vcc_lo
	v_cndmask_b32_e64 v13, v13, 0xffffff8a, vcc_lo
	v_lshl_add_u32 v29, 0x100000, v27, -1
	v_lshrrev_b32_e32 v30, v27, v20
	v_lshlrev_b32_e64 v32, v27, 0x80000
	v_add_nc_u32_e32 v27, v27, v13
	v_and_b32_e32 v20, v29, v20
	v_bfe_u32 v31, v30, 20, 1
	v_cmp_eq_u32_e64 s14, v20, v32
	v_add_nc_u32_e32 v29, -1, v31
	v_cndmask_b32_e64 v20, 0, v29, s14
	v_lshrrev_b32_e32 v29, 23, v30
	s_mov_b32 s14, exec_lo
	v_add_nc_u32_e32 v20, v20, v30
	v_xor_b32_e32 v29, 1, v29
	v_and_b32_e32 v13, 0xfffff, v20
	v_add_nc_u32_e32 v20, v13, v30
                                        ; implicit-def: $vgpr13
	v_cmpx_ne_u32_e64 v27, v29
	s_xor_b32 s14, exec_lo, s14
; %bb.3250:                             ;   in Loop: Header=BB6_2703 Depth=2
	v_cmp_lt_u32_e32 vcc_lo, 0xffffff, v20
	v_sub_nc_u32_e32 v13, v27, v29
	v_cndmask_b32_e64 v27, 0, 1, vcc_lo
	v_add_co_ci_u32_e64 v13, null, 0, v13, vcc_lo
	v_lshrrev_b32_e32 v20, v27, v20
; %bb.3251:                             ;   in Loop: Header=BB6_2703 Depth=2
	s_andn2_saveexec_b32 s14, s14
	s_cbranch_execz .LBB6_2700
; %bb.3252:                             ;   in Loop: Header=BB6_2703 Depth=2
	v_bfe_u32 v13, v20, 23, 1
	s_branch .LBB6_2700
.LBB6_3253:                             ;   in Loop: Header=BB6_2703 Depth=2
	s_or_saveexec_b32 s42, s42
	v_mov_b32_e32 v4, 0x7f800001
	s_xor_b32 exec_lo, exec_lo, s42
	s_cbranch_execz .LBB6_2715
.LBB6_3254:                             ;   in Loop: Header=BB6_2703 Depth=2
	v_cmp_ne_u16_sdwa s43, v10, v52 src0_sel:BYTE_0 src1_sel:DWORD
	v_mov_b32_e32 v4, 0
	s_andn2_b32 s14, s14, exec_lo
	s_and_b32 s43, s43, exec_lo
	s_or_b32 s14, s14, s43
	s_or_b32 exec_lo, exec_lo, s42
	s_and_saveexec_b32 s42, s14
	s_cbranch_execnz .LBB6_2716
	s_branch .LBB6_2717
.LBB6_3255:                             ;   in Loop: Header=BB6_2703 Depth=2
	s_or_saveexec_b32 s42, s42
	v_mov_b32_e32 v5, 0x7f800001
	s_xor_b32 exec_lo, exec_lo, s42
	s_cbranch_execz .LBB6_2729
.LBB6_3256:                             ;   in Loop: Header=BB6_2703 Depth=2
	v_cmp_ne_u16_sdwa s43, v10, v52 src0_sel:BYTE_1 src1_sel:DWORD
	v_mov_b32_e32 v5, 0
	s_andn2_b32 s14, s14, exec_lo
	s_and_b32 s43, s43, exec_lo
	s_or_b32 s14, s14, s43
	s_or_b32 exec_lo, exec_lo, s42
	s_and_saveexec_b32 s42, s14
	s_cbranch_execnz .LBB6_2730
	s_branch .LBB6_2731
.LBB6_3257:                             ;   in Loop: Header=BB6_2703 Depth=2
	s_or_saveexec_b32 s42, s42
	v_mov_b32_e32 v5, 0x7f800001
	s_xor_b32 exec_lo, exec_lo, s42
	s_cbranch_execz .LBB6_2743
.LBB6_3258:                             ;   in Loop: Header=BB6_2703 Depth=2
	v_cmp_ne_u16_e32 vcc_lo, 0, v6
	v_mov_b32_e32 v5, 0
	s_andn2_b32 s14, s14, exec_lo
	s_and_b32 s43, vcc_lo, exec_lo
	s_or_b32 s14, s14, s43
	s_or_b32 exec_lo, exec_lo, s42
	s_and_saveexec_b32 s42, s14
	s_cbranch_execnz .LBB6_2744
	s_branch .LBB6_2745
.LBB6_3259:                             ;   in Loop: Header=BB6_2703 Depth=2
	s_or_saveexec_b32 s42, s42
	v_mov_b32_e32 v5, 0x7f800001
	s_xor_b32 exec_lo, exec_lo, s42
	s_cbranch_execz .LBB6_2757
.LBB6_3260:                             ;   in Loop: Header=BB6_2703 Depth=2
	v_cmp_ne_u16_sdwa s43, v10, v52 src0_sel:BYTE_3 src1_sel:DWORD
	v_mov_b32_e32 v5, 0
	s_andn2_b32 s14, s14, exec_lo
	s_and_b32 s43, s43, exec_lo
	s_or_b32 s14, s14, s43
	s_or_b32 exec_lo, exec_lo, s42
	s_and_saveexec_b32 s42, s14
	s_cbranch_execnz .LBB6_2758
	s_branch .LBB6_2759
.LBB6_3261:                             ;   in Loop: Header=BB6_2703 Depth=2
	s_or_saveexec_b32 s42, s42
	v_mov_b32_e32 v5, 0x7f800001
	s_xor_b32 exec_lo, exec_lo, s42
	s_cbranch_execz .LBB6_2771
.LBB6_3262:                             ;   in Loop: Header=BB6_2703 Depth=2
	v_cmp_ne_u16_sdwa s43, v11, v52 src0_sel:BYTE_0 src1_sel:DWORD
	v_mov_b32_e32 v5, 0
	s_andn2_b32 s14, s14, exec_lo
	s_and_b32 s43, s43, exec_lo
	s_or_b32 s14, s14, s43
	s_or_b32 exec_lo, exec_lo, s42
	s_and_saveexec_b32 s42, s14
	s_cbranch_execnz .LBB6_2772
	s_branch .LBB6_2773
.LBB6_3263:                             ;   in Loop: Header=BB6_2703 Depth=2
	s_or_saveexec_b32 s42, s42
	v_mov_b32_e32 v5, 0x7f800001
	s_xor_b32 exec_lo, exec_lo, s42
	s_cbranch_execz .LBB6_2785
.LBB6_3264:                             ;   in Loop: Header=BB6_2703 Depth=2
	v_cmp_ne_u16_sdwa s43, v11, v52 src0_sel:BYTE_1 src1_sel:DWORD
	v_mov_b32_e32 v5, 0
	s_andn2_b32 s14, s14, exec_lo
	s_and_b32 s43, s43, exec_lo
	s_or_b32 s14, s14, s43
	s_or_b32 exec_lo, exec_lo, s42
	s_and_saveexec_b32 s42, s14
	s_cbranch_execnz .LBB6_2786
	s_branch .LBB6_2787
.LBB6_3265:                             ;   in Loop: Header=BB6_2703 Depth=2
	s_or_saveexec_b32 s42, s42
	v_mov_b32_e32 v5, 0x7f800001
	s_xor_b32 exec_lo, exec_lo, s42
	s_cbranch_execz .LBB6_2799
.LBB6_3266:                             ;   in Loop: Header=BB6_2703 Depth=2
	v_cmp_ne_u16_e32 vcc_lo, 0, v6
	v_mov_b32_e32 v5, 0
	s_andn2_b32 s14, s14, exec_lo
	s_and_b32 s43, vcc_lo, exec_lo
	s_or_b32 s14, s14, s43
	s_or_b32 exec_lo, exec_lo, s42
	s_and_saveexec_b32 s42, s14
	s_cbranch_execnz .LBB6_2800
	s_branch .LBB6_2801
.LBB6_3267:                             ;   in Loop: Header=BB6_2703 Depth=2
	s_or_saveexec_b32 s42, s42
	v_mov_b32_e32 v5, 0x7f800001
	s_xor_b32 exec_lo, exec_lo, s42
	s_cbranch_execz .LBB6_2813
.LBB6_3268:                             ;   in Loop: Header=BB6_2703 Depth=2
	v_cmp_ne_u16_sdwa s43, v11, v52 src0_sel:BYTE_3 src1_sel:DWORD
	v_mov_b32_e32 v5, 0
	s_andn2_b32 s14, s14, exec_lo
	s_and_b32 s43, s43, exec_lo
	s_or_b32 s14, s14, s43
	s_or_b32 exec_lo, exec_lo, s42
	s_and_saveexec_b32 s42, s14
	s_cbranch_execnz .LBB6_2814
	s_branch .LBB6_2815
.LBB6_3269:                             ;   in Loop: Header=BB6_2703 Depth=2
	s_or_saveexec_b32 s42, s42
	v_mov_b32_e32 v5, 0x7f800001
	s_xor_b32 exec_lo, exec_lo, s42
	s_cbranch_execz .LBB6_2827
.LBB6_3270:                             ;   in Loop: Header=BB6_2703 Depth=2
	v_cmp_ne_u16_sdwa s43, v12, v52 src0_sel:BYTE_0 src1_sel:DWORD
	v_mov_b32_e32 v5, 0
	s_andn2_b32 s14, s14, exec_lo
	s_and_b32 s43, s43, exec_lo
	s_or_b32 s14, s14, s43
	s_or_b32 exec_lo, exec_lo, s42
	s_and_saveexec_b32 s42, s14
	s_cbranch_execnz .LBB6_2828
	s_branch .LBB6_2829
.LBB6_3271:                             ;   in Loop: Header=BB6_2703 Depth=2
	s_or_saveexec_b32 s42, s42
	v_mov_b32_e32 v5, 0x7f800001
	s_xor_b32 exec_lo, exec_lo, s42
	s_cbranch_execz .LBB6_2841
.LBB6_3272:                             ;   in Loop: Header=BB6_2703 Depth=2
	v_cmp_ne_u16_sdwa s43, v12, v52 src0_sel:BYTE_1 src1_sel:DWORD
	v_mov_b32_e32 v5, 0
	s_andn2_b32 s14, s14, exec_lo
	s_and_b32 s43, s43, exec_lo
	s_or_b32 s14, s14, s43
	s_or_b32 exec_lo, exec_lo, s42
	s_and_saveexec_b32 s42, s14
	s_cbranch_execnz .LBB6_2842
	s_branch .LBB6_2843
.LBB6_3273:                             ;   in Loop: Header=BB6_2703 Depth=2
	s_or_saveexec_b32 s42, s42
	v_mov_b32_e32 v5, 0x7f800001
	s_xor_b32 exec_lo, exec_lo, s42
	s_cbranch_execz .LBB6_2855
.LBB6_3274:                             ;   in Loop: Header=BB6_2703 Depth=2
	v_cmp_ne_u16_e32 vcc_lo, 0, v6
	v_mov_b32_e32 v5, 0
	s_andn2_b32 s14, s14, exec_lo
	s_and_b32 s43, vcc_lo, exec_lo
	s_or_b32 s14, s14, s43
	s_or_b32 exec_lo, exec_lo, s42
	s_and_saveexec_b32 s42, s14
	s_cbranch_execnz .LBB6_2856
	s_branch .LBB6_2857
.LBB6_3275:                             ;   in Loop: Header=BB6_2703 Depth=2
	s_or_saveexec_b32 s42, s42
	v_mov_b32_e32 v5, 0x7f800001
	s_xor_b32 exec_lo, exec_lo, s42
	s_cbranch_execz .LBB6_2869
.LBB6_3276:                             ;   in Loop: Header=BB6_2703 Depth=2
	v_cmp_ne_u16_sdwa s43, v12, v52 src0_sel:BYTE_3 src1_sel:DWORD
	v_mov_b32_e32 v5, 0
	s_andn2_b32 s14, s14, exec_lo
	s_and_b32 s43, s43, exec_lo
	s_or_b32 s14, s14, s43
	s_or_b32 exec_lo, exec_lo, s42
	s_and_saveexec_b32 s42, s14
	s_cbranch_execnz .LBB6_2870
	s_branch .LBB6_2871
.LBB6_3277:                             ;   in Loop: Header=BB6_2703 Depth=2
	s_or_saveexec_b32 s42, s42
	v_mov_b32_e32 v5, 0x7f800001
	s_xor_b32 exec_lo, exec_lo, s42
	s_cbranch_execz .LBB6_2883
.LBB6_3278:                             ;   in Loop: Header=BB6_2703 Depth=2
	v_cmp_ne_u16_sdwa s43, v13, v52 src0_sel:BYTE_0 src1_sel:DWORD
	v_mov_b32_e32 v5, 0
	s_andn2_b32 s14, s14, exec_lo
	s_and_b32 s43, s43, exec_lo
	s_or_b32 s14, s14, s43
	s_or_b32 exec_lo, exec_lo, s42
	s_and_saveexec_b32 s42, s14
	s_cbranch_execnz .LBB6_2884
	s_branch .LBB6_2885
.LBB6_3279:                             ;   in Loop: Header=BB6_2703 Depth=2
	s_or_saveexec_b32 s42, s42
	v_mov_b32_e32 v5, 0x7f800001
	s_xor_b32 exec_lo, exec_lo, s42
	s_cbranch_execz .LBB6_2897
.LBB6_3280:                             ;   in Loop: Header=BB6_2703 Depth=2
	v_cmp_ne_u16_sdwa s43, v13, v52 src0_sel:BYTE_1 src1_sel:DWORD
	v_mov_b32_e32 v5, 0
	s_andn2_b32 s14, s14, exec_lo
	s_and_b32 s43, s43, exec_lo
	s_or_b32 s14, s14, s43
	s_or_b32 exec_lo, exec_lo, s42
	s_and_saveexec_b32 s42, s14
	s_cbranch_execnz .LBB6_2898
	s_branch .LBB6_2899
.LBB6_3281:                             ;   in Loop: Header=BB6_2703 Depth=2
	s_or_saveexec_b32 s42, s42
	v_mov_b32_e32 v5, 0x7f800001
	s_xor_b32 exec_lo, exec_lo, s42
	s_cbranch_execz .LBB6_2911
.LBB6_3282:                             ;   in Loop: Header=BB6_2703 Depth=2
	v_cmp_ne_u16_e32 vcc_lo, 0, v8
	v_mov_b32_e32 v5, 0
	s_andn2_b32 s14, s14, exec_lo
	s_and_b32 s43, vcc_lo, exec_lo
	s_or_b32 s14, s14, s43
	s_or_b32 exec_lo, exec_lo, s42
	s_and_saveexec_b32 s42, s14
	s_cbranch_execnz .LBB6_2912
	s_branch .LBB6_2913
.LBB6_3283:                             ;   in Loop: Header=BB6_2703 Depth=2
	s_or_saveexec_b32 s42, s42
	v_mov_b32_e32 v8, 0x7f800001
	s_xor_b32 exec_lo, exec_lo, s42
	s_cbranch_execz .LBB6_2925
.LBB6_3284:                             ;   in Loop: Header=BB6_2703 Depth=2
	v_cmp_ne_u16_sdwa s43, v13, v52 src0_sel:BYTE_3 src1_sel:DWORD
	v_mov_b32_e32 v8, 0
	s_andn2_b32 s14, s14, exec_lo
	s_and_b32 s43, s43, exec_lo
	s_or_b32 s14, s14, s43
	s_or_b32 exec_lo, exec_lo, s42
	s_and_saveexec_b32 s42, s14
	s_cbranch_execnz .LBB6_2926
	s_branch .LBB6_2927
.LBB6_3285:                             ;   in Loop: Header=BB6_2703 Depth=2
	s_or_saveexec_b32 s41, s41
	v_mov_b32_e32 v4, 0x7f800001
	s_xor_b32 exec_lo, exec_lo, s41
	s_cbranch_execz .LBB6_2939
.LBB6_3286:                             ;   in Loop: Header=BB6_2703 Depth=2
	v_cmp_ne_u16_sdwa s42, v30, v52 src0_sel:BYTE_0 src1_sel:DWORD
	v_mov_b32_e32 v4, 0
	s_andn2_b32 s14, s14, exec_lo
	s_and_b32 s42, s42, exec_lo
	s_or_b32 s14, s14, s42
	s_or_b32 exec_lo, exec_lo, s41
	s_and_saveexec_b32 s41, s14
	s_cbranch_execnz .LBB6_2940
	s_branch .LBB6_2941
.LBB6_3287:                             ;   in Loop: Header=BB6_2703 Depth=2
	s_or_saveexec_b32 s41, s41
	v_mov_b32_e32 v7, 0x7f800001
	s_xor_b32 exec_lo, exec_lo, s41
	s_cbranch_execz .LBB6_2945
.LBB6_3288:                             ;   in Loop: Header=BB6_2703 Depth=2
	v_cmp_ne_u16_sdwa s42, v10, v52 src0_sel:BYTE_0 src1_sel:DWORD
	v_mov_b32_e32 v7, 0
	s_andn2_b32 s14, s14, exec_lo
	s_and_b32 s42, s42, exec_lo
	s_or_b32 s14, s14, s42
	s_or_b32 exec_lo, exec_lo, s41
	s_and_saveexec_b32 s41, s14
	s_cbranch_execnz .LBB6_2946
	s_branch .LBB6_2947
.LBB6_3289:                             ;   in Loop: Header=BB6_2703 Depth=2
	s_or_saveexec_b32 s41, s41
	v_mov_b32_e32 v7, 0x7f800001
	s_xor_b32 exec_lo, exec_lo, s41
	s_cbranch_execz .LBB6_2959
.LBB6_3290:                             ;   in Loop: Header=BB6_2703 Depth=2
	v_cmp_ne_u16_sdwa s42, v30, v52 src0_sel:BYTE_1 src1_sel:DWORD
	v_mov_b32_e32 v7, 0
	s_andn2_b32 s14, s14, exec_lo
	s_and_b32 s42, s42, exec_lo
	s_or_b32 s14, s14, s42
	s_or_b32 exec_lo, exec_lo, s41
	s_and_saveexec_b32 s41, s14
	s_cbranch_execnz .LBB6_2960
	s_branch .LBB6_2961
.LBB6_3291:                             ;   in Loop: Header=BB6_2703 Depth=2
	s_or_saveexec_b32 s41, s41
	v_mov_b32_e32 v31, 0x7f800001
	s_xor_b32 exec_lo, exec_lo, s41
	s_cbranch_execz .LBB6_2965
.LBB6_3292:                             ;   in Loop: Header=BB6_2703 Depth=2
	v_cmp_ne_u16_sdwa s42, v10, v52 src0_sel:BYTE_1 src1_sel:DWORD
	v_mov_b32_e32 v31, 0
	s_andn2_b32 s14, s14, exec_lo
	s_and_b32 s42, s42, exec_lo
	s_or_b32 s14, s14, s42
	s_or_b32 exec_lo, exec_lo, s41
	s_and_saveexec_b32 s41, s14
	s_cbranch_execnz .LBB6_2966
	s_branch .LBB6_2967
.LBB6_3293:                             ;   in Loop: Header=BB6_2703 Depth=2
	s_or_saveexec_b32 s41, s41
	v_mov_b32_e32 v22, 0x7f800001
	s_xor_b32 exec_lo, exec_lo, s41
	s_cbranch_execz .LBB6_2979
.LBB6_3294:                             ;   in Loop: Header=BB6_2703 Depth=2
	v_cmp_ne_u16_sdwa s42, v29, v52 src0_sel:BYTE_0 src1_sel:DWORD
	v_mov_b32_e32 v22, 0
	s_andn2_b32 s14, s14, exec_lo
	s_and_b32 s42, s42, exec_lo
	s_or_b32 s14, s14, s42
	s_or_b32 exec_lo, exec_lo, s41
	v_lshl_or_b32 v29, v29, 16, v30
	s_and_saveexec_b32 s41, s14
	s_cbranch_execnz .LBB6_2980
	s_branch .LBB6_2981
.LBB6_3295:                             ;   in Loop: Header=BB6_2703 Depth=2
	s_or_saveexec_b32 s41, s41
	v_mov_b32_e32 v30, 0x7f800001
	s_xor_b32 exec_lo, exec_lo, s41
	s_cbranch_execz .LBB6_2985
.LBB6_3296:                             ;   in Loop: Header=BB6_2703 Depth=2
	v_cmp_ne_u16_e32 vcc_lo, 0, v31
	v_mov_b32_e32 v30, 0
	s_andn2_b32 s14, s14, exec_lo
	s_and_b32 s42, vcc_lo, exec_lo
	s_or_b32 s14, s14, s42
	s_or_b32 exec_lo, exec_lo, s41
	s_and_saveexec_b32 s41, s14
	s_cbranch_execnz .LBB6_2986
	s_branch .LBB6_2987
.LBB6_3297:                             ;   in Loop: Header=BB6_2703 Depth=2
	s_or_saveexec_b32 s41, s41
	v_mov_b32_e32 v30, 0x7f800001
	s_xor_b32 exec_lo, exec_lo, s41
	s_cbranch_execz .LBB6_2999
.LBB6_3298:                             ;   in Loop: Header=BB6_2703 Depth=2
	v_cmp_ne_u16_sdwa s42, v29, v52 src0_sel:BYTE_3 src1_sel:DWORD
	v_mov_b32_e32 v30, 0
	s_andn2_b32 s14, s14, exec_lo
	s_and_b32 s42, s42, exec_lo
	s_or_b32 s14, s14, s42
	s_or_b32 exec_lo, exec_lo, s41
	s_and_saveexec_b32 s41, s14
	s_cbranch_execnz .LBB6_3000
	s_branch .LBB6_3001
.LBB6_3299:                             ;   in Loop: Header=BB6_2703 Depth=2
	s_or_saveexec_b32 s41, s41
	v_mov_b32_e32 v29, 0x7f800001
	s_xor_b32 exec_lo, exec_lo, s41
	s_cbranch_execz .LBB6_3005
.LBB6_3300:                             ;   in Loop: Header=BB6_2703 Depth=2
	v_cmp_ne_u16_sdwa s42, v10, v52 src0_sel:BYTE_3 src1_sel:DWORD
	v_mov_b32_e32 v29, 0
	s_andn2_b32 s14, s14, exec_lo
	s_and_b32 s42, s42, exec_lo
	s_or_b32 s14, s14, s42
	s_or_b32 exec_lo, exec_lo, s41
	s_and_saveexec_b32 s41, s14
	s_cbranch_execnz .LBB6_3006
	s_branch .LBB6_3007
.LBB6_3301:                             ;   in Loop: Header=BB6_2703 Depth=2
	s_or_saveexec_b32 s41, s41
	v_mov_b32_e32 v26, 0x7f800001
	s_xor_b32 exec_lo, exec_lo, s41
	s_cbranch_execz .LBB6_3019
.LBB6_3302:                             ;   in Loop: Header=BB6_2703 Depth=2
	v_cmp_ne_u16_sdwa s42, v29, v52 src0_sel:BYTE_0 src1_sel:DWORD
	v_mov_b32_e32 v26, 0
	s_andn2_b32 s14, s14, exec_lo
	s_and_b32 s42, s42, exec_lo
	s_or_b32 s14, s14, s42
	s_or_b32 exec_lo, exec_lo, s41
	s_and_saveexec_b32 s41, s14
	s_cbranch_execnz .LBB6_3020
	s_branch .LBB6_3021
.LBB6_3303:                             ;   in Loop: Header=BB6_2703 Depth=2
	s_or_saveexec_b32 s41, s41
	v_mov_b32_e32 v28, 0x7f800001
	s_xor_b32 exec_lo, exec_lo, s41
	s_cbranch_execz .LBB6_3025
.LBB6_3304:                             ;   in Loop: Header=BB6_2703 Depth=2
	v_cmp_ne_u16_sdwa s42, v11, v52 src0_sel:BYTE_0 src1_sel:DWORD
	v_mov_b32_e32 v28, 0
	s_andn2_b32 s14, s14, exec_lo
	s_and_b32 s42, s42, exec_lo
	s_or_b32 s14, s14, s42
	s_or_b32 exec_lo, exec_lo, s41
	s_and_saveexec_b32 s41, s14
	s_cbranch_execnz .LBB6_3026
	s_branch .LBB6_3027
.LBB6_3305:                             ;   in Loop: Header=BB6_2703 Depth=2
	s_or_saveexec_b32 s41, s41
	v_mov_b32_e32 v28, 0x7f800001
	s_xor_b32 exec_lo, exec_lo, s41
	s_cbranch_execz .LBB6_3039
.LBB6_3306:                             ;   in Loop: Header=BB6_2703 Depth=2
	v_cmp_ne_u16_sdwa s42, v29, v52 src0_sel:BYTE_1 src1_sel:DWORD
	v_mov_b32_e32 v28, 0
	s_andn2_b32 s14, s14, exec_lo
	s_and_b32 s42, s42, exec_lo
	s_or_b32 s14, s14, s42
	s_or_b32 exec_lo, exec_lo, s41
	s_and_saveexec_b32 s41, s14
	s_cbranch_execnz .LBB6_3040
	s_branch .LBB6_3041
.LBB6_3307:                             ;   in Loop: Header=BB6_2703 Depth=2
	s_or_saveexec_b32 s41, s41
	v_mov_b32_e32 v30, 0x7f800001
	s_xor_b32 exec_lo, exec_lo, s41
	s_cbranch_execz .LBB6_3045
.LBB6_3308:                             ;   in Loop: Header=BB6_2703 Depth=2
	v_cmp_ne_u16_sdwa s42, v11, v52 src0_sel:BYTE_1 src1_sel:DWORD
	v_mov_b32_e32 v30, 0
	s_andn2_b32 s14, s14, exec_lo
	s_and_b32 s42, s42, exec_lo
	s_or_b32 s14, s14, s42
	s_or_b32 exec_lo, exec_lo, s41
	s_and_saveexec_b32 s41, s14
	s_cbranch_execnz .LBB6_3046
	s_branch .LBB6_3047
.LBB6_3309:                             ;   in Loop: Header=BB6_2703 Depth=2
	s_or_saveexec_b32 s41, s41
	v_mov_b32_e32 v24, 0x7f800001
	s_xor_b32 exec_lo, exec_lo, s41
	s_cbranch_execz .LBB6_3059
.LBB6_3310:                             ;   in Loop: Header=BB6_2703 Depth=2
	v_cmp_ne_u16_sdwa s42, v27, v52 src0_sel:BYTE_0 src1_sel:DWORD
	v_mov_b32_e32 v24, 0
	s_andn2_b32 s14, s14, exec_lo
	s_and_b32 s42, s42, exec_lo
	s_or_b32 s14, s14, s42
	s_or_b32 exec_lo, exec_lo, s41
	v_lshl_or_b32 v27, v27, 16, v29
	s_and_saveexec_b32 s41, s14
	s_cbranch_execnz .LBB6_3060
	s_branch .LBB6_3061
.LBB6_3311:                             ;   in Loop: Header=BB6_2703 Depth=2
	s_or_saveexec_b32 s41, s41
	v_mov_b32_e32 v29, 0x7f800001
	s_xor_b32 exec_lo, exec_lo, s41
	s_cbranch_execz .LBB6_3065
.LBB6_3312:                             ;   in Loop: Header=BB6_2703 Depth=2
	v_cmp_ne_u16_e32 vcc_lo, 0, v30
	v_mov_b32_e32 v29, 0
	s_andn2_b32 s14, s14, exec_lo
	s_and_b32 s42, vcc_lo, exec_lo
	s_or_b32 s14, s14, s42
	s_or_b32 exec_lo, exec_lo, s41
	s_and_saveexec_b32 s41, s14
	s_cbranch_execnz .LBB6_3066
	s_branch .LBB6_3067
.LBB6_3313:                             ;   in Loop: Header=BB6_2703 Depth=2
	s_or_saveexec_b32 s41, s41
	v_mov_b32_e32 v29, 0x7f800001
	s_xor_b32 exec_lo, exec_lo, s41
	s_cbranch_execz .LBB6_3079
.LBB6_3314:                             ;   in Loop: Header=BB6_2703 Depth=2
	v_cmp_ne_u16_sdwa s42, v27, v52 src0_sel:BYTE_3 src1_sel:DWORD
	v_mov_b32_e32 v29, 0
	s_andn2_b32 s14, s14, exec_lo
	s_and_b32 s42, s42, exec_lo
	s_or_b32 s14, s14, s42
	s_or_b32 exec_lo, exec_lo, s41
	s_and_saveexec_b32 s41, s14
	s_cbranch_execnz .LBB6_3080
	s_branch .LBB6_3081
.LBB6_3315:                             ;   in Loop: Header=BB6_2703 Depth=2
	s_or_saveexec_b32 s41, s41
	v_mov_b32_e32 v27, 0x7f800001
	s_xor_b32 exec_lo, exec_lo, s41
	s_cbranch_execz .LBB6_3085
.LBB6_3316:                             ;   in Loop: Header=BB6_2703 Depth=2
	v_cmp_ne_u16_sdwa s42, v11, v52 src0_sel:BYTE_3 src1_sel:DWORD
	v_mov_b32_e32 v27, 0
	s_andn2_b32 s14, s14, exec_lo
	s_and_b32 s42, s42, exec_lo
	s_or_b32 s14, s14, s42
	s_or_b32 exec_lo, exec_lo, s41
	s_and_saveexec_b32 s41, s14
	s_cbranch_execnz .LBB6_3086
	s_branch .LBB6_3087
.LBB6_3317:                             ;   in Loop: Header=BB6_2703 Depth=2
	s_or_saveexec_b32 s41, s41
	v_mov_b32_e32 v21, 0x7f800001
	s_xor_b32 exec_lo, exec_lo, s41
	s_cbranch_execz .LBB6_3099
.LBB6_3318:                             ;   in Loop: Header=BB6_2703 Depth=2
	v_cmp_ne_u16_sdwa s42, v27, v52 src0_sel:BYTE_0 src1_sel:DWORD
	v_mov_b32_e32 v21, 0
	s_andn2_b32 s14, s14, exec_lo
	s_and_b32 s42, s42, exec_lo
	s_or_b32 s14, s14, s42
	s_or_b32 exec_lo, exec_lo, s41
	s_and_saveexec_b32 s41, s14
	s_cbranch_execnz .LBB6_3100
	s_branch .LBB6_3101
.LBB6_3319:                             ;   in Loop: Header=BB6_2703 Depth=2
	s_or_saveexec_b32 s41, s41
	v_mov_b32_e32 v25, 0x7f800001
	s_xor_b32 exec_lo, exec_lo, s41
	s_cbranch_execz .LBB6_3105
.LBB6_3320:                             ;   in Loop: Header=BB6_2703 Depth=2
	v_cmp_ne_u16_sdwa s42, v12, v52 src0_sel:BYTE_0 src1_sel:DWORD
	v_mov_b32_e32 v25, 0
	s_andn2_b32 s14, s14, exec_lo
	s_and_b32 s42, s42, exec_lo
	s_or_b32 s14, s14, s42
	s_or_b32 exec_lo, exec_lo, s41
	s_and_saveexec_b32 s41, s14
	s_cbranch_execnz .LBB6_3106
	s_branch .LBB6_3107
.LBB6_3321:                             ;   in Loop: Header=BB6_2703 Depth=2
	s_or_saveexec_b32 s41, s41
	v_mov_b32_e32 v25, 0x7f800001
	s_xor_b32 exec_lo, exec_lo, s41
	s_cbranch_execz .LBB6_3119
.LBB6_3322:                             ;   in Loop: Header=BB6_2703 Depth=2
	v_cmp_ne_u16_sdwa s42, v27, v52 src0_sel:BYTE_1 src1_sel:DWORD
	v_mov_b32_e32 v25, 0
	s_andn2_b32 s14, s14, exec_lo
	s_and_b32 s42, s42, exec_lo
	s_or_b32 s14, s14, s42
	s_or_b32 exec_lo, exec_lo, s41
	s_and_saveexec_b32 s41, s14
	s_cbranch_execnz .LBB6_3120
	s_branch .LBB6_3121
.LBB6_3323:                             ;   in Loop: Header=BB6_2703 Depth=2
	s_or_saveexec_b32 s41, s41
	v_mov_b32_e32 v29, 0x7f800001
	s_xor_b32 exec_lo, exec_lo, s41
	s_cbranch_execz .LBB6_3125
.LBB6_3324:                             ;   in Loop: Header=BB6_2703 Depth=2
	v_cmp_ne_u16_sdwa s42, v12, v52 src0_sel:BYTE_1 src1_sel:DWORD
	v_mov_b32_e32 v29, 0
	s_andn2_b32 s14, s14, exec_lo
	s_and_b32 s42, s42, exec_lo
	s_or_b32 s14, s14, s42
	s_or_b32 exec_lo, exec_lo, s41
	s_and_saveexec_b32 s41, s14
	s_cbranch_execnz .LBB6_3126
	s_branch .LBB6_3127
.LBB6_3325:                             ;   in Loop: Header=BB6_2703 Depth=2
	s_or_saveexec_b32 s41, s41
	v_mov_b32_e32 v9, 0x7f800001
	s_xor_b32 exec_lo, exec_lo, s41
	s_cbranch_execz .LBB6_3139
.LBB6_3326:                             ;   in Loop: Header=BB6_2703 Depth=2
	v_cmp_ne_u16_sdwa s42, v23, v52 src0_sel:BYTE_0 src1_sel:DWORD
	v_mov_b32_e32 v9, 0
	s_andn2_b32 s14, s14, exec_lo
	s_and_b32 s42, s42, exec_lo
	s_or_b32 s14, s14, s42
	s_or_b32 exec_lo, exec_lo, s41
	v_lshl_or_b32 v23, v23, 16, v27
	s_and_saveexec_b32 s41, s14
	s_cbranch_execnz .LBB6_3140
	s_branch .LBB6_3141
.LBB6_3327:                             ;   in Loop: Header=BB6_2703 Depth=2
	s_or_saveexec_b32 s41, s41
	v_mov_b32_e32 v27, 0x7f800001
	s_xor_b32 exec_lo, exec_lo, s41
	s_cbranch_execz .LBB6_3145
.LBB6_3328:                             ;   in Loop: Header=BB6_2703 Depth=2
	v_cmp_ne_u16_e32 vcc_lo, 0, v29
	v_mov_b32_e32 v27, 0
	s_andn2_b32 s14, s14, exec_lo
	s_and_b32 s42, vcc_lo, exec_lo
	s_or_b32 s14, s14, s42
	s_or_b32 exec_lo, exec_lo, s41
	s_and_saveexec_b32 s41, s14
	s_cbranch_execnz .LBB6_3146
	s_branch .LBB6_3147
.LBB6_3329:                             ;   in Loop: Header=BB6_2703 Depth=2
	s_or_saveexec_b32 s41, s41
	v_mov_b32_e32 v27, 0x7f800001
	s_xor_b32 exec_lo, exec_lo, s41
	s_cbranch_execz .LBB6_3159
.LBB6_3330:                             ;   in Loop: Header=BB6_2703 Depth=2
	v_cmp_ne_u16_sdwa s42, v23, v52 src0_sel:BYTE_3 src1_sel:DWORD
	v_mov_b32_e32 v27, 0
	s_andn2_b32 s14, s14, exec_lo
	s_and_b32 s42, s42, exec_lo
	s_or_b32 s14, s14, s42
	s_or_b32 exec_lo, exec_lo, s41
	s_and_saveexec_b32 s41, s14
	s_cbranch_execnz .LBB6_3160
	s_branch .LBB6_3161
.LBB6_3331:                             ;   in Loop: Header=BB6_2703 Depth=2
	s_or_saveexec_b32 s41, s41
	v_mov_b32_e32 v23, 0x7f800001
	s_xor_b32 exec_lo, exec_lo, s41
	s_cbranch_execz .LBB6_3165
.LBB6_3332:                             ;   in Loop: Header=BB6_2703 Depth=2
	v_cmp_ne_u16_sdwa s42, v12, v52 src0_sel:BYTE_3 src1_sel:DWORD
	v_mov_b32_e32 v23, 0
	s_andn2_b32 s14, s14, exec_lo
	s_and_b32 s42, s42, exec_lo
	s_or_b32 s14, s14, s42
	s_or_b32 exec_lo, exec_lo, s41
	s_and_saveexec_b32 s41, s14
	s_cbranch_execnz .LBB6_3166
	s_branch .LBB6_3167
.LBB6_3333:                             ;   in Loop: Header=BB6_2703 Depth=2
	s_or_saveexec_b32 s41, s41
	v_mov_b32_e32 v6, 0x7f800001
	s_xor_b32 exec_lo, exec_lo, s41
	s_cbranch_execz .LBB6_3179
.LBB6_3334:                             ;   in Loop: Header=BB6_2703 Depth=2
	v_cmp_ne_u16_sdwa s42, v20, v52 src0_sel:BYTE_0 src1_sel:DWORD
	v_mov_b32_e32 v6, 0
	s_andn2_b32 s14, s14, exec_lo
	s_and_b32 s42, s42, exec_lo
	s_or_b32 s14, s14, s42
	s_or_b32 exec_lo, exec_lo, s41
	s_and_saveexec_b32 s41, s14
	s_cbranch_execnz .LBB6_3180
	s_branch .LBB6_3181
.LBB6_3335:                             ;   in Loop: Header=BB6_2703 Depth=2
	s_or_saveexec_b32 s41, s41
	v_mov_b32_e32 v23, 0x7f800001
	s_xor_b32 exec_lo, exec_lo, s41
	s_cbranch_execz .LBB6_3185
.LBB6_3336:                             ;   in Loop: Header=BB6_2703 Depth=2
	v_cmp_ne_u16_sdwa s42, v13, v52 src0_sel:BYTE_0 src1_sel:DWORD
	v_mov_b32_e32 v23, 0
	s_andn2_b32 s14, s14, exec_lo
	s_and_b32 s42, s42, exec_lo
	s_or_b32 s14, s14, s42
	s_or_b32 exec_lo, exec_lo, s41
	s_and_saveexec_b32 s41, s14
	s_cbranch_execnz .LBB6_3186
	s_branch .LBB6_3187
.LBB6_3337:                             ;   in Loop: Header=BB6_2703 Depth=2
	s_or_saveexec_b32 s41, s41
	v_mov_b32_e32 v23, 0x7f800001
	s_xor_b32 exec_lo, exec_lo, s41
	s_cbranch_execz .LBB6_3199
.LBB6_3338:                             ;   in Loop: Header=BB6_2703 Depth=2
	v_cmp_ne_u16_sdwa s42, v20, v52 src0_sel:BYTE_1 src1_sel:DWORD
	v_mov_b32_e32 v23, 0
	s_andn2_b32 s14, s14, exec_lo
	s_and_b32 s42, s42, exec_lo
	s_or_b32 s14, s14, s42
	s_or_b32 exec_lo, exec_lo, s41
	s_and_saveexec_b32 s41, s14
	s_cbranch_execnz .LBB6_3200
	s_branch .LBB6_3201
.LBB6_3339:                             ;   in Loop: Header=BB6_2703 Depth=2
	s_or_saveexec_b32 s41, s41
	v_mov_b32_e32 v27, 0x7f800001
	s_xor_b32 exec_lo, exec_lo, s41
	s_cbranch_execz .LBB6_3205
.LBB6_3340:                             ;   in Loop: Header=BB6_2703 Depth=2
	v_cmp_ne_u16_sdwa s42, v13, v52 src0_sel:BYTE_1 src1_sel:DWORD
	v_mov_b32_e32 v27, 0
	s_andn2_b32 s14, s14, exec_lo
	s_and_b32 s42, s42, exec_lo
	s_or_b32 s14, s14, s42
	s_or_b32 exec_lo, exec_lo, s41
	s_and_saveexec_b32 s41, s14
	s_cbranch_execnz .LBB6_3206
	s_branch .LBB6_3207
.LBB6_3341:                             ;   in Loop: Header=BB6_2703 Depth=2
	s_or_saveexec_b32 s41, s41
	v_mov_b32_e32 v5, 0x7f800001
	s_xor_b32 exec_lo, exec_lo, s41
	s_cbranch_execz .LBB6_3219
.LBB6_3342:                             ;   in Loop: Header=BB6_2703 Depth=2
	v_cmp_ne_u16_sdwa s42, v8, v52 src0_sel:BYTE_0 src1_sel:DWORD
	v_mov_b32_e32 v5, 0
	s_andn2_b32 s14, s14, exec_lo
	s_and_b32 s42, s42, exec_lo
	s_or_b32 s14, s14, s42
	s_or_b32 exec_lo, exec_lo, s41
	v_lshl_or_b32 v8, v8, 16, v20
	s_and_saveexec_b32 s41, s14
	s_cbranch_execnz .LBB6_3220
	s_branch .LBB6_3221
.LBB6_3343:                             ;   in Loop: Header=BB6_2703 Depth=2
	s_or_saveexec_b32 s41, s41
	v_mov_b32_e32 v20, 0x7f800001
	s_xor_b32 exec_lo, exec_lo, s41
	s_cbranch_execz .LBB6_3225
.LBB6_3344:                             ;   in Loop: Header=BB6_2703 Depth=2
	v_cmp_ne_u16_e32 vcc_lo, 0, v27
	v_mov_b32_e32 v20, 0
	s_andn2_b32 s14, s14, exec_lo
	s_and_b32 s42, vcc_lo, exec_lo
	s_or_b32 s14, s14, s42
	s_or_b32 exec_lo, exec_lo, s41
	s_and_saveexec_b32 s41, s14
	s_cbranch_execnz .LBB6_3226
	s_branch .LBB6_3227
.LBB6_3345:                             ;   in Loop: Header=BB6_2703 Depth=2
	s_or_saveexec_b32 s41, s41
	v_mov_b32_e32 v20, 0x7f800001
	s_xor_b32 exec_lo, exec_lo, s41
	s_cbranch_execz .LBB6_3239
.LBB6_3346:                             ;   in Loop: Header=BB6_2703 Depth=2
	v_cmp_ne_u16_sdwa s42, v8, v52 src0_sel:BYTE_3 src1_sel:DWORD
	v_mov_b32_e32 v20, 0
	s_andn2_b32 s14, s14, exec_lo
	s_and_b32 s42, s42, exec_lo
	s_or_b32 s14, s14, s42
	s_or_b32 exec_lo, exec_lo, s41
	s_and_saveexec_b32 s41, s14
	s_cbranch_execnz .LBB6_3240
	s_branch .LBB6_3241
.LBB6_3347:                             ;   in Loop: Header=BB6_2703 Depth=2
	s_or_saveexec_b32 s41, s41
	v_mov_b32_e32 v8, 0x7f800001
	s_xor_b32 exec_lo, exec_lo, s41
	s_cbranch_execz .LBB6_3245
.LBB6_3348:                             ;   in Loop: Header=BB6_2703 Depth=2
	v_cmp_ne_u16_sdwa s42, v13, v52 src0_sel:BYTE_3 src1_sel:DWORD
	v_mov_b32_e32 v8, 0
	s_andn2_b32 s14, s14, exec_lo
	s_and_b32 s42, s42, exec_lo
	s_or_b32 s14, s14, s42
	s_or_b32 exec_lo, exec_lo, s41
	s_and_saveexec_b32 s41, s14
	s_cbranch_execnz .LBB6_3246
	s_branch .LBB6_3247
.LBB6_3349:                             ;   in Loop: Header=BB6_49 Depth=1
	s_or_b32 exec_lo, exec_lo, s28
.LBB6_3350:                             ;   in Loop: Header=BB6_49 Depth=1
	s_or_b32 exec_lo, exec_lo, s27
	v_cmp_lt_i32_e32 vcc_lo, 0, v2
	v_and_b32_e32 v3, 15, v53
	v_and_b32_e32 v4, 0x1f0, v53
	v_cndmask_b32_e32 v5, 0, v97, vcc_lo
	v_cndmask_b32_e64 v3, v1, v3, s13
	v_cndmask_b32_e64 v1, 0, v4, s13
	v_sub_nc_u32_e32 v4, v5, v2
	v_cmp_ne_u32_e32 vcc_lo, 0, v3
	v_and_or_b32 v2, 0x3ffffe00, v53, v1
	v_lshl_add_u32 v18, v4, 5, v0
	s_and_b32 s13, vcc_lo, exec_lo
.LBB6_3351:                             ;   in Loop: Header=BB6_49 Depth=1
	s_or_b32 exec_lo, exec_lo, s26
	s_and_saveexec_b32 s14, s13
	s_cbranch_execz .LBB6_4696
.LBB6_3352:                             ;   in Loop: Header=BB6_49 Depth=1
	s_waitcnt vmcnt(0)
	v_ashrrev_i32_e32 v0, 31, v18
	v_lshrrev_b32_e32 v1, 10, v3
	s_mov_b32 s26, exec_lo
	v_lshrrev_b32_e32 v0, 27, v0
	v_add_nc_u32_e32 v0, v18, v0
	v_ashrrev_i32_e32 v19, 5, v0
	v_sub_nc_u32_e32 v20, v1, v19
	v_cmpx_lt_i32_e32 0, v20
	s_cbranch_execz .LBB6_4644
; %bb.3353:                             ;   in Loop: Header=BB6_49 Depth=1
	v_and_b32_e32 v4, 0xffffffe0, v0
	s_trap 2
	ds_read_b64 v[0:1], v0
	v_lshlrev_b32_e32 v5, 10, v19
	v_add_co_u32 v6, vcc_lo, 0x3e0, v68
	v_sub_nc_u32_e32 v4, v18, v4
	v_add_co_ci_u32_e64 v7, null, 0, v69, vcc_lo
	s_mov_b32 s27, 0
	v_add3_u32 v4, v2, v4, v5
	v_ashrrev_i32_e32 v5, 31, v4
	v_add_co_u32 v10, vcc_lo, v4, v66
	v_add_co_ci_u32_e64 v11, null, v5, v67, vcc_lo
	s_waitcnt lgkmcnt(0)
	v_add_co_u32 v12, vcc_lo, v0, v4
	v_add_co_ci_u32_e64 v13, null, v1, v5, vcc_lo
	v_add_co_u32 v14, vcc_lo, v6, v4
	v_add_co_ci_u32_e64 v15, null, v7, v5, vcc_lo
	s_branch .LBB6_3357
.LBB6_3354:                             ;   in Loop: Header=BB6_3357 Depth=2
	s_or_b32 exec_lo, exec_lo, s13
	v_lshrrev_b32_e32 v8, 20, v8
	v_cmp_gt_i32_e32 vcc_lo, 16, v0
	v_min_i32_e32 v22, 15, v0
	v_and_b32_sdwa v1, v1, v114 dst_sel:DWORD dst_unused:UNUSED_PAD src0_sel:BYTE_3 src1_sel:DWORD
	v_cndmask_b32_e32 v8, 7, v8, vcc_lo
	v_lshlrev_b32_e32 v22, 3, v22
	v_and_b32_e32 v26, 7, v8
	v_or_b32_e32 v0, v0, v8
	v_or3_b32 v1, v22, v1, v26
	v_cmp_ne_u32_e32 vcc_lo, 0, v0
	v_cndmask_b32_e32 v0, 0, v1, vcc_lo
.LBB6_3355:                             ;   in Loop: Header=BB6_3357 Depth=2
	s_or_b32 exec_lo, exec_lo, s29
.LBB6_3356:                             ;   in Loop: Header=BB6_3357 Depth=2
	s_or_b32 exec_lo, exec_lo, s28
	v_add_co_u32 v83, vcc_lo, 0xfffffc20, v14
	v_add_co_ci_u32_e64 v84, null, -1, v15, vcc_lo
	v_sub_nc_u32_e32 v20, v20, v97
	flat_store_byte v[83:84], v6 glc slc
	v_add_co_u32 v83, vcc_lo, 0xfffffc40, v14
	v_add_co_ci_u32_e64 v84, null, -1, v15, vcc_lo
	v_add_co_u32 v85, vcc_lo, 0xfffffc60, v14
	v_add_co_ci_u32_e64 v86, null, -1, v15, vcc_lo
	v_add_co_u32 v40, vcc_lo, 0xfffffc80, v14
	v_add_co_ci_u32_e64 v41, null, -1, v15, vcc_lo
	v_add_co_u32 v42, vcc_lo, 0xfffffca0, v14
	v_add_co_ci_u32_e64 v43, null, -1, v15, vcc_lo
	v_add_co_u32 v44, vcc_lo, 0xfffffcc0, v14
	v_add_co_ci_u32_e64 v45, null, -1, v15, vcc_lo
	flat_store_byte v[83:84], v21 glc slc
	flat_store_byte v[85:86], v28 glc slc
	flat_store_byte v[40:41], v34 glc slc
	flat_store_byte v[42:43], v51 glc slc
	flat_store_byte v[44:45], v71 glc slc
	v_add_co_u32 v21, vcc_lo, 0xfffffce0, v14
	v_add_co_ci_u32_e64 v22, null, -1, v15, vcc_lo
	v_add_co_u32 v83, vcc_lo, 0xfffffd00, v14
	v_add_co_ci_u32_e64 v84, null, -1, v15, vcc_lo
	v_add_co_u32 v85, vcc_lo, 0xfffffd20, v14
	v_add_co_ci_u32_e64 v86, null, -1, v15, vcc_lo
	v_add_co_u32 v40, vcc_lo, 0xfffffd40, v14
	v_add_co_ci_u32_e64 v41, null, -1, v15, vcc_lo
	v_add_co_u32 v42, vcc_lo, 0xfffffd60, v14
	v_add_co_ci_u32_e64 v43, null, -1, v15, vcc_lo
	flat_store_byte v[21:22], v82 glc slc
	flat_store_byte v[83:84], v81 glc slc
	flat_store_byte v[85:86], v70 glc slc
	flat_store_byte v[40:41], v69 glc slc
	;; [unrolled: 15-line block ×5, first 2 shown]
	flat_store_byte v[34:35], v17 glc slc
	v_add_co_u32 v21, vcc_lo, 0xffffff60, v14
	v_add_co_ci_u32_e64 v22, null, -1, v15, vcc_lo
	v_add_co_u32 v23, vcc_lo, 0xffffff80, v14
	v_add_co_ci_u32_e64 v24, null, -1, v15, vcc_lo
	v_add_co_u32 v25, vcc_lo, 0xffffffa0, v14
	v_add_co_ci_u32_e64 v26, null, -1, v15, vcc_lo
	v_add_co_u32 v27, vcc_lo, 0xffffffc0, v14
	v_add_co_ci_u32_e64 v28, null, -1, v15, vcc_lo
	v_add_co_u32 v29, vcc_lo, 0xffffffe0, v14
	v_add_co_ci_u32_e64 v30, null, -1, v15, vcc_lo
	v_add_co_u32 v10, vcc_lo, v10, v101
	v_add_co_ci_u32_e64 v11, null, 0, v11, vcc_lo
	v_add_co_u32 v12, vcc_lo, v12, v101
	flat_store_byte v[21:22], v16 glc slc
	flat_store_byte v[23:24], v9 glc slc
	;; [unrolled: 1-line block ×6, first 2 shown]
	v_add_co_ci_u32_e64 v13, null, 0, v13, vcc_lo
	v_cmp_gt_i32_e32 vcc_lo, 1, v20
	v_add_co_u32 v14, s13, v14, v101
	v_add_co_ci_u32_e64 v15, null, 0, v15, s13
	s_or_b32 s27, vcc_lo, s27
	s_andn2_b32 exec_lo, exec_lo, s27
	s_cbranch_execz .LBB6_4643
.LBB6_3357:                             ;   Parent Loop BB6_49 Depth=1
                                        ; =>  This Inner Loop Header: Depth=2
	s_trap 2
	ds_read_b64 v[16:17], v0
	s_waitcnt lgkmcnt(0)
	v_readfirstlane_b32 s13, v16
	s_and_b32 s28, s13, 0xff
	s_cmpk_lt_i32 s28, 0x80
	s_cbranch_scc1 .LBB6_3361
; %bb.3358:                             ;   in Loop: Header=BB6_3357 Depth=2
	s_and_b32 s29, 0xffff, s28
	s_cmpk_eq_i32 s29, 0x80
	s_mov_b32 s29, -1
	s_cbranch_scc0 .LBB6_3360
; %bb.3359:                             ;   in Loop: Header=BB6_3357 Depth=2
	s_mov_b32 s29, 0
.LBB6_3360:                             ;   in Loop: Header=BB6_3357 Depth=2
	s_mov_b32 s40, 0x7f800001
	s_branch .LBB6_3363
.LBB6_3361:                             ;   in Loop: Header=BB6_3357 Depth=2
	s_mov_b32 s29, 0
	s_mov_b32 s40, 0x7f800001
	s_cbranch_execz .LBB6_3363
; %bb.3362:                             ;   in Loop: Header=BB6_3357 Depth=2
	s_and_b32 s28, 0xffff, s28
	s_mov_b32 s40, 0
	s_cmp_lg_u32 s28, 0
	s_cselect_b32 s29, -1, 0
.LBB6_3363:                             ;   in Loop: Header=BB6_3357 Depth=2
	v_mov_b32_e32 v0, s40
	s_andn2_b32 vcc_lo, exec_lo, s29
	s_cbranch_vccnz .LBB6_3365
; %bb.3364:                             ;   in Loop: Header=BB6_3357 Depth=2
	s_and_b32 s28, s13, 7
	s_bfe_u32 s40, s13, 0x40003
	s_flbit_i32_b32 s29, s28
	v_lshlrev_b32_e32 v0, 24, v16
	s_min_u32 s29, s29, 32
	s_sub_i32 s41, s29, 28
	s_sub_i32 s29, 29, s29
	s_lshl_b32 s13, s13, s41
	v_and_b32_e32 v0, 0x80000000, v0
	s_and_b32 s13, s13, 7
	s_cmp_eq_u32 s40, 0
	s_cselect_b32 s29, s29, s40
	s_cselect_b32 s13, s13, s28
	s_lshl_b32 s28, s29, 23
	s_lshl_b32 s13, s13, 20
	s_add_i32 s28, s28, 0x3b800000
	v_or_b32_e32 v0, s28, v0
	v_or_b32_e32 v0, s13, v0
.LBB6_3365:                             ;   in Loop: Header=BB6_3357 Depth=2
	flat_load_ubyte v1, v[10:11] slc
	s_mov_b32 s13, 0
	s_mov_b32 s28, exec_lo
	s_waitcnt vmcnt(0) lgkmcnt(0)
	v_cmpx_lt_i16_e32 0x7f, v1
	s_xor_b32 s28, exec_lo, s28
	s_cbranch_execz .LBB6_4451
; %bb.3366:                             ;   in Loop: Header=BB6_3357 Depth=2
	s_mov_b32 s13, -1
	s_mov_b32 s29, exec_lo
	v_cmpx_eq_u16_e32 0x80, v1
; %bb.3367:                             ;   in Loop: Header=BB6_3357 Depth=2
	s_xor_b32 s13, exec_lo, -1
; %bb.3368:                             ;   in Loop: Header=BB6_3357 Depth=2
	s_or_b32 exec_lo, exec_lo, s29
	s_and_b32 s13, s13, exec_lo
	s_or_saveexec_b32 s28, s28
	v_mov_b32_e32 v4, 0x7f800001
	s_xor_b32 exec_lo, exec_lo, s28
	s_cbranch_execnz .LBB6_4452
.LBB6_3369:                             ;   in Loop: Header=BB6_3357 Depth=2
	s_or_b32 exec_lo, exec_lo, s28
	s_and_saveexec_b32 s28, s13
	s_cbranch_execz .LBB6_3371
.LBB6_3370:                             ;   in Loop: Header=BB6_3357 Depth=2
	v_and_b32_e32 v4, 0xffff, v1
	v_lshlrev_b32_e32 v1, 24, v1
	v_and_b32_e32 v5, 7, v4
	v_bfe_u32 v8, v4, 3, 4
	v_and_b32_e32 v1, 0x80000000, v1
	v_ffbh_u32_e32 v6, v5
	v_cmp_eq_u32_e32 vcc_lo, 0, v8
	v_min_u32_e32 v6, 32, v6
	v_subrev_nc_u32_e32 v7, 28, v6
	v_sub_nc_u32_e32 v6, 29, v6
	v_lshlrev_b32_e32 v4, v7, v4
	v_cndmask_b32_e32 v6, v8, v6, vcc_lo
	v_and_b32_e32 v4, 7, v4
	v_cndmask_b32_e32 v4, v5, v4, vcc_lo
	v_lshl_add_u32 v5, v6, 23, 0x3b800000
	v_lshlrev_b32_e32 v4, 20, v4
	v_or3_b32 v4, v1, v5, v4
.LBB6_3371:                             ;   in Loop: Header=BB6_3357 Depth=2
	s_or_b32 exec_lo, exec_lo, s28
	v_mul_f32_e32 v1, v0, v4
	v_mov_b32_e32 v6, 0x80
	s_mov_b32 s28, exec_lo
	v_and_b32_e32 v4, 0x7f800000, v1
	v_cmpx_ne_u32_e32 0x7f800000, v4
	s_cbranch_execz .LBB6_3379
; %bb.3372:                             ;   in Loop: Header=BB6_3357 Depth=2
	v_mov_b32_e32 v6, 0
	s_mov_b32 s29, exec_lo
	v_cmpx_ne_u32_e32 0, v1
	s_cbranch_execz .LBB6_3378
; %bb.3373:                             ;   in Loop: Header=BB6_3357 Depth=2
	v_bfe_u32 v4, v1, 23, 8
	v_and_b32_e32 v5, 0x7fffff, v1
	v_sub_nc_u32_e32 v6, 0x78, v4
	v_cmp_gt_u32_e32 vcc_lo, 0x79, v4
	v_or_b32_e32 v7, 0x800000, v5
	v_cndmask_b32_e32 v6, 0, v6, vcc_lo
	v_cmp_eq_u32_e32 vcc_lo, 0, v4
	v_add_nc_u32_e32 v4, 0xffffff89, v4
	v_cndmask_b32_e64 v6, v6, 0x77, vcc_lo
	v_cndmask_b32_e32 v5, v7, v5, vcc_lo
	v_cndmask_b32_e64 v4, v4, 0xffffff8a, vcc_lo
	v_lshl_add_u32 v7, 0x100000, v6, -1
	v_lshrrev_b32_e32 v8, v6, v5
	v_lshlrev_b32_e64 v16, v6, 0x80000
	v_add_nc_u32_e32 v6, v6, v4
	v_and_b32_e32 v5, v7, v5
	v_bfe_u32 v9, v8, 20, 1
	v_cmp_eq_u32_e64 s13, v5, v16
	v_add_nc_u32_e32 v7, -1, v9
	v_cndmask_b32_e64 v5, 0, v7, s13
	v_lshrrev_b32_e32 v7, 23, v8
	s_mov_b32 s13, exec_lo
	v_add_nc_u32_e32 v5, v5, v8
	v_xor_b32_e32 v7, 1, v7
	v_and_b32_e32 v4, 0xfffff, v5
	v_add_nc_u32_e32 v5, v4, v8
                                        ; implicit-def: $vgpr4
	v_cmpx_ne_u32_e64 v6, v7
	s_xor_b32 s13, exec_lo, s13
; %bb.3374:                             ;   in Loop: Header=BB6_3357 Depth=2
	v_cmp_lt_u32_e32 vcc_lo, 0xffffff, v5
	v_sub_nc_u32_e32 v4, v6, v7
	v_cndmask_b32_e64 v6, 0, 1, vcc_lo
	v_add_co_ci_u32_e64 v4, null, 0, v4, vcc_lo
	v_lshrrev_b32_e32 v5, v6, v5
; %bb.3375:                             ;   in Loop: Header=BB6_3357 Depth=2
	s_andn2_saveexec_b32 s13, s13
; %bb.3376:                             ;   in Loop: Header=BB6_3357 Depth=2
	v_bfe_u32 v4, v5, 23, 1
; %bb.3377:                             ;   in Loop: Header=BB6_3357 Depth=2
	s_or_b32 exec_lo, exec_lo, s13
	v_lshrrev_b32_e32 v5, 20, v5
	v_cmp_gt_i32_e32 vcc_lo, 16, v4
	v_min_i32_e32 v6, 15, v4
	v_and_b32_sdwa v1, v1, v114 dst_sel:DWORD dst_unused:UNUSED_PAD src0_sel:BYTE_3 src1_sel:DWORD
	v_cndmask_b32_e32 v5, 7, v5, vcc_lo
	v_lshlrev_b32_e32 v6, 3, v6
	v_and_b32_e32 v7, 7, v5
	v_or_b32_e32 v4, v4, v5
	v_or3_b32 v1, v6, v1, v7
	v_cmp_ne_u32_e32 vcc_lo, 0, v4
	v_cndmask_b32_e32 v6, 0, v1, vcc_lo
.LBB6_3378:                             ;   in Loop: Header=BB6_3357 Depth=2
	s_or_b32 exec_lo, exec_lo, s29
.LBB6_3379:                             ;   in Loop: Header=BB6_3357 Depth=2
	s_or_b32 exec_lo, exec_lo, s28
	flat_load_ubyte v1, v[10:11] offset:32 slc
	s_mov_b32 s13, 0
	s_mov_b32 s28, exec_lo
	s_waitcnt vmcnt(0) lgkmcnt(0)
	v_cmpx_lt_i16_e32 0x7f, v1
	s_xor_b32 s28, exec_lo, s28
	s_cbranch_execz .LBB6_4453
; %bb.3380:                             ;   in Loop: Header=BB6_3357 Depth=2
	s_mov_b32 s13, -1
	s_mov_b32 s29, exec_lo
	v_cmpx_eq_u16_e32 0x80, v1
; %bb.3381:                             ;   in Loop: Header=BB6_3357 Depth=2
	s_xor_b32 s13, exec_lo, -1
; %bb.3382:                             ;   in Loop: Header=BB6_3357 Depth=2
	s_or_b32 exec_lo, exec_lo, s29
	s_and_b32 s13, s13, exec_lo
	s_or_saveexec_b32 s28, s28
	v_mov_b32_e32 v4, 0x7f800001
	s_xor_b32 exec_lo, exec_lo, s28
	s_cbranch_execnz .LBB6_4454
.LBB6_3383:                             ;   in Loop: Header=BB6_3357 Depth=2
	s_or_b32 exec_lo, exec_lo, s28
	s_and_saveexec_b32 s28, s13
	s_cbranch_execz .LBB6_3385
.LBB6_3384:                             ;   in Loop: Header=BB6_3357 Depth=2
	v_and_b32_e32 v4, 0xffff, v1
	v_lshlrev_b32_e32 v1, 24, v1
	v_and_b32_e32 v5, 7, v4
	v_bfe_u32 v9, v4, 3, 4
	v_and_b32_e32 v1, 0x80000000, v1
	v_ffbh_u32_e32 v7, v5
	v_cmp_eq_u32_e32 vcc_lo, 0, v9
	v_min_u32_e32 v7, 32, v7
	v_subrev_nc_u32_e32 v8, 28, v7
	v_sub_nc_u32_e32 v7, 29, v7
	v_lshlrev_b32_e32 v4, v8, v4
	v_cndmask_b32_e32 v7, v9, v7, vcc_lo
	v_and_b32_e32 v4, 7, v4
	v_cndmask_b32_e32 v4, v5, v4, vcc_lo
	v_lshl_add_u32 v5, v7, 23, 0x3b800000
	v_lshlrev_b32_e32 v4, 20, v4
	v_or3_b32 v4, v1, v5, v4
.LBB6_3385:                             ;   in Loop: Header=BB6_3357 Depth=2
	s_or_b32 exec_lo, exec_lo, s28
	v_mul_f32_e32 v1, v0, v4
	v_mov_b32_e32 v21, 0x80
	s_mov_b32 s28, exec_lo
	v_and_b32_e32 v4, 0x7f800000, v1
	v_cmpx_ne_u32_e32 0x7f800000, v4
	s_cbranch_execz .LBB6_3393
; %bb.3386:                             ;   in Loop: Header=BB6_3357 Depth=2
	v_mov_b32_e32 v21, 0
	s_mov_b32 s29, exec_lo
	v_cmpx_ne_u32_e32 0, v1
	s_cbranch_execz .LBB6_3392
; %bb.3387:                             ;   in Loop: Header=BB6_3357 Depth=2
	v_bfe_u32 v4, v1, 23, 8
	v_and_b32_e32 v5, 0x7fffff, v1
	v_sub_nc_u32_e32 v7, 0x78, v4
	v_cmp_gt_u32_e32 vcc_lo, 0x79, v4
	v_or_b32_e32 v8, 0x800000, v5
	v_cndmask_b32_e32 v7, 0, v7, vcc_lo
	v_cmp_eq_u32_e32 vcc_lo, 0, v4
	v_add_nc_u32_e32 v4, 0xffffff89, v4
	v_cndmask_b32_e64 v7, v7, 0x77, vcc_lo
	v_cndmask_b32_e32 v5, v8, v5, vcc_lo
	v_cndmask_b32_e64 v4, v4, 0xffffff8a, vcc_lo
	v_lshl_add_u32 v8, 0x100000, v7, -1
	v_lshrrev_b32_e32 v9, v7, v5
	v_lshlrev_b32_e64 v17, v7, 0x80000
	v_add_nc_u32_e32 v7, v7, v4
	v_and_b32_e32 v5, v8, v5
	v_bfe_u32 v16, v9, 20, 1
	v_cmp_eq_u32_e64 s13, v5, v17
	v_add_nc_u32_e32 v8, -1, v16
	v_cndmask_b32_e64 v5, 0, v8, s13
	v_lshrrev_b32_e32 v8, 23, v9
	s_mov_b32 s13, exec_lo
	v_add_nc_u32_e32 v5, v5, v9
	v_xor_b32_e32 v8, 1, v8
	v_and_b32_e32 v4, 0xfffff, v5
	v_add_nc_u32_e32 v5, v4, v9
                                        ; implicit-def: $vgpr4
	v_cmpx_ne_u32_e64 v7, v8
	s_xor_b32 s13, exec_lo, s13
; %bb.3388:                             ;   in Loop: Header=BB6_3357 Depth=2
	v_cmp_lt_u32_e32 vcc_lo, 0xffffff, v5
	v_sub_nc_u32_e32 v4, v7, v8
	v_cndmask_b32_e64 v7, 0, 1, vcc_lo
	v_add_co_ci_u32_e64 v4, null, 0, v4, vcc_lo
	v_lshrrev_b32_e32 v5, v7, v5
; %bb.3389:                             ;   in Loop: Header=BB6_3357 Depth=2
	s_andn2_saveexec_b32 s13, s13
; %bb.3390:                             ;   in Loop: Header=BB6_3357 Depth=2
	v_bfe_u32 v4, v5, 23, 1
; %bb.3391:                             ;   in Loop: Header=BB6_3357 Depth=2
	s_or_b32 exec_lo, exec_lo, s13
	v_lshrrev_b32_e32 v5, 20, v5
	v_cmp_gt_i32_e32 vcc_lo, 16, v4
	v_min_i32_e32 v7, 15, v4
	v_and_b32_sdwa v1, v1, v114 dst_sel:DWORD dst_unused:UNUSED_PAD src0_sel:BYTE_3 src1_sel:DWORD
	v_cndmask_b32_e32 v5, 7, v5, vcc_lo
	v_lshlrev_b32_e32 v7, 3, v7
	v_and_b32_e32 v8, 7, v5
	v_or_b32_e32 v4, v4, v5
	v_or3_b32 v1, v7, v1, v8
	v_cmp_ne_u32_e32 vcc_lo, 0, v4
	v_cndmask_b32_e32 v21, 0, v1, vcc_lo
.LBB6_3392:                             ;   in Loop: Header=BB6_3357 Depth=2
	s_or_b32 exec_lo, exec_lo, s29
.LBB6_3393:                             ;   in Loop: Header=BB6_3357 Depth=2
	s_or_b32 exec_lo, exec_lo, s28
	flat_load_ubyte v1, v[10:11] offset:64 slc
	s_mov_b32 s13, 0
	s_mov_b32 s28, exec_lo
	s_waitcnt vmcnt(0) lgkmcnt(0)
	v_cmpx_lt_i16_e32 0x7f, v1
	s_xor_b32 s28, exec_lo, s28
	s_cbranch_execz .LBB6_4455
; %bb.3394:                             ;   in Loop: Header=BB6_3357 Depth=2
	s_mov_b32 s13, -1
	s_mov_b32 s29, exec_lo
	v_cmpx_eq_u16_e32 0x80, v1
; %bb.3395:                             ;   in Loop: Header=BB6_3357 Depth=2
	s_xor_b32 s13, exec_lo, -1
; %bb.3396:                             ;   in Loop: Header=BB6_3357 Depth=2
	s_or_b32 exec_lo, exec_lo, s29
	s_and_b32 s13, s13, exec_lo
	s_or_saveexec_b32 s28, s28
	v_mov_b32_e32 v4, 0x7f800001
	s_xor_b32 exec_lo, exec_lo, s28
	s_cbranch_execnz .LBB6_4456
.LBB6_3397:                             ;   in Loop: Header=BB6_3357 Depth=2
	s_or_b32 exec_lo, exec_lo, s28
	s_and_saveexec_b32 s28, s13
	s_cbranch_execz .LBB6_3399
.LBB6_3398:                             ;   in Loop: Header=BB6_3357 Depth=2
	v_and_b32_e32 v4, 0xffff, v1
	v_lshlrev_b32_e32 v1, 24, v1
	v_and_b32_e32 v5, 7, v4
	v_bfe_u32 v9, v4, 3, 4
	v_and_b32_e32 v1, 0x80000000, v1
	v_ffbh_u32_e32 v7, v5
	v_cmp_eq_u32_e32 vcc_lo, 0, v9
	v_min_u32_e32 v7, 32, v7
	v_subrev_nc_u32_e32 v8, 28, v7
	v_sub_nc_u32_e32 v7, 29, v7
	v_lshlrev_b32_e32 v4, v8, v4
	v_cndmask_b32_e32 v7, v9, v7, vcc_lo
	v_and_b32_e32 v4, 7, v4
	v_cndmask_b32_e32 v4, v5, v4, vcc_lo
	v_lshl_add_u32 v5, v7, 23, 0x3b800000
	v_lshlrev_b32_e32 v4, 20, v4
	v_or3_b32 v4, v1, v5, v4
.LBB6_3399:                             ;   in Loop: Header=BB6_3357 Depth=2
	s_or_b32 exec_lo, exec_lo, s28
	v_mul_f32_e32 v1, v0, v4
	v_mov_b32_e32 v28, 0x80
	s_mov_b32 s28, exec_lo
	v_and_b32_e32 v4, 0x7f800000, v1
	v_cmpx_ne_u32_e32 0x7f800000, v4
	s_cbranch_execz .LBB6_3407
; %bb.3400:                             ;   in Loop: Header=BB6_3357 Depth=2
	v_mov_b32_e32 v28, 0
	s_mov_b32 s29, exec_lo
	v_cmpx_ne_u32_e32 0, v1
	s_cbranch_execz .LBB6_3406
; %bb.3401:                             ;   in Loop: Header=BB6_3357 Depth=2
	v_bfe_u32 v4, v1, 23, 8
	v_and_b32_e32 v5, 0x7fffff, v1
	v_sub_nc_u32_e32 v7, 0x78, v4
	v_cmp_gt_u32_e32 vcc_lo, 0x79, v4
	v_or_b32_e32 v8, 0x800000, v5
	v_cndmask_b32_e32 v7, 0, v7, vcc_lo
	v_cmp_eq_u32_e32 vcc_lo, 0, v4
	v_add_nc_u32_e32 v4, 0xffffff89, v4
	v_cndmask_b32_e64 v7, v7, 0x77, vcc_lo
	v_cndmask_b32_e32 v5, v8, v5, vcc_lo
	v_cndmask_b32_e64 v4, v4, 0xffffff8a, vcc_lo
	v_lshl_add_u32 v8, 0x100000, v7, -1
	v_lshrrev_b32_e32 v9, v7, v5
	v_lshlrev_b32_e64 v17, v7, 0x80000
	v_add_nc_u32_e32 v7, v7, v4
	v_and_b32_e32 v5, v8, v5
	v_bfe_u32 v16, v9, 20, 1
	v_cmp_eq_u32_e64 s13, v5, v17
	v_add_nc_u32_e32 v8, -1, v16
	v_cndmask_b32_e64 v5, 0, v8, s13
	v_lshrrev_b32_e32 v8, 23, v9
	s_mov_b32 s13, exec_lo
	v_add_nc_u32_e32 v5, v5, v9
	v_xor_b32_e32 v8, 1, v8
	v_and_b32_e32 v4, 0xfffff, v5
	v_add_nc_u32_e32 v5, v4, v9
                                        ; implicit-def: $vgpr4
	v_cmpx_ne_u32_e64 v7, v8
	s_xor_b32 s13, exec_lo, s13
; %bb.3402:                             ;   in Loop: Header=BB6_3357 Depth=2
	v_cmp_lt_u32_e32 vcc_lo, 0xffffff, v5
	v_sub_nc_u32_e32 v4, v7, v8
	v_cndmask_b32_e64 v7, 0, 1, vcc_lo
	v_add_co_ci_u32_e64 v4, null, 0, v4, vcc_lo
	v_lshrrev_b32_e32 v5, v7, v5
; %bb.3403:                             ;   in Loop: Header=BB6_3357 Depth=2
	s_andn2_saveexec_b32 s13, s13
; %bb.3404:                             ;   in Loop: Header=BB6_3357 Depth=2
	v_bfe_u32 v4, v5, 23, 1
; %bb.3405:                             ;   in Loop: Header=BB6_3357 Depth=2
	s_or_b32 exec_lo, exec_lo, s13
	v_lshrrev_b32_e32 v5, 20, v5
	v_cmp_gt_i32_e32 vcc_lo, 16, v4
	v_min_i32_e32 v7, 15, v4
	v_and_b32_sdwa v1, v1, v114 dst_sel:DWORD dst_unused:UNUSED_PAD src0_sel:BYTE_3 src1_sel:DWORD
	v_cndmask_b32_e32 v5, 7, v5, vcc_lo
	v_lshlrev_b32_e32 v7, 3, v7
	v_and_b32_e32 v8, 7, v5
	v_or_b32_e32 v4, v4, v5
	v_or3_b32 v1, v7, v1, v8
	v_cmp_ne_u32_e32 vcc_lo, 0, v4
	v_cndmask_b32_e32 v28, 0, v1, vcc_lo
.LBB6_3406:                             ;   in Loop: Header=BB6_3357 Depth=2
	s_or_b32 exec_lo, exec_lo, s29
.LBB6_3407:                             ;   in Loop: Header=BB6_3357 Depth=2
	s_or_b32 exec_lo, exec_lo, s28
	flat_load_ubyte v1, v[10:11] offset:96 slc
	s_mov_b32 s13, 0
	s_mov_b32 s28, exec_lo
	s_waitcnt vmcnt(0) lgkmcnt(0)
	v_cmpx_lt_i16_e32 0x7f, v1
	s_xor_b32 s28, exec_lo, s28
	s_cbranch_execz .LBB6_4457
; %bb.3408:                             ;   in Loop: Header=BB6_3357 Depth=2
	s_mov_b32 s13, -1
	s_mov_b32 s29, exec_lo
	v_cmpx_eq_u16_e32 0x80, v1
; %bb.3409:                             ;   in Loop: Header=BB6_3357 Depth=2
	s_xor_b32 s13, exec_lo, -1
; %bb.3410:                             ;   in Loop: Header=BB6_3357 Depth=2
	s_or_b32 exec_lo, exec_lo, s29
	s_and_b32 s13, s13, exec_lo
	s_or_saveexec_b32 s28, s28
	v_mov_b32_e32 v4, 0x7f800001
	s_xor_b32 exec_lo, exec_lo, s28
	s_cbranch_execnz .LBB6_4458
.LBB6_3411:                             ;   in Loop: Header=BB6_3357 Depth=2
	s_or_b32 exec_lo, exec_lo, s28
	s_and_saveexec_b32 s28, s13
	s_cbranch_execz .LBB6_3413
.LBB6_3412:                             ;   in Loop: Header=BB6_3357 Depth=2
	v_and_b32_e32 v4, 0xffff, v1
	v_lshlrev_b32_e32 v1, 24, v1
	v_and_b32_e32 v5, 7, v4
	v_bfe_u32 v9, v4, 3, 4
	v_and_b32_e32 v1, 0x80000000, v1
	v_ffbh_u32_e32 v7, v5
	v_cmp_eq_u32_e32 vcc_lo, 0, v9
	v_min_u32_e32 v7, 32, v7
	v_subrev_nc_u32_e32 v8, 28, v7
	v_sub_nc_u32_e32 v7, 29, v7
	v_lshlrev_b32_e32 v4, v8, v4
	v_cndmask_b32_e32 v7, v9, v7, vcc_lo
	v_and_b32_e32 v4, 7, v4
	v_cndmask_b32_e32 v4, v5, v4, vcc_lo
	v_lshl_add_u32 v5, v7, 23, 0x3b800000
	v_lshlrev_b32_e32 v4, 20, v4
	v_or3_b32 v4, v1, v5, v4
.LBB6_3413:                             ;   in Loop: Header=BB6_3357 Depth=2
	s_or_b32 exec_lo, exec_lo, s28
	v_mul_f32_e32 v1, v0, v4
	v_mov_b32_e32 v34, 0x80
	s_mov_b32 s28, exec_lo
	v_and_b32_e32 v4, 0x7f800000, v1
	v_cmpx_ne_u32_e32 0x7f800000, v4
	s_cbranch_execz .LBB6_3421
; %bb.3414:                             ;   in Loop: Header=BB6_3357 Depth=2
	v_mov_b32_e32 v34, 0
	s_mov_b32 s29, exec_lo
	v_cmpx_ne_u32_e32 0, v1
	s_cbranch_execz .LBB6_3420
; %bb.3415:                             ;   in Loop: Header=BB6_3357 Depth=2
	v_bfe_u32 v4, v1, 23, 8
	v_and_b32_e32 v5, 0x7fffff, v1
	v_sub_nc_u32_e32 v7, 0x78, v4
	v_cmp_gt_u32_e32 vcc_lo, 0x79, v4
	v_or_b32_e32 v8, 0x800000, v5
	v_cndmask_b32_e32 v7, 0, v7, vcc_lo
	v_cmp_eq_u32_e32 vcc_lo, 0, v4
	v_add_nc_u32_e32 v4, 0xffffff89, v4
	v_cndmask_b32_e64 v7, v7, 0x77, vcc_lo
	v_cndmask_b32_e32 v5, v8, v5, vcc_lo
	v_cndmask_b32_e64 v4, v4, 0xffffff8a, vcc_lo
	v_lshl_add_u32 v8, 0x100000, v7, -1
	v_lshrrev_b32_e32 v9, v7, v5
	v_lshlrev_b32_e64 v17, v7, 0x80000
	v_add_nc_u32_e32 v7, v7, v4
	v_and_b32_e32 v5, v8, v5
	v_bfe_u32 v16, v9, 20, 1
	v_cmp_eq_u32_e64 s13, v5, v17
	v_add_nc_u32_e32 v8, -1, v16
	v_cndmask_b32_e64 v5, 0, v8, s13
	v_lshrrev_b32_e32 v8, 23, v9
	s_mov_b32 s13, exec_lo
	v_add_nc_u32_e32 v5, v5, v9
	v_xor_b32_e32 v8, 1, v8
	v_and_b32_e32 v4, 0xfffff, v5
	v_add_nc_u32_e32 v5, v4, v9
                                        ; implicit-def: $vgpr4
	v_cmpx_ne_u32_e64 v7, v8
	s_xor_b32 s13, exec_lo, s13
; %bb.3416:                             ;   in Loop: Header=BB6_3357 Depth=2
	v_cmp_lt_u32_e32 vcc_lo, 0xffffff, v5
	v_sub_nc_u32_e32 v4, v7, v8
	v_cndmask_b32_e64 v7, 0, 1, vcc_lo
	v_add_co_ci_u32_e64 v4, null, 0, v4, vcc_lo
	v_lshrrev_b32_e32 v5, v7, v5
; %bb.3417:                             ;   in Loop: Header=BB6_3357 Depth=2
	s_andn2_saveexec_b32 s13, s13
; %bb.3418:                             ;   in Loop: Header=BB6_3357 Depth=2
	v_bfe_u32 v4, v5, 23, 1
; %bb.3419:                             ;   in Loop: Header=BB6_3357 Depth=2
	s_or_b32 exec_lo, exec_lo, s13
	v_lshrrev_b32_e32 v5, 20, v5
	v_cmp_gt_i32_e32 vcc_lo, 16, v4
	v_min_i32_e32 v7, 15, v4
	v_and_b32_sdwa v1, v1, v114 dst_sel:DWORD dst_unused:UNUSED_PAD src0_sel:BYTE_3 src1_sel:DWORD
	v_cndmask_b32_e32 v5, 7, v5, vcc_lo
	v_lshlrev_b32_e32 v7, 3, v7
	v_and_b32_e32 v8, 7, v5
	v_or_b32_e32 v4, v4, v5
	v_or3_b32 v1, v7, v1, v8
	v_cmp_ne_u32_e32 vcc_lo, 0, v4
	v_cndmask_b32_e32 v34, 0, v1, vcc_lo
.LBB6_3420:                             ;   in Loop: Header=BB6_3357 Depth=2
	s_or_b32 exec_lo, exec_lo, s29
.LBB6_3421:                             ;   in Loop: Header=BB6_3357 Depth=2
	s_or_b32 exec_lo, exec_lo, s28
	flat_load_ubyte v1, v[10:11] offset:128 slc
	s_mov_b32 s13, 0
	s_mov_b32 s28, exec_lo
	s_waitcnt vmcnt(0) lgkmcnt(0)
	v_cmpx_lt_i16_e32 0x7f, v1
	s_xor_b32 s28, exec_lo, s28
	s_cbranch_execz .LBB6_4459
; %bb.3422:                             ;   in Loop: Header=BB6_3357 Depth=2
	s_mov_b32 s13, -1
	s_mov_b32 s29, exec_lo
	v_cmpx_eq_u16_e32 0x80, v1
; %bb.3423:                             ;   in Loop: Header=BB6_3357 Depth=2
	s_xor_b32 s13, exec_lo, -1
; %bb.3424:                             ;   in Loop: Header=BB6_3357 Depth=2
	s_or_b32 exec_lo, exec_lo, s29
	s_and_b32 s13, s13, exec_lo
	s_or_saveexec_b32 s28, s28
	v_mov_b32_e32 v4, 0x7f800001
	s_xor_b32 exec_lo, exec_lo, s28
	s_cbranch_execnz .LBB6_4460
.LBB6_3425:                             ;   in Loop: Header=BB6_3357 Depth=2
	s_or_b32 exec_lo, exec_lo, s28
	s_and_saveexec_b32 s28, s13
	s_cbranch_execz .LBB6_3427
.LBB6_3426:                             ;   in Loop: Header=BB6_3357 Depth=2
	v_and_b32_e32 v4, 0xffff, v1
	v_lshlrev_b32_e32 v1, 24, v1
	v_and_b32_e32 v5, 7, v4
	v_bfe_u32 v9, v4, 3, 4
	v_and_b32_e32 v1, 0x80000000, v1
	v_ffbh_u32_e32 v7, v5
	v_cmp_eq_u32_e32 vcc_lo, 0, v9
	v_min_u32_e32 v7, 32, v7
	v_subrev_nc_u32_e32 v8, 28, v7
	v_sub_nc_u32_e32 v7, 29, v7
	v_lshlrev_b32_e32 v4, v8, v4
	v_cndmask_b32_e32 v7, v9, v7, vcc_lo
	v_and_b32_e32 v4, 7, v4
	v_cndmask_b32_e32 v4, v5, v4, vcc_lo
	v_lshl_add_u32 v5, v7, 23, 0x3b800000
	v_lshlrev_b32_e32 v4, 20, v4
	v_or3_b32 v4, v1, v5, v4
.LBB6_3427:                             ;   in Loop: Header=BB6_3357 Depth=2
	s_or_b32 exec_lo, exec_lo, s28
	v_mul_f32_e32 v1, v0, v4
	v_mov_b32_e32 v51, 0x80
	s_mov_b32 s28, exec_lo
	v_and_b32_e32 v4, 0x7f800000, v1
	v_cmpx_ne_u32_e32 0x7f800000, v4
	s_cbranch_execz .LBB6_3435
; %bb.3428:                             ;   in Loop: Header=BB6_3357 Depth=2
	v_mov_b32_e32 v51, 0
	s_mov_b32 s29, exec_lo
	v_cmpx_ne_u32_e32 0, v1
	s_cbranch_execz .LBB6_3434
; %bb.3429:                             ;   in Loop: Header=BB6_3357 Depth=2
	v_bfe_u32 v4, v1, 23, 8
	v_and_b32_e32 v5, 0x7fffff, v1
	v_sub_nc_u32_e32 v7, 0x78, v4
	v_cmp_gt_u32_e32 vcc_lo, 0x79, v4
	v_or_b32_e32 v8, 0x800000, v5
	v_cndmask_b32_e32 v7, 0, v7, vcc_lo
	v_cmp_eq_u32_e32 vcc_lo, 0, v4
	v_add_nc_u32_e32 v4, 0xffffff89, v4
	v_cndmask_b32_e64 v7, v7, 0x77, vcc_lo
	v_cndmask_b32_e32 v5, v8, v5, vcc_lo
	v_cndmask_b32_e64 v4, v4, 0xffffff8a, vcc_lo
	v_lshl_add_u32 v8, 0x100000, v7, -1
	v_lshrrev_b32_e32 v9, v7, v5
	v_lshlrev_b32_e64 v17, v7, 0x80000
	v_add_nc_u32_e32 v7, v7, v4
	v_and_b32_e32 v5, v8, v5
	v_bfe_u32 v16, v9, 20, 1
	v_cmp_eq_u32_e64 s13, v5, v17
	v_add_nc_u32_e32 v8, -1, v16
	v_cndmask_b32_e64 v5, 0, v8, s13
	v_lshrrev_b32_e32 v8, 23, v9
	s_mov_b32 s13, exec_lo
	v_add_nc_u32_e32 v5, v5, v9
	v_xor_b32_e32 v8, 1, v8
	v_and_b32_e32 v4, 0xfffff, v5
	v_add_nc_u32_e32 v5, v4, v9
                                        ; implicit-def: $vgpr4
	v_cmpx_ne_u32_e64 v7, v8
	s_xor_b32 s13, exec_lo, s13
; %bb.3430:                             ;   in Loop: Header=BB6_3357 Depth=2
	v_cmp_lt_u32_e32 vcc_lo, 0xffffff, v5
	v_sub_nc_u32_e32 v4, v7, v8
	v_cndmask_b32_e64 v7, 0, 1, vcc_lo
	v_add_co_ci_u32_e64 v4, null, 0, v4, vcc_lo
	v_lshrrev_b32_e32 v5, v7, v5
; %bb.3431:                             ;   in Loop: Header=BB6_3357 Depth=2
	s_andn2_saveexec_b32 s13, s13
; %bb.3432:                             ;   in Loop: Header=BB6_3357 Depth=2
	v_bfe_u32 v4, v5, 23, 1
; %bb.3433:                             ;   in Loop: Header=BB6_3357 Depth=2
	s_or_b32 exec_lo, exec_lo, s13
	v_lshrrev_b32_e32 v5, 20, v5
	v_cmp_gt_i32_e32 vcc_lo, 16, v4
	v_min_i32_e32 v7, 15, v4
	v_and_b32_sdwa v1, v1, v114 dst_sel:DWORD dst_unused:UNUSED_PAD src0_sel:BYTE_3 src1_sel:DWORD
	v_cndmask_b32_e32 v5, 7, v5, vcc_lo
	v_lshlrev_b32_e32 v7, 3, v7
	v_and_b32_e32 v8, 7, v5
	v_or_b32_e32 v4, v4, v5
	v_or3_b32 v1, v7, v1, v8
	v_cmp_ne_u32_e32 vcc_lo, 0, v4
	v_cndmask_b32_e32 v51, 0, v1, vcc_lo
.LBB6_3434:                             ;   in Loop: Header=BB6_3357 Depth=2
	s_or_b32 exec_lo, exec_lo, s29
.LBB6_3435:                             ;   in Loop: Header=BB6_3357 Depth=2
	s_or_b32 exec_lo, exec_lo, s28
	flat_load_ubyte v1, v[10:11] offset:160 slc
	s_mov_b32 s13, 0
	s_mov_b32 s28, exec_lo
	s_waitcnt vmcnt(0) lgkmcnt(0)
	v_cmpx_lt_i16_e32 0x7f, v1
	s_xor_b32 s28, exec_lo, s28
	s_cbranch_execz .LBB6_4461
; %bb.3436:                             ;   in Loop: Header=BB6_3357 Depth=2
	s_mov_b32 s13, -1
	s_mov_b32 s29, exec_lo
	v_cmpx_eq_u16_e32 0x80, v1
; %bb.3437:                             ;   in Loop: Header=BB6_3357 Depth=2
	s_xor_b32 s13, exec_lo, -1
; %bb.3438:                             ;   in Loop: Header=BB6_3357 Depth=2
	s_or_b32 exec_lo, exec_lo, s29
	s_and_b32 s13, s13, exec_lo
	s_or_saveexec_b32 s28, s28
	v_mov_b32_e32 v4, 0x7f800001
	s_xor_b32 exec_lo, exec_lo, s28
	s_cbranch_execnz .LBB6_4462
.LBB6_3439:                             ;   in Loop: Header=BB6_3357 Depth=2
	s_or_b32 exec_lo, exec_lo, s28
	s_and_saveexec_b32 s28, s13
	s_cbranch_execz .LBB6_3441
.LBB6_3440:                             ;   in Loop: Header=BB6_3357 Depth=2
	v_and_b32_e32 v4, 0xffff, v1
	v_lshlrev_b32_e32 v1, 24, v1
	v_and_b32_e32 v5, 7, v4
	v_bfe_u32 v9, v4, 3, 4
	v_and_b32_e32 v1, 0x80000000, v1
	v_ffbh_u32_e32 v7, v5
	v_cmp_eq_u32_e32 vcc_lo, 0, v9
	v_min_u32_e32 v7, 32, v7
	v_subrev_nc_u32_e32 v8, 28, v7
	v_sub_nc_u32_e32 v7, 29, v7
	v_lshlrev_b32_e32 v4, v8, v4
	v_cndmask_b32_e32 v7, v9, v7, vcc_lo
	v_and_b32_e32 v4, 7, v4
	v_cndmask_b32_e32 v4, v5, v4, vcc_lo
	v_lshl_add_u32 v5, v7, 23, 0x3b800000
	v_lshlrev_b32_e32 v4, 20, v4
	v_or3_b32 v4, v1, v5, v4
.LBB6_3441:                             ;   in Loop: Header=BB6_3357 Depth=2
	s_or_b32 exec_lo, exec_lo, s28
	v_mul_f32_e32 v1, v0, v4
	v_mov_b32_e32 v71, 0x80
	s_mov_b32 s28, exec_lo
	v_and_b32_e32 v4, 0x7f800000, v1
	v_cmpx_ne_u32_e32 0x7f800000, v4
	s_cbranch_execz .LBB6_3449
; %bb.3442:                             ;   in Loop: Header=BB6_3357 Depth=2
	v_mov_b32_e32 v71, 0
	s_mov_b32 s29, exec_lo
	v_cmpx_ne_u32_e32 0, v1
	s_cbranch_execz .LBB6_3448
; %bb.3443:                             ;   in Loop: Header=BB6_3357 Depth=2
	v_bfe_u32 v4, v1, 23, 8
	v_and_b32_e32 v5, 0x7fffff, v1
	v_sub_nc_u32_e32 v7, 0x78, v4
	v_cmp_gt_u32_e32 vcc_lo, 0x79, v4
	v_or_b32_e32 v8, 0x800000, v5
	v_cndmask_b32_e32 v7, 0, v7, vcc_lo
	v_cmp_eq_u32_e32 vcc_lo, 0, v4
	v_add_nc_u32_e32 v4, 0xffffff89, v4
	v_cndmask_b32_e64 v7, v7, 0x77, vcc_lo
	v_cndmask_b32_e32 v5, v8, v5, vcc_lo
	v_cndmask_b32_e64 v4, v4, 0xffffff8a, vcc_lo
	v_lshl_add_u32 v8, 0x100000, v7, -1
	v_lshrrev_b32_e32 v9, v7, v5
	v_lshlrev_b32_e64 v17, v7, 0x80000
	v_add_nc_u32_e32 v7, v7, v4
	v_and_b32_e32 v5, v8, v5
	v_bfe_u32 v16, v9, 20, 1
	v_cmp_eq_u32_e64 s13, v5, v17
	v_add_nc_u32_e32 v8, -1, v16
	v_cndmask_b32_e64 v5, 0, v8, s13
	v_lshrrev_b32_e32 v8, 23, v9
	s_mov_b32 s13, exec_lo
	v_add_nc_u32_e32 v5, v5, v9
	v_xor_b32_e32 v8, 1, v8
	v_and_b32_e32 v4, 0xfffff, v5
	v_add_nc_u32_e32 v5, v4, v9
                                        ; implicit-def: $vgpr4
	v_cmpx_ne_u32_e64 v7, v8
	s_xor_b32 s13, exec_lo, s13
; %bb.3444:                             ;   in Loop: Header=BB6_3357 Depth=2
	v_cmp_lt_u32_e32 vcc_lo, 0xffffff, v5
	v_sub_nc_u32_e32 v4, v7, v8
	v_cndmask_b32_e64 v7, 0, 1, vcc_lo
	v_add_co_ci_u32_e64 v4, null, 0, v4, vcc_lo
	v_lshrrev_b32_e32 v5, v7, v5
; %bb.3445:                             ;   in Loop: Header=BB6_3357 Depth=2
	s_andn2_saveexec_b32 s13, s13
; %bb.3446:                             ;   in Loop: Header=BB6_3357 Depth=2
	v_bfe_u32 v4, v5, 23, 1
; %bb.3447:                             ;   in Loop: Header=BB6_3357 Depth=2
	s_or_b32 exec_lo, exec_lo, s13
	v_lshrrev_b32_e32 v5, 20, v5
	v_cmp_gt_i32_e32 vcc_lo, 16, v4
	v_min_i32_e32 v7, 15, v4
	v_and_b32_sdwa v1, v1, v114 dst_sel:DWORD dst_unused:UNUSED_PAD src0_sel:BYTE_3 src1_sel:DWORD
	v_cndmask_b32_e32 v5, 7, v5, vcc_lo
	v_lshlrev_b32_e32 v7, 3, v7
	v_and_b32_e32 v8, 7, v5
	v_or_b32_e32 v4, v4, v5
	v_or3_b32 v1, v7, v1, v8
	v_cmp_ne_u32_e32 vcc_lo, 0, v4
	v_cndmask_b32_e32 v71, 0, v1, vcc_lo
.LBB6_3448:                             ;   in Loop: Header=BB6_3357 Depth=2
	s_or_b32 exec_lo, exec_lo, s29
.LBB6_3449:                             ;   in Loop: Header=BB6_3357 Depth=2
	s_or_b32 exec_lo, exec_lo, s28
	flat_load_ubyte v1, v[10:11] offset:192 slc
	s_mov_b32 s13, 0
	s_mov_b32 s28, exec_lo
	s_waitcnt vmcnt(0) lgkmcnt(0)
	v_cmpx_lt_i16_e32 0x7f, v1
	s_xor_b32 s28, exec_lo, s28
	s_cbranch_execz .LBB6_4463
; %bb.3450:                             ;   in Loop: Header=BB6_3357 Depth=2
	s_mov_b32 s13, -1
	s_mov_b32 s29, exec_lo
	v_cmpx_eq_u16_e32 0x80, v1
; %bb.3451:                             ;   in Loop: Header=BB6_3357 Depth=2
	s_xor_b32 s13, exec_lo, -1
; %bb.3452:                             ;   in Loop: Header=BB6_3357 Depth=2
	s_or_b32 exec_lo, exec_lo, s29
	s_and_b32 s13, s13, exec_lo
	s_or_saveexec_b32 s28, s28
	v_mov_b32_e32 v4, 0x7f800001
	s_xor_b32 exec_lo, exec_lo, s28
	s_cbranch_execnz .LBB6_4464
.LBB6_3453:                             ;   in Loop: Header=BB6_3357 Depth=2
	s_or_b32 exec_lo, exec_lo, s28
	s_and_saveexec_b32 s28, s13
	s_cbranch_execz .LBB6_3455
.LBB6_3454:                             ;   in Loop: Header=BB6_3357 Depth=2
	v_and_b32_e32 v4, 0xffff, v1
	v_lshlrev_b32_e32 v1, 24, v1
	v_and_b32_e32 v5, 7, v4
	v_bfe_u32 v9, v4, 3, 4
	v_and_b32_e32 v1, 0x80000000, v1
	v_ffbh_u32_e32 v7, v5
	v_cmp_eq_u32_e32 vcc_lo, 0, v9
	v_min_u32_e32 v7, 32, v7
	v_subrev_nc_u32_e32 v8, 28, v7
	v_sub_nc_u32_e32 v7, 29, v7
	v_lshlrev_b32_e32 v4, v8, v4
	v_cndmask_b32_e32 v7, v9, v7, vcc_lo
	v_and_b32_e32 v4, 7, v4
	v_cndmask_b32_e32 v4, v5, v4, vcc_lo
	v_lshl_add_u32 v5, v7, 23, 0x3b800000
	v_lshlrev_b32_e32 v4, 20, v4
	v_or3_b32 v4, v1, v5, v4
.LBB6_3455:                             ;   in Loop: Header=BB6_3357 Depth=2
	s_or_b32 exec_lo, exec_lo, s28
	v_mul_f32_e32 v1, v0, v4
	v_mov_b32_e32 v82, 0x80
	s_mov_b32 s28, exec_lo
	v_and_b32_e32 v4, 0x7f800000, v1
	v_cmpx_ne_u32_e32 0x7f800000, v4
	s_cbranch_execz .LBB6_3463
; %bb.3456:                             ;   in Loop: Header=BB6_3357 Depth=2
	v_mov_b32_e32 v82, 0
	s_mov_b32 s29, exec_lo
	v_cmpx_ne_u32_e32 0, v1
	s_cbranch_execz .LBB6_3462
; %bb.3457:                             ;   in Loop: Header=BB6_3357 Depth=2
	v_bfe_u32 v4, v1, 23, 8
	v_and_b32_e32 v5, 0x7fffff, v1
	v_sub_nc_u32_e32 v7, 0x78, v4
	v_cmp_gt_u32_e32 vcc_lo, 0x79, v4
	v_or_b32_e32 v8, 0x800000, v5
	v_cndmask_b32_e32 v7, 0, v7, vcc_lo
	v_cmp_eq_u32_e32 vcc_lo, 0, v4
	v_add_nc_u32_e32 v4, 0xffffff89, v4
	v_cndmask_b32_e64 v7, v7, 0x77, vcc_lo
	v_cndmask_b32_e32 v5, v8, v5, vcc_lo
	v_cndmask_b32_e64 v4, v4, 0xffffff8a, vcc_lo
	v_lshl_add_u32 v8, 0x100000, v7, -1
	v_lshrrev_b32_e32 v9, v7, v5
	v_lshlrev_b32_e64 v17, v7, 0x80000
	v_add_nc_u32_e32 v7, v7, v4
	v_and_b32_e32 v5, v8, v5
	v_bfe_u32 v16, v9, 20, 1
	v_cmp_eq_u32_e64 s13, v5, v17
	v_add_nc_u32_e32 v8, -1, v16
	v_cndmask_b32_e64 v5, 0, v8, s13
	v_lshrrev_b32_e32 v8, 23, v9
	s_mov_b32 s13, exec_lo
	v_add_nc_u32_e32 v5, v5, v9
	v_xor_b32_e32 v8, 1, v8
	v_and_b32_e32 v4, 0xfffff, v5
	v_add_nc_u32_e32 v5, v4, v9
                                        ; implicit-def: $vgpr4
	v_cmpx_ne_u32_e64 v7, v8
	s_xor_b32 s13, exec_lo, s13
; %bb.3458:                             ;   in Loop: Header=BB6_3357 Depth=2
	v_cmp_lt_u32_e32 vcc_lo, 0xffffff, v5
	v_sub_nc_u32_e32 v4, v7, v8
	v_cndmask_b32_e64 v7, 0, 1, vcc_lo
	v_add_co_ci_u32_e64 v4, null, 0, v4, vcc_lo
	v_lshrrev_b32_e32 v5, v7, v5
; %bb.3459:                             ;   in Loop: Header=BB6_3357 Depth=2
	s_andn2_saveexec_b32 s13, s13
; %bb.3460:                             ;   in Loop: Header=BB6_3357 Depth=2
	v_bfe_u32 v4, v5, 23, 1
; %bb.3461:                             ;   in Loop: Header=BB6_3357 Depth=2
	s_or_b32 exec_lo, exec_lo, s13
	v_lshrrev_b32_e32 v5, 20, v5
	v_cmp_gt_i32_e32 vcc_lo, 16, v4
	v_min_i32_e32 v7, 15, v4
	v_and_b32_sdwa v1, v1, v114 dst_sel:DWORD dst_unused:UNUSED_PAD src0_sel:BYTE_3 src1_sel:DWORD
	v_cndmask_b32_e32 v5, 7, v5, vcc_lo
	v_lshlrev_b32_e32 v7, 3, v7
	v_and_b32_e32 v8, 7, v5
	v_or_b32_e32 v4, v4, v5
	v_or3_b32 v1, v7, v1, v8
	v_cmp_ne_u32_e32 vcc_lo, 0, v4
	v_cndmask_b32_e32 v82, 0, v1, vcc_lo
.LBB6_3462:                             ;   in Loop: Header=BB6_3357 Depth=2
	s_or_b32 exec_lo, exec_lo, s29
.LBB6_3463:                             ;   in Loop: Header=BB6_3357 Depth=2
	s_or_b32 exec_lo, exec_lo, s28
	flat_load_ubyte v1, v[10:11] offset:224 slc
	s_mov_b32 s13, 0
	s_mov_b32 s28, exec_lo
	s_waitcnt vmcnt(0) lgkmcnt(0)
	v_cmpx_lt_i16_e32 0x7f, v1
	s_xor_b32 s28, exec_lo, s28
	s_cbranch_execz .LBB6_4465
; %bb.3464:                             ;   in Loop: Header=BB6_3357 Depth=2
	s_mov_b32 s13, -1
	s_mov_b32 s29, exec_lo
	v_cmpx_eq_u16_e32 0x80, v1
; %bb.3465:                             ;   in Loop: Header=BB6_3357 Depth=2
	s_xor_b32 s13, exec_lo, -1
; %bb.3466:                             ;   in Loop: Header=BB6_3357 Depth=2
	s_or_b32 exec_lo, exec_lo, s29
	s_and_b32 s13, s13, exec_lo
	s_or_saveexec_b32 s28, s28
	v_mov_b32_e32 v4, 0x7f800001
	s_xor_b32 exec_lo, exec_lo, s28
	s_cbranch_execnz .LBB6_4466
.LBB6_3467:                             ;   in Loop: Header=BB6_3357 Depth=2
	s_or_b32 exec_lo, exec_lo, s28
	s_and_saveexec_b32 s28, s13
	s_cbranch_execz .LBB6_3469
.LBB6_3468:                             ;   in Loop: Header=BB6_3357 Depth=2
	v_and_b32_e32 v4, 0xffff, v1
	v_lshlrev_b32_e32 v1, 24, v1
	v_and_b32_e32 v5, 7, v4
	v_bfe_u32 v9, v4, 3, 4
	v_and_b32_e32 v1, 0x80000000, v1
	v_ffbh_u32_e32 v7, v5
	v_cmp_eq_u32_e32 vcc_lo, 0, v9
	v_min_u32_e32 v7, 32, v7
	v_subrev_nc_u32_e32 v8, 28, v7
	v_sub_nc_u32_e32 v7, 29, v7
	v_lshlrev_b32_e32 v4, v8, v4
	v_cndmask_b32_e32 v7, v9, v7, vcc_lo
	v_and_b32_e32 v4, 7, v4
	v_cndmask_b32_e32 v4, v5, v4, vcc_lo
	v_lshl_add_u32 v5, v7, 23, 0x3b800000
	v_lshlrev_b32_e32 v4, 20, v4
	v_or3_b32 v4, v1, v5, v4
.LBB6_3469:                             ;   in Loop: Header=BB6_3357 Depth=2
	s_or_b32 exec_lo, exec_lo, s28
	v_mul_f32_e32 v1, v0, v4
	v_mov_b32_e32 v81, 0x80
	s_mov_b32 s28, exec_lo
	v_and_b32_e32 v4, 0x7f800000, v1
	v_cmpx_ne_u32_e32 0x7f800000, v4
	s_cbranch_execz .LBB6_3477
; %bb.3470:                             ;   in Loop: Header=BB6_3357 Depth=2
	v_mov_b32_e32 v81, 0
	s_mov_b32 s29, exec_lo
	v_cmpx_ne_u32_e32 0, v1
	s_cbranch_execz .LBB6_3476
; %bb.3471:                             ;   in Loop: Header=BB6_3357 Depth=2
	v_bfe_u32 v4, v1, 23, 8
	v_and_b32_e32 v5, 0x7fffff, v1
	v_sub_nc_u32_e32 v7, 0x78, v4
	v_cmp_gt_u32_e32 vcc_lo, 0x79, v4
	v_or_b32_e32 v8, 0x800000, v5
	v_cndmask_b32_e32 v7, 0, v7, vcc_lo
	v_cmp_eq_u32_e32 vcc_lo, 0, v4
	v_add_nc_u32_e32 v4, 0xffffff89, v4
	v_cndmask_b32_e64 v7, v7, 0x77, vcc_lo
	v_cndmask_b32_e32 v5, v8, v5, vcc_lo
	v_cndmask_b32_e64 v4, v4, 0xffffff8a, vcc_lo
	v_lshl_add_u32 v8, 0x100000, v7, -1
	v_lshrrev_b32_e32 v9, v7, v5
	v_lshlrev_b32_e64 v17, v7, 0x80000
	v_add_nc_u32_e32 v7, v7, v4
	v_and_b32_e32 v5, v8, v5
	v_bfe_u32 v16, v9, 20, 1
	v_cmp_eq_u32_e64 s13, v5, v17
	v_add_nc_u32_e32 v8, -1, v16
	v_cndmask_b32_e64 v5, 0, v8, s13
	v_lshrrev_b32_e32 v8, 23, v9
	s_mov_b32 s13, exec_lo
	v_add_nc_u32_e32 v5, v5, v9
	v_xor_b32_e32 v8, 1, v8
	v_and_b32_e32 v4, 0xfffff, v5
	v_add_nc_u32_e32 v5, v4, v9
                                        ; implicit-def: $vgpr4
	v_cmpx_ne_u32_e64 v7, v8
	s_xor_b32 s13, exec_lo, s13
; %bb.3472:                             ;   in Loop: Header=BB6_3357 Depth=2
	v_cmp_lt_u32_e32 vcc_lo, 0xffffff, v5
	v_sub_nc_u32_e32 v4, v7, v8
	v_cndmask_b32_e64 v7, 0, 1, vcc_lo
	v_add_co_ci_u32_e64 v4, null, 0, v4, vcc_lo
	v_lshrrev_b32_e32 v5, v7, v5
; %bb.3473:                             ;   in Loop: Header=BB6_3357 Depth=2
	s_andn2_saveexec_b32 s13, s13
; %bb.3474:                             ;   in Loop: Header=BB6_3357 Depth=2
	v_bfe_u32 v4, v5, 23, 1
; %bb.3475:                             ;   in Loop: Header=BB6_3357 Depth=2
	s_or_b32 exec_lo, exec_lo, s13
	v_lshrrev_b32_e32 v5, 20, v5
	v_cmp_gt_i32_e32 vcc_lo, 16, v4
	v_min_i32_e32 v7, 15, v4
	v_and_b32_sdwa v1, v1, v114 dst_sel:DWORD dst_unused:UNUSED_PAD src0_sel:BYTE_3 src1_sel:DWORD
	v_cndmask_b32_e32 v5, 7, v5, vcc_lo
	v_lshlrev_b32_e32 v7, 3, v7
	v_and_b32_e32 v8, 7, v5
	v_or_b32_e32 v4, v4, v5
	v_or3_b32 v1, v7, v1, v8
	v_cmp_ne_u32_e32 vcc_lo, 0, v4
	v_cndmask_b32_e32 v81, 0, v1, vcc_lo
.LBB6_3476:                             ;   in Loop: Header=BB6_3357 Depth=2
	s_or_b32 exec_lo, exec_lo, s29
.LBB6_3477:                             ;   in Loop: Header=BB6_3357 Depth=2
	s_or_b32 exec_lo, exec_lo, s28
	flat_load_ubyte v1, v[10:11] offset:256 slc
	s_mov_b32 s13, 0
	s_mov_b32 s28, exec_lo
	s_waitcnt vmcnt(0) lgkmcnt(0)
	v_cmpx_lt_i16_e32 0x7f, v1
	s_xor_b32 s28, exec_lo, s28
	s_cbranch_execz .LBB6_4467
; %bb.3478:                             ;   in Loop: Header=BB6_3357 Depth=2
	s_mov_b32 s13, -1
	s_mov_b32 s29, exec_lo
	v_cmpx_eq_u16_e32 0x80, v1
; %bb.3479:                             ;   in Loop: Header=BB6_3357 Depth=2
	s_xor_b32 s13, exec_lo, -1
; %bb.3480:                             ;   in Loop: Header=BB6_3357 Depth=2
	s_or_b32 exec_lo, exec_lo, s29
	s_and_b32 s13, s13, exec_lo
	s_or_saveexec_b32 s28, s28
	v_mov_b32_e32 v4, 0x7f800001
	s_xor_b32 exec_lo, exec_lo, s28
	s_cbranch_execnz .LBB6_4468
.LBB6_3481:                             ;   in Loop: Header=BB6_3357 Depth=2
	s_or_b32 exec_lo, exec_lo, s28
	s_and_saveexec_b32 s28, s13
	s_cbranch_execz .LBB6_3483
.LBB6_3482:                             ;   in Loop: Header=BB6_3357 Depth=2
	v_and_b32_e32 v4, 0xffff, v1
	v_lshlrev_b32_e32 v1, 24, v1
	v_and_b32_e32 v5, 7, v4
	v_bfe_u32 v9, v4, 3, 4
	v_and_b32_e32 v1, 0x80000000, v1
	v_ffbh_u32_e32 v7, v5
	v_cmp_eq_u32_e32 vcc_lo, 0, v9
	v_min_u32_e32 v7, 32, v7
	v_subrev_nc_u32_e32 v8, 28, v7
	v_sub_nc_u32_e32 v7, 29, v7
	v_lshlrev_b32_e32 v4, v8, v4
	v_cndmask_b32_e32 v7, v9, v7, vcc_lo
	v_and_b32_e32 v4, 7, v4
	v_cndmask_b32_e32 v4, v5, v4, vcc_lo
	v_lshl_add_u32 v5, v7, 23, 0x3b800000
	v_lshlrev_b32_e32 v4, 20, v4
	v_or3_b32 v4, v1, v5, v4
.LBB6_3483:                             ;   in Loop: Header=BB6_3357 Depth=2
	s_or_b32 exec_lo, exec_lo, s28
	v_mul_f32_e32 v1, v0, v4
	v_mov_b32_e32 v70, 0x80
	s_mov_b32 s28, exec_lo
	v_and_b32_e32 v4, 0x7f800000, v1
	v_cmpx_ne_u32_e32 0x7f800000, v4
	s_cbranch_execz .LBB6_3491
; %bb.3484:                             ;   in Loop: Header=BB6_3357 Depth=2
	v_mov_b32_e32 v70, 0
	s_mov_b32 s29, exec_lo
	v_cmpx_ne_u32_e32 0, v1
	s_cbranch_execz .LBB6_3490
; %bb.3485:                             ;   in Loop: Header=BB6_3357 Depth=2
	v_bfe_u32 v4, v1, 23, 8
	v_and_b32_e32 v5, 0x7fffff, v1
	v_sub_nc_u32_e32 v7, 0x78, v4
	v_cmp_gt_u32_e32 vcc_lo, 0x79, v4
	v_or_b32_e32 v8, 0x800000, v5
	v_cndmask_b32_e32 v7, 0, v7, vcc_lo
	v_cmp_eq_u32_e32 vcc_lo, 0, v4
	v_add_nc_u32_e32 v4, 0xffffff89, v4
	v_cndmask_b32_e64 v7, v7, 0x77, vcc_lo
	v_cndmask_b32_e32 v5, v8, v5, vcc_lo
	v_cndmask_b32_e64 v4, v4, 0xffffff8a, vcc_lo
	v_lshl_add_u32 v8, 0x100000, v7, -1
	v_lshrrev_b32_e32 v9, v7, v5
	v_lshlrev_b32_e64 v17, v7, 0x80000
	v_add_nc_u32_e32 v7, v7, v4
	v_and_b32_e32 v5, v8, v5
	v_bfe_u32 v16, v9, 20, 1
	v_cmp_eq_u32_e64 s13, v5, v17
	v_add_nc_u32_e32 v8, -1, v16
	v_cndmask_b32_e64 v5, 0, v8, s13
	v_lshrrev_b32_e32 v8, 23, v9
	s_mov_b32 s13, exec_lo
	v_add_nc_u32_e32 v5, v5, v9
	v_xor_b32_e32 v8, 1, v8
	v_and_b32_e32 v4, 0xfffff, v5
	v_add_nc_u32_e32 v5, v4, v9
                                        ; implicit-def: $vgpr4
	v_cmpx_ne_u32_e64 v7, v8
	s_xor_b32 s13, exec_lo, s13
; %bb.3486:                             ;   in Loop: Header=BB6_3357 Depth=2
	v_cmp_lt_u32_e32 vcc_lo, 0xffffff, v5
	v_sub_nc_u32_e32 v4, v7, v8
	v_cndmask_b32_e64 v7, 0, 1, vcc_lo
	v_add_co_ci_u32_e64 v4, null, 0, v4, vcc_lo
	v_lshrrev_b32_e32 v5, v7, v5
; %bb.3487:                             ;   in Loop: Header=BB6_3357 Depth=2
	s_andn2_saveexec_b32 s13, s13
; %bb.3488:                             ;   in Loop: Header=BB6_3357 Depth=2
	v_bfe_u32 v4, v5, 23, 1
; %bb.3489:                             ;   in Loop: Header=BB6_3357 Depth=2
	s_or_b32 exec_lo, exec_lo, s13
	v_lshrrev_b32_e32 v5, 20, v5
	v_cmp_gt_i32_e32 vcc_lo, 16, v4
	v_min_i32_e32 v7, 15, v4
	v_and_b32_sdwa v1, v1, v114 dst_sel:DWORD dst_unused:UNUSED_PAD src0_sel:BYTE_3 src1_sel:DWORD
	v_cndmask_b32_e32 v5, 7, v5, vcc_lo
	v_lshlrev_b32_e32 v7, 3, v7
	v_and_b32_e32 v8, 7, v5
	v_or_b32_e32 v4, v4, v5
	v_or3_b32 v1, v7, v1, v8
	v_cmp_ne_u32_e32 vcc_lo, 0, v4
	v_cndmask_b32_e32 v70, 0, v1, vcc_lo
.LBB6_3490:                             ;   in Loop: Header=BB6_3357 Depth=2
	s_or_b32 exec_lo, exec_lo, s29
.LBB6_3491:                             ;   in Loop: Header=BB6_3357 Depth=2
	s_or_b32 exec_lo, exec_lo, s28
	flat_load_ubyte v1, v[10:11] offset:288 slc
	s_mov_b32 s13, 0
	s_mov_b32 s28, exec_lo
	s_waitcnt vmcnt(0) lgkmcnt(0)
	v_cmpx_lt_i16_e32 0x7f, v1
	s_xor_b32 s28, exec_lo, s28
	s_cbranch_execz .LBB6_4469
; %bb.3492:                             ;   in Loop: Header=BB6_3357 Depth=2
	s_mov_b32 s13, -1
	s_mov_b32 s29, exec_lo
	v_cmpx_eq_u16_e32 0x80, v1
; %bb.3493:                             ;   in Loop: Header=BB6_3357 Depth=2
	s_xor_b32 s13, exec_lo, -1
; %bb.3494:                             ;   in Loop: Header=BB6_3357 Depth=2
	s_or_b32 exec_lo, exec_lo, s29
	s_and_b32 s13, s13, exec_lo
	s_or_saveexec_b32 s28, s28
	v_mov_b32_e32 v4, 0x7f800001
	s_xor_b32 exec_lo, exec_lo, s28
	s_cbranch_execnz .LBB6_4470
.LBB6_3495:                             ;   in Loop: Header=BB6_3357 Depth=2
	s_or_b32 exec_lo, exec_lo, s28
	s_and_saveexec_b32 s28, s13
	s_cbranch_execz .LBB6_3497
.LBB6_3496:                             ;   in Loop: Header=BB6_3357 Depth=2
	v_and_b32_e32 v4, 0xffff, v1
	v_lshlrev_b32_e32 v1, 24, v1
	v_and_b32_e32 v5, 7, v4
	v_bfe_u32 v9, v4, 3, 4
	v_and_b32_e32 v1, 0x80000000, v1
	v_ffbh_u32_e32 v7, v5
	v_cmp_eq_u32_e32 vcc_lo, 0, v9
	v_min_u32_e32 v7, 32, v7
	v_subrev_nc_u32_e32 v8, 28, v7
	v_sub_nc_u32_e32 v7, 29, v7
	v_lshlrev_b32_e32 v4, v8, v4
	v_cndmask_b32_e32 v7, v9, v7, vcc_lo
	v_and_b32_e32 v4, 7, v4
	v_cndmask_b32_e32 v4, v5, v4, vcc_lo
	v_lshl_add_u32 v5, v7, 23, 0x3b800000
	v_lshlrev_b32_e32 v4, 20, v4
	v_or3_b32 v4, v1, v5, v4
.LBB6_3497:                             ;   in Loop: Header=BB6_3357 Depth=2
	s_or_b32 exec_lo, exec_lo, s28
	v_mul_f32_e32 v1, v0, v4
	v_mov_b32_e32 v69, 0x80
	s_mov_b32 s28, exec_lo
	v_and_b32_e32 v4, 0x7f800000, v1
	v_cmpx_ne_u32_e32 0x7f800000, v4
	s_cbranch_execz .LBB6_3505
; %bb.3498:                             ;   in Loop: Header=BB6_3357 Depth=2
	v_mov_b32_e32 v69, 0
	s_mov_b32 s29, exec_lo
	v_cmpx_ne_u32_e32 0, v1
	s_cbranch_execz .LBB6_3504
; %bb.3499:                             ;   in Loop: Header=BB6_3357 Depth=2
	v_bfe_u32 v4, v1, 23, 8
	v_and_b32_e32 v5, 0x7fffff, v1
	v_sub_nc_u32_e32 v7, 0x78, v4
	v_cmp_gt_u32_e32 vcc_lo, 0x79, v4
	v_or_b32_e32 v8, 0x800000, v5
	v_cndmask_b32_e32 v7, 0, v7, vcc_lo
	v_cmp_eq_u32_e32 vcc_lo, 0, v4
	v_add_nc_u32_e32 v4, 0xffffff89, v4
	v_cndmask_b32_e64 v7, v7, 0x77, vcc_lo
	v_cndmask_b32_e32 v5, v8, v5, vcc_lo
	v_cndmask_b32_e64 v4, v4, 0xffffff8a, vcc_lo
	v_lshl_add_u32 v8, 0x100000, v7, -1
	v_lshrrev_b32_e32 v9, v7, v5
	v_lshlrev_b32_e64 v17, v7, 0x80000
	v_add_nc_u32_e32 v7, v7, v4
	v_and_b32_e32 v5, v8, v5
	v_bfe_u32 v16, v9, 20, 1
	v_cmp_eq_u32_e64 s13, v5, v17
	v_add_nc_u32_e32 v8, -1, v16
	v_cndmask_b32_e64 v5, 0, v8, s13
	v_lshrrev_b32_e32 v8, 23, v9
	s_mov_b32 s13, exec_lo
	v_add_nc_u32_e32 v5, v5, v9
	v_xor_b32_e32 v8, 1, v8
	v_and_b32_e32 v4, 0xfffff, v5
	v_add_nc_u32_e32 v5, v4, v9
                                        ; implicit-def: $vgpr4
	v_cmpx_ne_u32_e64 v7, v8
	s_xor_b32 s13, exec_lo, s13
; %bb.3500:                             ;   in Loop: Header=BB6_3357 Depth=2
	v_cmp_lt_u32_e32 vcc_lo, 0xffffff, v5
	v_sub_nc_u32_e32 v4, v7, v8
	v_cndmask_b32_e64 v7, 0, 1, vcc_lo
	v_add_co_ci_u32_e64 v4, null, 0, v4, vcc_lo
	v_lshrrev_b32_e32 v5, v7, v5
; %bb.3501:                             ;   in Loop: Header=BB6_3357 Depth=2
	s_andn2_saveexec_b32 s13, s13
; %bb.3502:                             ;   in Loop: Header=BB6_3357 Depth=2
	v_bfe_u32 v4, v5, 23, 1
; %bb.3503:                             ;   in Loop: Header=BB6_3357 Depth=2
	s_or_b32 exec_lo, exec_lo, s13
	v_lshrrev_b32_e32 v5, 20, v5
	v_cmp_gt_i32_e32 vcc_lo, 16, v4
	v_min_i32_e32 v7, 15, v4
	v_and_b32_sdwa v1, v1, v114 dst_sel:DWORD dst_unused:UNUSED_PAD src0_sel:BYTE_3 src1_sel:DWORD
	v_cndmask_b32_e32 v5, 7, v5, vcc_lo
	v_lshlrev_b32_e32 v7, 3, v7
	v_and_b32_e32 v8, 7, v5
	v_or_b32_e32 v4, v4, v5
	v_or3_b32 v1, v7, v1, v8
	v_cmp_ne_u32_e32 vcc_lo, 0, v4
	v_cndmask_b32_e32 v69, 0, v1, vcc_lo
.LBB6_3504:                             ;   in Loop: Header=BB6_3357 Depth=2
	s_or_b32 exec_lo, exec_lo, s29
.LBB6_3505:                             ;   in Loop: Header=BB6_3357 Depth=2
	s_or_b32 exec_lo, exec_lo, s28
	flat_load_ubyte v1, v[10:11] offset:320 slc
	s_mov_b32 s13, 0
	s_mov_b32 s28, exec_lo
	s_waitcnt vmcnt(0) lgkmcnt(0)
	v_cmpx_lt_i16_e32 0x7f, v1
	s_xor_b32 s28, exec_lo, s28
	s_cbranch_execz .LBB6_4471
; %bb.3506:                             ;   in Loop: Header=BB6_3357 Depth=2
	s_mov_b32 s13, -1
	s_mov_b32 s29, exec_lo
	v_cmpx_eq_u16_e32 0x80, v1
; %bb.3507:                             ;   in Loop: Header=BB6_3357 Depth=2
	s_xor_b32 s13, exec_lo, -1
; %bb.3508:                             ;   in Loop: Header=BB6_3357 Depth=2
	s_or_b32 exec_lo, exec_lo, s29
	s_and_b32 s13, s13, exec_lo
	s_or_saveexec_b32 s28, s28
	v_mov_b32_e32 v4, 0x7f800001
	s_xor_b32 exec_lo, exec_lo, s28
	s_cbranch_execnz .LBB6_4472
.LBB6_3509:                             ;   in Loop: Header=BB6_3357 Depth=2
	s_or_b32 exec_lo, exec_lo, s28
	s_and_saveexec_b32 s28, s13
	s_cbranch_execz .LBB6_3511
.LBB6_3510:                             ;   in Loop: Header=BB6_3357 Depth=2
	v_and_b32_e32 v4, 0xffff, v1
	v_lshlrev_b32_e32 v1, 24, v1
	v_and_b32_e32 v5, 7, v4
	v_bfe_u32 v9, v4, 3, 4
	v_and_b32_e32 v1, 0x80000000, v1
	v_ffbh_u32_e32 v7, v5
	v_cmp_eq_u32_e32 vcc_lo, 0, v9
	v_min_u32_e32 v7, 32, v7
	v_subrev_nc_u32_e32 v8, 28, v7
	v_sub_nc_u32_e32 v7, 29, v7
	v_lshlrev_b32_e32 v4, v8, v4
	v_cndmask_b32_e32 v7, v9, v7, vcc_lo
	v_and_b32_e32 v4, 7, v4
	v_cndmask_b32_e32 v4, v5, v4, vcc_lo
	v_lshl_add_u32 v5, v7, 23, 0x3b800000
	v_lshlrev_b32_e32 v4, 20, v4
	v_or3_b32 v4, v1, v5, v4
.LBB6_3511:                             ;   in Loop: Header=BB6_3357 Depth=2
	s_or_b32 exec_lo, exec_lo, s28
	v_mul_f32_e32 v1, v0, v4
	v_mov_b32_e32 v68, 0x80
	s_mov_b32 s28, exec_lo
	v_and_b32_e32 v4, 0x7f800000, v1
	v_cmpx_ne_u32_e32 0x7f800000, v4
	s_cbranch_execz .LBB6_3519
; %bb.3512:                             ;   in Loop: Header=BB6_3357 Depth=2
	v_mov_b32_e32 v68, 0
	s_mov_b32 s29, exec_lo
	v_cmpx_ne_u32_e32 0, v1
	s_cbranch_execz .LBB6_3518
; %bb.3513:                             ;   in Loop: Header=BB6_3357 Depth=2
	v_bfe_u32 v4, v1, 23, 8
	v_and_b32_e32 v5, 0x7fffff, v1
	v_sub_nc_u32_e32 v7, 0x78, v4
	v_cmp_gt_u32_e32 vcc_lo, 0x79, v4
	v_or_b32_e32 v8, 0x800000, v5
	v_cndmask_b32_e32 v7, 0, v7, vcc_lo
	v_cmp_eq_u32_e32 vcc_lo, 0, v4
	v_add_nc_u32_e32 v4, 0xffffff89, v4
	v_cndmask_b32_e64 v7, v7, 0x77, vcc_lo
	v_cndmask_b32_e32 v5, v8, v5, vcc_lo
	v_cndmask_b32_e64 v4, v4, 0xffffff8a, vcc_lo
	v_lshl_add_u32 v8, 0x100000, v7, -1
	v_lshrrev_b32_e32 v9, v7, v5
	v_lshlrev_b32_e64 v17, v7, 0x80000
	v_add_nc_u32_e32 v7, v7, v4
	v_and_b32_e32 v5, v8, v5
	v_bfe_u32 v16, v9, 20, 1
	v_cmp_eq_u32_e64 s13, v5, v17
	v_add_nc_u32_e32 v8, -1, v16
	v_cndmask_b32_e64 v5, 0, v8, s13
	v_lshrrev_b32_e32 v8, 23, v9
	s_mov_b32 s13, exec_lo
	v_add_nc_u32_e32 v5, v5, v9
	v_xor_b32_e32 v8, 1, v8
	v_and_b32_e32 v4, 0xfffff, v5
	v_add_nc_u32_e32 v5, v4, v9
                                        ; implicit-def: $vgpr4
	v_cmpx_ne_u32_e64 v7, v8
	s_xor_b32 s13, exec_lo, s13
; %bb.3514:                             ;   in Loop: Header=BB6_3357 Depth=2
	v_cmp_lt_u32_e32 vcc_lo, 0xffffff, v5
	v_sub_nc_u32_e32 v4, v7, v8
	v_cndmask_b32_e64 v7, 0, 1, vcc_lo
	v_add_co_ci_u32_e64 v4, null, 0, v4, vcc_lo
	v_lshrrev_b32_e32 v5, v7, v5
; %bb.3515:                             ;   in Loop: Header=BB6_3357 Depth=2
	s_andn2_saveexec_b32 s13, s13
; %bb.3516:                             ;   in Loop: Header=BB6_3357 Depth=2
	v_bfe_u32 v4, v5, 23, 1
; %bb.3517:                             ;   in Loop: Header=BB6_3357 Depth=2
	s_or_b32 exec_lo, exec_lo, s13
	v_lshrrev_b32_e32 v5, 20, v5
	v_cmp_gt_i32_e32 vcc_lo, 16, v4
	v_min_i32_e32 v7, 15, v4
	v_and_b32_sdwa v1, v1, v114 dst_sel:DWORD dst_unused:UNUSED_PAD src0_sel:BYTE_3 src1_sel:DWORD
	v_cndmask_b32_e32 v5, 7, v5, vcc_lo
	v_lshlrev_b32_e32 v7, 3, v7
	v_and_b32_e32 v8, 7, v5
	v_or_b32_e32 v4, v4, v5
	v_or3_b32 v1, v7, v1, v8
	v_cmp_ne_u32_e32 vcc_lo, 0, v4
	v_cndmask_b32_e32 v68, 0, v1, vcc_lo
.LBB6_3518:                             ;   in Loop: Header=BB6_3357 Depth=2
	s_or_b32 exec_lo, exec_lo, s29
.LBB6_3519:                             ;   in Loop: Header=BB6_3357 Depth=2
	s_or_b32 exec_lo, exec_lo, s28
	flat_load_ubyte v1, v[10:11] offset:352 slc
	s_mov_b32 s13, 0
	s_mov_b32 s28, exec_lo
	s_waitcnt vmcnt(0) lgkmcnt(0)
	v_cmpx_lt_i16_e32 0x7f, v1
	s_xor_b32 s28, exec_lo, s28
	s_cbranch_execz .LBB6_4473
; %bb.3520:                             ;   in Loop: Header=BB6_3357 Depth=2
	s_mov_b32 s13, -1
	s_mov_b32 s29, exec_lo
	v_cmpx_eq_u16_e32 0x80, v1
; %bb.3521:                             ;   in Loop: Header=BB6_3357 Depth=2
	s_xor_b32 s13, exec_lo, -1
; %bb.3522:                             ;   in Loop: Header=BB6_3357 Depth=2
	s_or_b32 exec_lo, exec_lo, s29
	s_and_b32 s13, s13, exec_lo
	s_or_saveexec_b32 s28, s28
	v_mov_b32_e32 v4, 0x7f800001
	s_xor_b32 exec_lo, exec_lo, s28
	s_cbranch_execnz .LBB6_4474
.LBB6_3523:                             ;   in Loop: Header=BB6_3357 Depth=2
	s_or_b32 exec_lo, exec_lo, s28
	s_and_saveexec_b32 s28, s13
	s_cbranch_execz .LBB6_3525
.LBB6_3524:                             ;   in Loop: Header=BB6_3357 Depth=2
	v_and_b32_e32 v4, 0xffff, v1
	v_lshlrev_b32_e32 v1, 24, v1
	v_and_b32_e32 v5, 7, v4
	v_bfe_u32 v9, v4, 3, 4
	v_and_b32_e32 v1, 0x80000000, v1
	v_ffbh_u32_e32 v7, v5
	v_cmp_eq_u32_e32 vcc_lo, 0, v9
	v_min_u32_e32 v7, 32, v7
	v_subrev_nc_u32_e32 v8, 28, v7
	v_sub_nc_u32_e32 v7, 29, v7
	v_lshlrev_b32_e32 v4, v8, v4
	v_cndmask_b32_e32 v7, v9, v7, vcc_lo
	v_and_b32_e32 v4, 7, v4
	v_cndmask_b32_e32 v4, v5, v4, vcc_lo
	v_lshl_add_u32 v5, v7, 23, 0x3b800000
	v_lshlrev_b32_e32 v4, 20, v4
	v_or3_b32 v4, v1, v5, v4
.LBB6_3525:                             ;   in Loop: Header=BB6_3357 Depth=2
	s_or_b32 exec_lo, exec_lo, s28
	v_mul_f32_e32 v1, v0, v4
	v_mov_b32_e32 v67, 0x80
	s_mov_b32 s28, exec_lo
	v_and_b32_e32 v4, 0x7f800000, v1
	v_cmpx_ne_u32_e32 0x7f800000, v4
	s_cbranch_execz .LBB6_3533
; %bb.3526:                             ;   in Loop: Header=BB6_3357 Depth=2
	v_mov_b32_e32 v67, 0
	s_mov_b32 s29, exec_lo
	v_cmpx_ne_u32_e32 0, v1
	s_cbranch_execz .LBB6_3532
; %bb.3527:                             ;   in Loop: Header=BB6_3357 Depth=2
	v_bfe_u32 v4, v1, 23, 8
	v_and_b32_e32 v5, 0x7fffff, v1
	v_sub_nc_u32_e32 v7, 0x78, v4
	v_cmp_gt_u32_e32 vcc_lo, 0x79, v4
	v_or_b32_e32 v8, 0x800000, v5
	v_cndmask_b32_e32 v7, 0, v7, vcc_lo
	v_cmp_eq_u32_e32 vcc_lo, 0, v4
	v_add_nc_u32_e32 v4, 0xffffff89, v4
	v_cndmask_b32_e64 v7, v7, 0x77, vcc_lo
	v_cndmask_b32_e32 v5, v8, v5, vcc_lo
	v_cndmask_b32_e64 v4, v4, 0xffffff8a, vcc_lo
	v_lshl_add_u32 v8, 0x100000, v7, -1
	v_lshrrev_b32_e32 v9, v7, v5
	v_lshlrev_b32_e64 v17, v7, 0x80000
	v_add_nc_u32_e32 v7, v7, v4
	v_and_b32_e32 v5, v8, v5
	v_bfe_u32 v16, v9, 20, 1
	v_cmp_eq_u32_e64 s13, v5, v17
	v_add_nc_u32_e32 v8, -1, v16
	v_cndmask_b32_e64 v5, 0, v8, s13
	v_lshrrev_b32_e32 v8, 23, v9
	s_mov_b32 s13, exec_lo
	v_add_nc_u32_e32 v5, v5, v9
	v_xor_b32_e32 v8, 1, v8
	v_and_b32_e32 v4, 0xfffff, v5
	v_add_nc_u32_e32 v5, v4, v9
                                        ; implicit-def: $vgpr4
	v_cmpx_ne_u32_e64 v7, v8
	s_xor_b32 s13, exec_lo, s13
; %bb.3528:                             ;   in Loop: Header=BB6_3357 Depth=2
	v_cmp_lt_u32_e32 vcc_lo, 0xffffff, v5
	v_sub_nc_u32_e32 v4, v7, v8
	v_cndmask_b32_e64 v7, 0, 1, vcc_lo
	v_add_co_ci_u32_e64 v4, null, 0, v4, vcc_lo
	v_lshrrev_b32_e32 v5, v7, v5
; %bb.3529:                             ;   in Loop: Header=BB6_3357 Depth=2
	s_andn2_saveexec_b32 s13, s13
; %bb.3530:                             ;   in Loop: Header=BB6_3357 Depth=2
	v_bfe_u32 v4, v5, 23, 1
; %bb.3531:                             ;   in Loop: Header=BB6_3357 Depth=2
	s_or_b32 exec_lo, exec_lo, s13
	v_lshrrev_b32_e32 v5, 20, v5
	v_cmp_gt_i32_e32 vcc_lo, 16, v4
	v_min_i32_e32 v7, 15, v4
	v_and_b32_sdwa v1, v1, v114 dst_sel:DWORD dst_unused:UNUSED_PAD src0_sel:BYTE_3 src1_sel:DWORD
	v_cndmask_b32_e32 v5, 7, v5, vcc_lo
	v_lshlrev_b32_e32 v7, 3, v7
	v_and_b32_e32 v8, 7, v5
	v_or_b32_e32 v4, v4, v5
	v_or3_b32 v1, v7, v1, v8
	v_cmp_ne_u32_e32 vcc_lo, 0, v4
	v_cndmask_b32_e32 v67, 0, v1, vcc_lo
.LBB6_3532:                             ;   in Loop: Header=BB6_3357 Depth=2
	s_or_b32 exec_lo, exec_lo, s29
.LBB6_3533:                             ;   in Loop: Header=BB6_3357 Depth=2
	s_or_b32 exec_lo, exec_lo, s28
	flat_load_ubyte v1, v[10:11] offset:384 slc
	s_mov_b32 s13, 0
	s_mov_b32 s28, exec_lo
	s_waitcnt vmcnt(0) lgkmcnt(0)
	v_cmpx_lt_i16_e32 0x7f, v1
	s_xor_b32 s28, exec_lo, s28
	s_cbranch_execz .LBB6_4475
; %bb.3534:                             ;   in Loop: Header=BB6_3357 Depth=2
	s_mov_b32 s13, -1
	s_mov_b32 s29, exec_lo
	v_cmpx_eq_u16_e32 0x80, v1
; %bb.3535:                             ;   in Loop: Header=BB6_3357 Depth=2
	s_xor_b32 s13, exec_lo, -1
; %bb.3536:                             ;   in Loop: Header=BB6_3357 Depth=2
	s_or_b32 exec_lo, exec_lo, s29
	s_and_b32 s13, s13, exec_lo
	s_or_saveexec_b32 s28, s28
	v_mov_b32_e32 v4, 0x7f800001
	s_xor_b32 exec_lo, exec_lo, s28
	s_cbranch_execnz .LBB6_4476
.LBB6_3537:                             ;   in Loop: Header=BB6_3357 Depth=2
	s_or_b32 exec_lo, exec_lo, s28
	s_and_saveexec_b32 s28, s13
	s_cbranch_execz .LBB6_3539
.LBB6_3538:                             ;   in Loop: Header=BB6_3357 Depth=2
	v_and_b32_e32 v4, 0xffff, v1
	v_lshlrev_b32_e32 v1, 24, v1
	v_and_b32_e32 v5, 7, v4
	v_bfe_u32 v9, v4, 3, 4
	v_and_b32_e32 v1, 0x80000000, v1
	v_ffbh_u32_e32 v7, v5
	v_cmp_eq_u32_e32 vcc_lo, 0, v9
	v_min_u32_e32 v7, 32, v7
	v_subrev_nc_u32_e32 v8, 28, v7
	v_sub_nc_u32_e32 v7, 29, v7
	v_lshlrev_b32_e32 v4, v8, v4
	v_cndmask_b32_e32 v7, v9, v7, vcc_lo
	v_and_b32_e32 v4, 7, v4
	v_cndmask_b32_e32 v4, v5, v4, vcc_lo
	v_lshl_add_u32 v5, v7, 23, 0x3b800000
	v_lshlrev_b32_e32 v4, 20, v4
	v_or3_b32 v4, v1, v5, v4
.LBB6_3539:                             ;   in Loop: Header=BB6_3357 Depth=2
	s_or_b32 exec_lo, exec_lo, s28
	v_mul_f32_e32 v1, v0, v4
	v_mov_b32_e32 v50, 0x80
	s_mov_b32 s28, exec_lo
	v_and_b32_e32 v4, 0x7f800000, v1
	v_cmpx_ne_u32_e32 0x7f800000, v4
	s_cbranch_execz .LBB6_3547
; %bb.3540:                             ;   in Loop: Header=BB6_3357 Depth=2
	v_mov_b32_e32 v50, 0
	s_mov_b32 s29, exec_lo
	v_cmpx_ne_u32_e32 0, v1
	s_cbranch_execz .LBB6_3546
; %bb.3541:                             ;   in Loop: Header=BB6_3357 Depth=2
	v_bfe_u32 v4, v1, 23, 8
	v_and_b32_e32 v5, 0x7fffff, v1
	v_sub_nc_u32_e32 v7, 0x78, v4
	v_cmp_gt_u32_e32 vcc_lo, 0x79, v4
	v_or_b32_e32 v8, 0x800000, v5
	v_cndmask_b32_e32 v7, 0, v7, vcc_lo
	v_cmp_eq_u32_e32 vcc_lo, 0, v4
	v_add_nc_u32_e32 v4, 0xffffff89, v4
	v_cndmask_b32_e64 v7, v7, 0x77, vcc_lo
	v_cndmask_b32_e32 v5, v8, v5, vcc_lo
	v_cndmask_b32_e64 v4, v4, 0xffffff8a, vcc_lo
	v_lshl_add_u32 v8, 0x100000, v7, -1
	v_lshrrev_b32_e32 v9, v7, v5
	v_lshlrev_b32_e64 v17, v7, 0x80000
	v_add_nc_u32_e32 v7, v7, v4
	v_and_b32_e32 v5, v8, v5
	v_bfe_u32 v16, v9, 20, 1
	v_cmp_eq_u32_e64 s13, v5, v17
	v_add_nc_u32_e32 v8, -1, v16
	v_cndmask_b32_e64 v5, 0, v8, s13
	v_lshrrev_b32_e32 v8, 23, v9
	s_mov_b32 s13, exec_lo
	v_add_nc_u32_e32 v5, v5, v9
	v_xor_b32_e32 v8, 1, v8
	v_and_b32_e32 v4, 0xfffff, v5
	v_add_nc_u32_e32 v5, v4, v9
                                        ; implicit-def: $vgpr4
	v_cmpx_ne_u32_e64 v7, v8
	s_xor_b32 s13, exec_lo, s13
; %bb.3542:                             ;   in Loop: Header=BB6_3357 Depth=2
	v_cmp_lt_u32_e32 vcc_lo, 0xffffff, v5
	v_sub_nc_u32_e32 v4, v7, v8
	v_cndmask_b32_e64 v7, 0, 1, vcc_lo
	v_add_co_ci_u32_e64 v4, null, 0, v4, vcc_lo
	v_lshrrev_b32_e32 v5, v7, v5
; %bb.3543:                             ;   in Loop: Header=BB6_3357 Depth=2
	s_andn2_saveexec_b32 s13, s13
; %bb.3544:                             ;   in Loop: Header=BB6_3357 Depth=2
	v_bfe_u32 v4, v5, 23, 1
; %bb.3545:                             ;   in Loop: Header=BB6_3357 Depth=2
	s_or_b32 exec_lo, exec_lo, s13
	v_lshrrev_b32_e32 v5, 20, v5
	v_cmp_gt_i32_e32 vcc_lo, 16, v4
	v_min_i32_e32 v7, 15, v4
	v_and_b32_sdwa v1, v1, v114 dst_sel:DWORD dst_unused:UNUSED_PAD src0_sel:BYTE_3 src1_sel:DWORD
	v_cndmask_b32_e32 v5, 7, v5, vcc_lo
	v_lshlrev_b32_e32 v7, 3, v7
	v_and_b32_e32 v8, 7, v5
	v_or_b32_e32 v4, v4, v5
	v_or3_b32 v1, v7, v1, v8
	v_cmp_ne_u32_e32 vcc_lo, 0, v4
	v_cndmask_b32_e32 v50, 0, v1, vcc_lo
.LBB6_3546:                             ;   in Loop: Header=BB6_3357 Depth=2
	s_or_b32 exec_lo, exec_lo, s29
.LBB6_3547:                             ;   in Loop: Header=BB6_3357 Depth=2
	s_or_b32 exec_lo, exec_lo, s28
	flat_load_ubyte v1, v[10:11] offset:416 slc
	s_mov_b32 s13, 0
	s_mov_b32 s28, exec_lo
	s_waitcnt vmcnt(0) lgkmcnt(0)
	v_cmpx_lt_i16_e32 0x7f, v1
	s_xor_b32 s28, exec_lo, s28
	s_cbranch_execz .LBB6_4477
; %bb.3548:                             ;   in Loop: Header=BB6_3357 Depth=2
	s_mov_b32 s13, -1
	s_mov_b32 s29, exec_lo
	v_cmpx_eq_u16_e32 0x80, v1
; %bb.3549:                             ;   in Loop: Header=BB6_3357 Depth=2
	s_xor_b32 s13, exec_lo, -1
; %bb.3550:                             ;   in Loop: Header=BB6_3357 Depth=2
	s_or_b32 exec_lo, exec_lo, s29
	s_and_b32 s13, s13, exec_lo
	s_or_saveexec_b32 s28, s28
	v_mov_b32_e32 v4, 0x7f800001
	s_xor_b32 exec_lo, exec_lo, s28
	s_cbranch_execnz .LBB6_4478
.LBB6_3551:                             ;   in Loop: Header=BB6_3357 Depth=2
	s_or_b32 exec_lo, exec_lo, s28
	s_and_saveexec_b32 s28, s13
	s_cbranch_execz .LBB6_3553
.LBB6_3552:                             ;   in Loop: Header=BB6_3357 Depth=2
	v_and_b32_e32 v4, 0xffff, v1
	v_lshlrev_b32_e32 v1, 24, v1
	v_and_b32_e32 v5, 7, v4
	v_bfe_u32 v9, v4, 3, 4
	v_and_b32_e32 v1, 0x80000000, v1
	v_ffbh_u32_e32 v7, v5
	v_cmp_eq_u32_e32 vcc_lo, 0, v9
	v_min_u32_e32 v7, 32, v7
	v_subrev_nc_u32_e32 v8, 28, v7
	v_sub_nc_u32_e32 v7, 29, v7
	v_lshlrev_b32_e32 v4, v8, v4
	v_cndmask_b32_e32 v7, v9, v7, vcc_lo
	v_and_b32_e32 v4, 7, v4
	v_cndmask_b32_e32 v4, v5, v4, vcc_lo
	v_lshl_add_u32 v5, v7, 23, 0x3b800000
	v_lshlrev_b32_e32 v4, 20, v4
	v_or3_b32 v4, v1, v5, v4
.LBB6_3553:                             ;   in Loop: Header=BB6_3357 Depth=2
	s_or_b32 exec_lo, exec_lo, s28
	v_mul_f32_e32 v1, v0, v4
	v_mov_b32_e32 v49, 0x80
	s_mov_b32 s28, exec_lo
	v_and_b32_e32 v4, 0x7f800000, v1
	v_cmpx_ne_u32_e32 0x7f800000, v4
	s_cbranch_execz .LBB6_3561
; %bb.3554:                             ;   in Loop: Header=BB6_3357 Depth=2
	v_mov_b32_e32 v49, 0
	s_mov_b32 s29, exec_lo
	v_cmpx_ne_u32_e32 0, v1
	s_cbranch_execz .LBB6_3560
; %bb.3555:                             ;   in Loop: Header=BB6_3357 Depth=2
	v_bfe_u32 v4, v1, 23, 8
	v_and_b32_e32 v5, 0x7fffff, v1
	v_sub_nc_u32_e32 v7, 0x78, v4
	v_cmp_gt_u32_e32 vcc_lo, 0x79, v4
	v_or_b32_e32 v8, 0x800000, v5
	v_cndmask_b32_e32 v7, 0, v7, vcc_lo
	v_cmp_eq_u32_e32 vcc_lo, 0, v4
	v_add_nc_u32_e32 v4, 0xffffff89, v4
	v_cndmask_b32_e64 v7, v7, 0x77, vcc_lo
	v_cndmask_b32_e32 v5, v8, v5, vcc_lo
	v_cndmask_b32_e64 v4, v4, 0xffffff8a, vcc_lo
	v_lshl_add_u32 v8, 0x100000, v7, -1
	v_lshrrev_b32_e32 v9, v7, v5
	v_lshlrev_b32_e64 v17, v7, 0x80000
	v_add_nc_u32_e32 v7, v7, v4
	v_and_b32_e32 v5, v8, v5
	v_bfe_u32 v16, v9, 20, 1
	v_cmp_eq_u32_e64 s13, v5, v17
	v_add_nc_u32_e32 v8, -1, v16
	v_cndmask_b32_e64 v5, 0, v8, s13
	v_lshrrev_b32_e32 v8, 23, v9
	s_mov_b32 s13, exec_lo
	v_add_nc_u32_e32 v5, v5, v9
	v_xor_b32_e32 v8, 1, v8
	v_and_b32_e32 v4, 0xfffff, v5
	v_add_nc_u32_e32 v5, v4, v9
                                        ; implicit-def: $vgpr4
	v_cmpx_ne_u32_e64 v7, v8
	s_xor_b32 s13, exec_lo, s13
; %bb.3556:                             ;   in Loop: Header=BB6_3357 Depth=2
	v_cmp_lt_u32_e32 vcc_lo, 0xffffff, v5
	v_sub_nc_u32_e32 v4, v7, v8
	v_cndmask_b32_e64 v7, 0, 1, vcc_lo
	v_add_co_ci_u32_e64 v4, null, 0, v4, vcc_lo
	v_lshrrev_b32_e32 v5, v7, v5
; %bb.3557:                             ;   in Loop: Header=BB6_3357 Depth=2
	s_andn2_saveexec_b32 s13, s13
; %bb.3558:                             ;   in Loop: Header=BB6_3357 Depth=2
	v_bfe_u32 v4, v5, 23, 1
; %bb.3559:                             ;   in Loop: Header=BB6_3357 Depth=2
	s_or_b32 exec_lo, exec_lo, s13
	v_lshrrev_b32_e32 v5, 20, v5
	v_cmp_gt_i32_e32 vcc_lo, 16, v4
	v_min_i32_e32 v7, 15, v4
	v_and_b32_sdwa v1, v1, v114 dst_sel:DWORD dst_unused:UNUSED_PAD src0_sel:BYTE_3 src1_sel:DWORD
	v_cndmask_b32_e32 v5, 7, v5, vcc_lo
	v_lshlrev_b32_e32 v7, 3, v7
	v_and_b32_e32 v8, 7, v5
	v_or_b32_e32 v4, v4, v5
	v_or3_b32 v1, v7, v1, v8
	v_cmp_ne_u32_e32 vcc_lo, 0, v4
	v_cndmask_b32_e32 v49, 0, v1, vcc_lo
.LBB6_3560:                             ;   in Loop: Header=BB6_3357 Depth=2
	s_or_b32 exec_lo, exec_lo, s29
.LBB6_3561:                             ;   in Loop: Header=BB6_3357 Depth=2
	s_or_b32 exec_lo, exec_lo, s28
	flat_load_ubyte v1, v[10:11] offset:448 slc
	s_mov_b32 s13, 0
	s_mov_b32 s28, exec_lo
	s_waitcnt vmcnt(0) lgkmcnt(0)
	v_cmpx_lt_i16_e32 0x7f, v1
	s_xor_b32 s28, exec_lo, s28
	s_cbranch_execz .LBB6_4479
; %bb.3562:                             ;   in Loop: Header=BB6_3357 Depth=2
	s_mov_b32 s13, -1
	s_mov_b32 s29, exec_lo
	v_cmpx_eq_u16_e32 0x80, v1
; %bb.3563:                             ;   in Loop: Header=BB6_3357 Depth=2
	s_xor_b32 s13, exec_lo, -1
; %bb.3564:                             ;   in Loop: Header=BB6_3357 Depth=2
	s_or_b32 exec_lo, exec_lo, s29
	s_and_b32 s13, s13, exec_lo
	s_or_saveexec_b32 s28, s28
	v_mov_b32_e32 v4, 0x7f800001
	s_xor_b32 exec_lo, exec_lo, s28
	s_cbranch_execnz .LBB6_4480
.LBB6_3565:                             ;   in Loop: Header=BB6_3357 Depth=2
	s_or_b32 exec_lo, exec_lo, s28
	s_and_saveexec_b32 s28, s13
	s_cbranch_execz .LBB6_3567
.LBB6_3566:                             ;   in Loop: Header=BB6_3357 Depth=2
	v_and_b32_e32 v4, 0xffff, v1
	v_lshlrev_b32_e32 v1, 24, v1
	v_and_b32_e32 v5, 7, v4
	v_bfe_u32 v9, v4, 3, 4
	v_and_b32_e32 v1, 0x80000000, v1
	v_ffbh_u32_e32 v7, v5
	v_cmp_eq_u32_e32 vcc_lo, 0, v9
	v_min_u32_e32 v7, 32, v7
	v_subrev_nc_u32_e32 v8, 28, v7
	v_sub_nc_u32_e32 v7, 29, v7
	v_lshlrev_b32_e32 v4, v8, v4
	v_cndmask_b32_e32 v7, v9, v7, vcc_lo
	v_and_b32_e32 v4, 7, v4
	v_cndmask_b32_e32 v4, v5, v4, vcc_lo
	v_lshl_add_u32 v5, v7, 23, 0x3b800000
	v_lshlrev_b32_e32 v4, 20, v4
	v_or3_b32 v4, v1, v5, v4
.LBB6_3567:                             ;   in Loop: Header=BB6_3357 Depth=2
	s_or_b32 exec_lo, exec_lo, s28
	v_mul_f32_e32 v1, v0, v4
	v_mov_b32_e32 v48, 0x80
	s_mov_b32 s28, exec_lo
	v_and_b32_e32 v4, 0x7f800000, v1
	v_cmpx_ne_u32_e32 0x7f800000, v4
	s_cbranch_execz .LBB6_3575
; %bb.3568:                             ;   in Loop: Header=BB6_3357 Depth=2
	v_mov_b32_e32 v48, 0
	s_mov_b32 s29, exec_lo
	v_cmpx_ne_u32_e32 0, v1
	s_cbranch_execz .LBB6_3574
; %bb.3569:                             ;   in Loop: Header=BB6_3357 Depth=2
	v_bfe_u32 v4, v1, 23, 8
	v_and_b32_e32 v5, 0x7fffff, v1
	v_sub_nc_u32_e32 v7, 0x78, v4
	v_cmp_gt_u32_e32 vcc_lo, 0x79, v4
	v_or_b32_e32 v8, 0x800000, v5
	v_cndmask_b32_e32 v7, 0, v7, vcc_lo
	v_cmp_eq_u32_e32 vcc_lo, 0, v4
	v_add_nc_u32_e32 v4, 0xffffff89, v4
	v_cndmask_b32_e64 v7, v7, 0x77, vcc_lo
	v_cndmask_b32_e32 v5, v8, v5, vcc_lo
	v_cndmask_b32_e64 v4, v4, 0xffffff8a, vcc_lo
	v_lshl_add_u32 v8, 0x100000, v7, -1
	v_lshrrev_b32_e32 v9, v7, v5
	v_lshlrev_b32_e64 v17, v7, 0x80000
	v_add_nc_u32_e32 v7, v7, v4
	v_and_b32_e32 v5, v8, v5
	v_bfe_u32 v16, v9, 20, 1
	v_cmp_eq_u32_e64 s13, v5, v17
	v_add_nc_u32_e32 v8, -1, v16
	v_cndmask_b32_e64 v5, 0, v8, s13
	v_lshrrev_b32_e32 v8, 23, v9
	s_mov_b32 s13, exec_lo
	v_add_nc_u32_e32 v5, v5, v9
	v_xor_b32_e32 v8, 1, v8
	v_and_b32_e32 v4, 0xfffff, v5
	v_add_nc_u32_e32 v5, v4, v9
                                        ; implicit-def: $vgpr4
	v_cmpx_ne_u32_e64 v7, v8
	s_xor_b32 s13, exec_lo, s13
; %bb.3570:                             ;   in Loop: Header=BB6_3357 Depth=2
	v_cmp_lt_u32_e32 vcc_lo, 0xffffff, v5
	v_sub_nc_u32_e32 v4, v7, v8
	v_cndmask_b32_e64 v7, 0, 1, vcc_lo
	v_add_co_ci_u32_e64 v4, null, 0, v4, vcc_lo
	v_lshrrev_b32_e32 v5, v7, v5
; %bb.3571:                             ;   in Loop: Header=BB6_3357 Depth=2
	s_andn2_saveexec_b32 s13, s13
; %bb.3572:                             ;   in Loop: Header=BB6_3357 Depth=2
	v_bfe_u32 v4, v5, 23, 1
; %bb.3573:                             ;   in Loop: Header=BB6_3357 Depth=2
	s_or_b32 exec_lo, exec_lo, s13
	v_lshrrev_b32_e32 v5, 20, v5
	v_cmp_gt_i32_e32 vcc_lo, 16, v4
	v_min_i32_e32 v7, 15, v4
	v_and_b32_sdwa v1, v1, v114 dst_sel:DWORD dst_unused:UNUSED_PAD src0_sel:BYTE_3 src1_sel:DWORD
	v_cndmask_b32_e32 v5, 7, v5, vcc_lo
	v_lshlrev_b32_e32 v7, 3, v7
	v_and_b32_e32 v8, 7, v5
	v_or_b32_e32 v4, v4, v5
	v_or3_b32 v1, v7, v1, v8
	v_cmp_ne_u32_e32 vcc_lo, 0, v4
	v_cndmask_b32_e32 v48, 0, v1, vcc_lo
.LBB6_3574:                             ;   in Loop: Header=BB6_3357 Depth=2
	s_or_b32 exec_lo, exec_lo, s29
.LBB6_3575:                             ;   in Loop: Header=BB6_3357 Depth=2
	s_or_b32 exec_lo, exec_lo, s28
	flat_load_ubyte v1, v[10:11] offset:480 slc
	s_mov_b32 s13, 0
	s_mov_b32 s28, exec_lo
	s_waitcnt vmcnt(0) lgkmcnt(0)
	v_cmpx_lt_i16_e32 0x7f, v1
	s_xor_b32 s28, exec_lo, s28
	s_cbranch_execz .LBB6_4481
; %bb.3576:                             ;   in Loop: Header=BB6_3357 Depth=2
	s_mov_b32 s13, -1
	s_mov_b32 s29, exec_lo
	v_cmpx_eq_u16_e32 0x80, v1
; %bb.3577:                             ;   in Loop: Header=BB6_3357 Depth=2
	s_xor_b32 s13, exec_lo, -1
; %bb.3578:                             ;   in Loop: Header=BB6_3357 Depth=2
	s_or_b32 exec_lo, exec_lo, s29
	s_and_b32 s13, s13, exec_lo
	s_or_saveexec_b32 s28, s28
	v_mov_b32_e32 v4, 0x7f800001
	s_xor_b32 exec_lo, exec_lo, s28
	s_cbranch_execnz .LBB6_4482
.LBB6_3579:                             ;   in Loop: Header=BB6_3357 Depth=2
	s_or_b32 exec_lo, exec_lo, s28
	s_and_saveexec_b32 s28, s13
	s_cbranch_execz .LBB6_3581
.LBB6_3580:                             ;   in Loop: Header=BB6_3357 Depth=2
	v_and_b32_e32 v4, 0xffff, v1
	v_lshlrev_b32_e32 v1, 24, v1
	v_and_b32_e32 v5, 7, v4
	v_bfe_u32 v9, v4, 3, 4
	v_and_b32_e32 v1, 0x80000000, v1
	v_ffbh_u32_e32 v7, v5
	v_cmp_eq_u32_e32 vcc_lo, 0, v9
	v_min_u32_e32 v7, 32, v7
	v_subrev_nc_u32_e32 v8, 28, v7
	v_sub_nc_u32_e32 v7, 29, v7
	v_lshlrev_b32_e32 v4, v8, v4
	v_cndmask_b32_e32 v7, v9, v7, vcc_lo
	v_and_b32_e32 v4, 7, v4
	v_cndmask_b32_e32 v4, v5, v4, vcc_lo
	v_lshl_add_u32 v5, v7, 23, 0x3b800000
	v_lshlrev_b32_e32 v4, 20, v4
	v_or3_b32 v4, v1, v5, v4
.LBB6_3581:                             ;   in Loop: Header=BB6_3357 Depth=2
	s_or_b32 exec_lo, exec_lo, s28
	v_mul_f32_e32 v1, v0, v4
	v_mov_b32_e32 v36, 0x80
	s_mov_b32 s28, exec_lo
	v_and_b32_e32 v4, 0x7f800000, v1
	v_cmpx_ne_u32_e32 0x7f800000, v4
	s_cbranch_execz .LBB6_3589
; %bb.3582:                             ;   in Loop: Header=BB6_3357 Depth=2
	v_mov_b32_e32 v36, 0
	s_mov_b32 s29, exec_lo
	v_cmpx_ne_u32_e32 0, v1
	s_cbranch_execz .LBB6_3588
; %bb.3583:                             ;   in Loop: Header=BB6_3357 Depth=2
	v_bfe_u32 v4, v1, 23, 8
	v_and_b32_e32 v5, 0x7fffff, v1
	v_sub_nc_u32_e32 v7, 0x78, v4
	v_cmp_gt_u32_e32 vcc_lo, 0x79, v4
	v_or_b32_e32 v8, 0x800000, v5
	v_cndmask_b32_e32 v7, 0, v7, vcc_lo
	v_cmp_eq_u32_e32 vcc_lo, 0, v4
	v_add_nc_u32_e32 v4, 0xffffff89, v4
	v_cndmask_b32_e64 v7, v7, 0x77, vcc_lo
	v_cndmask_b32_e32 v5, v8, v5, vcc_lo
	v_cndmask_b32_e64 v4, v4, 0xffffff8a, vcc_lo
	v_lshl_add_u32 v8, 0x100000, v7, -1
	v_lshrrev_b32_e32 v9, v7, v5
	v_lshlrev_b32_e64 v17, v7, 0x80000
	v_add_nc_u32_e32 v7, v7, v4
	v_and_b32_e32 v5, v8, v5
	v_bfe_u32 v16, v9, 20, 1
	v_cmp_eq_u32_e64 s13, v5, v17
	v_add_nc_u32_e32 v8, -1, v16
	v_cndmask_b32_e64 v5, 0, v8, s13
	v_lshrrev_b32_e32 v8, 23, v9
	s_mov_b32 s13, exec_lo
	v_add_nc_u32_e32 v5, v5, v9
	v_xor_b32_e32 v8, 1, v8
	v_and_b32_e32 v4, 0xfffff, v5
	v_add_nc_u32_e32 v5, v4, v9
                                        ; implicit-def: $vgpr4
	v_cmpx_ne_u32_e64 v7, v8
	s_xor_b32 s13, exec_lo, s13
; %bb.3584:                             ;   in Loop: Header=BB6_3357 Depth=2
	v_cmp_lt_u32_e32 vcc_lo, 0xffffff, v5
	v_sub_nc_u32_e32 v4, v7, v8
	v_cndmask_b32_e64 v7, 0, 1, vcc_lo
	v_add_co_ci_u32_e64 v4, null, 0, v4, vcc_lo
	v_lshrrev_b32_e32 v5, v7, v5
; %bb.3585:                             ;   in Loop: Header=BB6_3357 Depth=2
	s_andn2_saveexec_b32 s13, s13
; %bb.3586:                             ;   in Loop: Header=BB6_3357 Depth=2
	v_bfe_u32 v4, v5, 23, 1
; %bb.3587:                             ;   in Loop: Header=BB6_3357 Depth=2
	s_or_b32 exec_lo, exec_lo, s13
	v_lshrrev_b32_e32 v5, 20, v5
	v_cmp_gt_i32_e32 vcc_lo, 16, v4
	v_min_i32_e32 v7, 15, v4
	v_and_b32_sdwa v1, v1, v114 dst_sel:DWORD dst_unused:UNUSED_PAD src0_sel:BYTE_3 src1_sel:DWORD
	v_cndmask_b32_e32 v5, 7, v5, vcc_lo
	v_lshlrev_b32_e32 v7, 3, v7
	v_and_b32_e32 v8, 7, v5
	v_or_b32_e32 v4, v4, v5
	v_or3_b32 v1, v7, v1, v8
	v_cmp_ne_u32_e32 vcc_lo, 0, v4
	v_cndmask_b32_e32 v36, 0, v1, vcc_lo
.LBB6_3588:                             ;   in Loop: Header=BB6_3357 Depth=2
	s_or_b32 exec_lo, exec_lo, s29
.LBB6_3589:                             ;   in Loop: Header=BB6_3357 Depth=2
	s_or_b32 exec_lo, exec_lo, s28
	flat_load_ubyte v1, v[10:11] offset:512 slc
	s_mov_b32 s13, 0
	s_mov_b32 s28, exec_lo
	s_waitcnt vmcnt(0) lgkmcnt(0)
	v_cmpx_lt_i16_e32 0x7f, v1
	s_xor_b32 s28, exec_lo, s28
	s_cbranch_execz .LBB6_4483
; %bb.3590:                             ;   in Loop: Header=BB6_3357 Depth=2
	s_mov_b32 s13, -1
	s_mov_b32 s29, exec_lo
	v_cmpx_eq_u16_e32 0x80, v1
; %bb.3591:                             ;   in Loop: Header=BB6_3357 Depth=2
	s_xor_b32 s13, exec_lo, -1
; %bb.3592:                             ;   in Loop: Header=BB6_3357 Depth=2
	s_or_b32 exec_lo, exec_lo, s29
	s_and_b32 s13, s13, exec_lo
	s_or_saveexec_b32 s28, s28
	v_mov_b32_e32 v4, 0x7f800001
	s_xor_b32 exec_lo, exec_lo, s28
	s_cbranch_execnz .LBB6_4484
.LBB6_3593:                             ;   in Loop: Header=BB6_3357 Depth=2
	s_or_b32 exec_lo, exec_lo, s28
	s_and_saveexec_b32 s28, s13
	s_cbranch_execz .LBB6_3595
.LBB6_3594:                             ;   in Loop: Header=BB6_3357 Depth=2
	v_and_b32_e32 v4, 0xffff, v1
	v_lshlrev_b32_e32 v1, 24, v1
	v_and_b32_e32 v5, 7, v4
	v_bfe_u32 v9, v4, 3, 4
	v_and_b32_e32 v1, 0x80000000, v1
	v_ffbh_u32_e32 v7, v5
	v_cmp_eq_u32_e32 vcc_lo, 0, v9
	v_min_u32_e32 v7, 32, v7
	v_subrev_nc_u32_e32 v8, 28, v7
	v_sub_nc_u32_e32 v7, 29, v7
	v_lshlrev_b32_e32 v4, v8, v4
	v_cndmask_b32_e32 v7, v9, v7, vcc_lo
	v_and_b32_e32 v4, 7, v4
	v_cndmask_b32_e32 v4, v5, v4, vcc_lo
	v_lshl_add_u32 v5, v7, 23, 0x3b800000
	v_lshlrev_b32_e32 v4, 20, v4
	v_or3_b32 v4, v1, v5, v4
.LBB6_3595:                             ;   in Loop: Header=BB6_3357 Depth=2
	s_or_b32 exec_lo, exec_lo, s28
	v_mul_f32_e32 v1, v0, v4
	v_mov_b32_e32 v35, 0x80
	s_mov_b32 s28, exec_lo
	v_and_b32_e32 v4, 0x7f800000, v1
	v_cmpx_ne_u32_e32 0x7f800000, v4
	s_cbranch_execz .LBB6_3603
; %bb.3596:                             ;   in Loop: Header=BB6_3357 Depth=2
	v_mov_b32_e32 v35, 0
	s_mov_b32 s29, exec_lo
	v_cmpx_ne_u32_e32 0, v1
	s_cbranch_execz .LBB6_3602
; %bb.3597:                             ;   in Loop: Header=BB6_3357 Depth=2
	v_bfe_u32 v4, v1, 23, 8
	v_and_b32_e32 v5, 0x7fffff, v1
	v_sub_nc_u32_e32 v7, 0x78, v4
	v_cmp_gt_u32_e32 vcc_lo, 0x79, v4
	v_or_b32_e32 v8, 0x800000, v5
	v_cndmask_b32_e32 v7, 0, v7, vcc_lo
	v_cmp_eq_u32_e32 vcc_lo, 0, v4
	v_add_nc_u32_e32 v4, 0xffffff89, v4
	v_cndmask_b32_e64 v7, v7, 0x77, vcc_lo
	v_cndmask_b32_e32 v5, v8, v5, vcc_lo
	v_cndmask_b32_e64 v4, v4, 0xffffff8a, vcc_lo
	v_lshl_add_u32 v8, 0x100000, v7, -1
	v_lshrrev_b32_e32 v9, v7, v5
	v_lshlrev_b32_e64 v17, v7, 0x80000
	v_add_nc_u32_e32 v7, v7, v4
	v_and_b32_e32 v5, v8, v5
	v_bfe_u32 v16, v9, 20, 1
	v_cmp_eq_u32_e64 s13, v5, v17
	v_add_nc_u32_e32 v8, -1, v16
	v_cndmask_b32_e64 v5, 0, v8, s13
	v_lshrrev_b32_e32 v8, 23, v9
	s_mov_b32 s13, exec_lo
	v_add_nc_u32_e32 v5, v5, v9
	v_xor_b32_e32 v8, 1, v8
	v_and_b32_e32 v4, 0xfffff, v5
	v_add_nc_u32_e32 v5, v4, v9
                                        ; implicit-def: $vgpr4
	v_cmpx_ne_u32_e64 v7, v8
	s_xor_b32 s13, exec_lo, s13
; %bb.3598:                             ;   in Loop: Header=BB6_3357 Depth=2
	v_cmp_lt_u32_e32 vcc_lo, 0xffffff, v5
	v_sub_nc_u32_e32 v4, v7, v8
	v_cndmask_b32_e64 v7, 0, 1, vcc_lo
	v_add_co_ci_u32_e64 v4, null, 0, v4, vcc_lo
	v_lshrrev_b32_e32 v5, v7, v5
; %bb.3599:                             ;   in Loop: Header=BB6_3357 Depth=2
	s_andn2_saveexec_b32 s13, s13
; %bb.3600:                             ;   in Loop: Header=BB6_3357 Depth=2
	v_bfe_u32 v4, v5, 23, 1
; %bb.3601:                             ;   in Loop: Header=BB6_3357 Depth=2
	s_or_b32 exec_lo, exec_lo, s13
	v_lshrrev_b32_e32 v5, 20, v5
	v_cmp_gt_i32_e32 vcc_lo, 16, v4
	v_min_i32_e32 v7, 15, v4
	v_and_b32_sdwa v1, v1, v114 dst_sel:DWORD dst_unused:UNUSED_PAD src0_sel:BYTE_3 src1_sel:DWORD
	v_cndmask_b32_e32 v5, 7, v5, vcc_lo
	v_lshlrev_b32_e32 v7, 3, v7
	v_and_b32_e32 v8, 7, v5
	v_or_b32_e32 v4, v4, v5
	v_or3_b32 v1, v7, v1, v8
	v_cmp_ne_u32_e32 vcc_lo, 0, v4
	v_cndmask_b32_e32 v35, 0, v1, vcc_lo
.LBB6_3602:                             ;   in Loop: Header=BB6_3357 Depth=2
	s_or_b32 exec_lo, exec_lo, s29
.LBB6_3603:                             ;   in Loop: Header=BB6_3357 Depth=2
	s_or_b32 exec_lo, exec_lo, s28
	flat_load_ubyte v1, v[10:11] offset:544 slc
	s_mov_b32 s13, 0
	s_mov_b32 s28, exec_lo
	s_waitcnt vmcnt(0) lgkmcnt(0)
	v_cmpx_lt_i16_e32 0x7f, v1
	s_xor_b32 s28, exec_lo, s28
	s_cbranch_execz .LBB6_4485
; %bb.3604:                             ;   in Loop: Header=BB6_3357 Depth=2
	s_mov_b32 s13, -1
	s_mov_b32 s29, exec_lo
	v_cmpx_eq_u16_e32 0x80, v1
; %bb.3605:                             ;   in Loop: Header=BB6_3357 Depth=2
	s_xor_b32 s13, exec_lo, -1
; %bb.3606:                             ;   in Loop: Header=BB6_3357 Depth=2
	s_or_b32 exec_lo, exec_lo, s29
	s_and_b32 s13, s13, exec_lo
	s_or_saveexec_b32 s28, s28
	v_mov_b32_e32 v4, 0x7f800001
	s_xor_b32 exec_lo, exec_lo, s28
	s_cbranch_execnz .LBB6_4486
.LBB6_3607:                             ;   in Loop: Header=BB6_3357 Depth=2
	s_or_b32 exec_lo, exec_lo, s28
	s_and_saveexec_b32 s28, s13
	s_cbranch_execz .LBB6_3609
.LBB6_3608:                             ;   in Loop: Header=BB6_3357 Depth=2
	v_and_b32_e32 v4, 0xffff, v1
	v_lshlrev_b32_e32 v1, 24, v1
	v_and_b32_e32 v5, 7, v4
	v_bfe_u32 v9, v4, 3, 4
	v_and_b32_e32 v1, 0x80000000, v1
	v_ffbh_u32_e32 v7, v5
	v_cmp_eq_u32_e32 vcc_lo, 0, v9
	v_min_u32_e32 v7, 32, v7
	v_subrev_nc_u32_e32 v8, 28, v7
	v_sub_nc_u32_e32 v7, 29, v7
	v_lshlrev_b32_e32 v4, v8, v4
	v_cndmask_b32_e32 v7, v9, v7, vcc_lo
	v_and_b32_e32 v4, 7, v4
	v_cndmask_b32_e32 v4, v5, v4, vcc_lo
	v_lshl_add_u32 v5, v7, 23, 0x3b800000
	v_lshlrev_b32_e32 v4, 20, v4
	v_or3_b32 v4, v1, v5, v4
.LBB6_3609:                             ;   in Loop: Header=BB6_3357 Depth=2
	s_or_b32 exec_lo, exec_lo, s28
	v_mul_f32_e32 v1, v0, v4
	v_mov_b32_e32 v33, 0x80
	s_mov_b32 s28, exec_lo
	v_and_b32_e32 v4, 0x7f800000, v1
	v_cmpx_ne_u32_e32 0x7f800000, v4
	s_cbranch_execz .LBB6_3617
; %bb.3610:                             ;   in Loop: Header=BB6_3357 Depth=2
	v_mov_b32_e32 v33, 0
	s_mov_b32 s29, exec_lo
	v_cmpx_ne_u32_e32 0, v1
	s_cbranch_execz .LBB6_3616
; %bb.3611:                             ;   in Loop: Header=BB6_3357 Depth=2
	v_bfe_u32 v4, v1, 23, 8
	v_and_b32_e32 v5, 0x7fffff, v1
	v_sub_nc_u32_e32 v7, 0x78, v4
	v_cmp_gt_u32_e32 vcc_lo, 0x79, v4
	v_or_b32_e32 v8, 0x800000, v5
	v_cndmask_b32_e32 v7, 0, v7, vcc_lo
	v_cmp_eq_u32_e32 vcc_lo, 0, v4
	v_add_nc_u32_e32 v4, 0xffffff89, v4
	v_cndmask_b32_e64 v7, v7, 0x77, vcc_lo
	v_cndmask_b32_e32 v5, v8, v5, vcc_lo
	v_cndmask_b32_e64 v4, v4, 0xffffff8a, vcc_lo
	v_lshl_add_u32 v8, 0x100000, v7, -1
	v_lshrrev_b32_e32 v9, v7, v5
	v_lshlrev_b32_e64 v17, v7, 0x80000
	v_add_nc_u32_e32 v7, v7, v4
	v_and_b32_e32 v5, v8, v5
	v_bfe_u32 v16, v9, 20, 1
	v_cmp_eq_u32_e64 s13, v5, v17
	v_add_nc_u32_e32 v8, -1, v16
	v_cndmask_b32_e64 v5, 0, v8, s13
	v_lshrrev_b32_e32 v8, 23, v9
	s_mov_b32 s13, exec_lo
	v_add_nc_u32_e32 v5, v5, v9
	v_xor_b32_e32 v8, 1, v8
	v_and_b32_e32 v4, 0xfffff, v5
	v_add_nc_u32_e32 v5, v4, v9
                                        ; implicit-def: $vgpr4
	v_cmpx_ne_u32_e64 v7, v8
	s_xor_b32 s13, exec_lo, s13
; %bb.3612:                             ;   in Loop: Header=BB6_3357 Depth=2
	v_cmp_lt_u32_e32 vcc_lo, 0xffffff, v5
	v_sub_nc_u32_e32 v4, v7, v8
	v_cndmask_b32_e64 v7, 0, 1, vcc_lo
	v_add_co_ci_u32_e64 v4, null, 0, v4, vcc_lo
	v_lshrrev_b32_e32 v5, v7, v5
; %bb.3613:                             ;   in Loop: Header=BB6_3357 Depth=2
	s_andn2_saveexec_b32 s13, s13
; %bb.3614:                             ;   in Loop: Header=BB6_3357 Depth=2
	v_bfe_u32 v4, v5, 23, 1
; %bb.3615:                             ;   in Loop: Header=BB6_3357 Depth=2
	s_or_b32 exec_lo, exec_lo, s13
	v_lshrrev_b32_e32 v5, 20, v5
	v_cmp_gt_i32_e32 vcc_lo, 16, v4
	v_min_i32_e32 v7, 15, v4
	v_and_b32_sdwa v1, v1, v114 dst_sel:DWORD dst_unused:UNUSED_PAD src0_sel:BYTE_3 src1_sel:DWORD
	v_cndmask_b32_e32 v5, 7, v5, vcc_lo
	v_lshlrev_b32_e32 v7, 3, v7
	v_and_b32_e32 v8, 7, v5
	v_or_b32_e32 v4, v4, v5
	v_or3_b32 v1, v7, v1, v8
	v_cmp_ne_u32_e32 vcc_lo, 0, v4
	v_cndmask_b32_e32 v33, 0, v1, vcc_lo
.LBB6_3616:                             ;   in Loop: Header=BB6_3357 Depth=2
	s_or_b32 exec_lo, exec_lo, s29
.LBB6_3617:                             ;   in Loop: Header=BB6_3357 Depth=2
	s_or_b32 exec_lo, exec_lo, s28
	flat_load_ubyte v1, v[10:11] offset:576 slc
	s_mov_b32 s13, 0
	s_mov_b32 s28, exec_lo
	s_waitcnt vmcnt(0) lgkmcnt(0)
	v_cmpx_lt_i16_e32 0x7f, v1
	s_xor_b32 s28, exec_lo, s28
	s_cbranch_execz .LBB6_4487
; %bb.3618:                             ;   in Loop: Header=BB6_3357 Depth=2
	s_mov_b32 s13, -1
	s_mov_b32 s29, exec_lo
	v_cmpx_eq_u16_e32 0x80, v1
; %bb.3619:                             ;   in Loop: Header=BB6_3357 Depth=2
	s_xor_b32 s13, exec_lo, -1
; %bb.3620:                             ;   in Loop: Header=BB6_3357 Depth=2
	s_or_b32 exec_lo, exec_lo, s29
	s_and_b32 s13, s13, exec_lo
	s_or_saveexec_b32 s28, s28
	v_mov_b32_e32 v4, 0x7f800001
	s_xor_b32 exec_lo, exec_lo, s28
	s_cbranch_execnz .LBB6_4488
.LBB6_3621:                             ;   in Loop: Header=BB6_3357 Depth=2
	s_or_b32 exec_lo, exec_lo, s28
	s_and_saveexec_b32 s28, s13
	s_cbranch_execz .LBB6_3623
.LBB6_3622:                             ;   in Loop: Header=BB6_3357 Depth=2
	v_and_b32_e32 v4, 0xffff, v1
	v_lshlrev_b32_e32 v1, 24, v1
	v_and_b32_e32 v5, 7, v4
	v_bfe_u32 v9, v4, 3, 4
	v_and_b32_e32 v1, 0x80000000, v1
	v_ffbh_u32_e32 v7, v5
	v_cmp_eq_u32_e32 vcc_lo, 0, v9
	v_min_u32_e32 v7, 32, v7
	v_subrev_nc_u32_e32 v8, 28, v7
	v_sub_nc_u32_e32 v7, 29, v7
	v_lshlrev_b32_e32 v4, v8, v4
	v_cndmask_b32_e32 v7, v9, v7, vcc_lo
	v_and_b32_e32 v4, 7, v4
	v_cndmask_b32_e32 v4, v5, v4, vcc_lo
	v_lshl_add_u32 v5, v7, 23, 0x3b800000
	v_lshlrev_b32_e32 v4, 20, v4
	v_or3_b32 v4, v1, v5, v4
.LBB6_3623:                             ;   in Loop: Header=BB6_3357 Depth=2
	s_or_b32 exec_lo, exec_lo, s28
	v_mul_f32_e32 v1, v0, v4
	v_mov_b32_e32 v31, 0x80
	s_mov_b32 s28, exec_lo
	v_and_b32_e32 v4, 0x7f800000, v1
	v_cmpx_ne_u32_e32 0x7f800000, v4
	s_cbranch_execz .LBB6_3631
; %bb.3624:                             ;   in Loop: Header=BB6_3357 Depth=2
	v_mov_b32_e32 v31, 0
	s_mov_b32 s29, exec_lo
	v_cmpx_ne_u32_e32 0, v1
	s_cbranch_execz .LBB6_3630
; %bb.3625:                             ;   in Loop: Header=BB6_3357 Depth=2
	v_bfe_u32 v4, v1, 23, 8
	v_and_b32_e32 v5, 0x7fffff, v1
	v_sub_nc_u32_e32 v7, 0x78, v4
	v_cmp_gt_u32_e32 vcc_lo, 0x79, v4
	v_or_b32_e32 v8, 0x800000, v5
	v_cndmask_b32_e32 v7, 0, v7, vcc_lo
	v_cmp_eq_u32_e32 vcc_lo, 0, v4
	v_add_nc_u32_e32 v4, 0xffffff89, v4
	v_cndmask_b32_e64 v7, v7, 0x77, vcc_lo
	v_cndmask_b32_e32 v5, v8, v5, vcc_lo
	v_cndmask_b32_e64 v4, v4, 0xffffff8a, vcc_lo
	v_lshl_add_u32 v8, 0x100000, v7, -1
	v_lshrrev_b32_e32 v9, v7, v5
	v_lshlrev_b32_e64 v17, v7, 0x80000
	v_add_nc_u32_e32 v7, v7, v4
	v_and_b32_e32 v5, v8, v5
	v_bfe_u32 v16, v9, 20, 1
	v_cmp_eq_u32_e64 s13, v5, v17
	v_add_nc_u32_e32 v8, -1, v16
	v_cndmask_b32_e64 v5, 0, v8, s13
	v_lshrrev_b32_e32 v8, 23, v9
	s_mov_b32 s13, exec_lo
	v_add_nc_u32_e32 v5, v5, v9
	v_xor_b32_e32 v8, 1, v8
	v_and_b32_e32 v4, 0xfffff, v5
	v_add_nc_u32_e32 v5, v4, v9
                                        ; implicit-def: $vgpr4
	v_cmpx_ne_u32_e64 v7, v8
	s_xor_b32 s13, exec_lo, s13
; %bb.3626:                             ;   in Loop: Header=BB6_3357 Depth=2
	v_cmp_lt_u32_e32 vcc_lo, 0xffffff, v5
	v_sub_nc_u32_e32 v4, v7, v8
	v_cndmask_b32_e64 v7, 0, 1, vcc_lo
	v_add_co_ci_u32_e64 v4, null, 0, v4, vcc_lo
	v_lshrrev_b32_e32 v5, v7, v5
; %bb.3627:                             ;   in Loop: Header=BB6_3357 Depth=2
	s_andn2_saveexec_b32 s13, s13
; %bb.3628:                             ;   in Loop: Header=BB6_3357 Depth=2
	v_bfe_u32 v4, v5, 23, 1
; %bb.3629:                             ;   in Loop: Header=BB6_3357 Depth=2
	s_or_b32 exec_lo, exec_lo, s13
	v_lshrrev_b32_e32 v5, 20, v5
	v_cmp_gt_i32_e32 vcc_lo, 16, v4
	v_min_i32_e32 v7, 15, v4
	v_and_b32_sdwa v1, v1, v114 dst_sel:DWORD dst_unused:UNUSED_PAD src0_sel:BYTE_3 src1_sel:DWORD
	v_cndmask_b32_e32 v5, 7, v5, vcc_lo
	v_lshlrev_b32_e32 v7, 3, v7
	v_and_b32_e32 v8, 7, v5
	v_or_b32_e32 v4, v4, v5
	v_or3_b32 v1, v7, v1, v8
	v_cmp_ne_u32_e32 vcc_lo, 0, v4
	v_cndmask_b32_e32 v31, 0, v1, vcc_lo
.LBB6_3630:                             ;   in Loop: Header=BB6_3357 Depth=2
	s_or_b32 exec_lo, exec_lo, s29
.LBB6_3631:                             ;   in Loop: Header=BB6_3357 Depth=2
	s_or_b32 exec_lo, exec_lo, s28
	flat_load_ubyte v1, v[10:11] offset:608 slc
	s_mov_b32 s13, 0
	s_mov_b32 s28, exec_lo
	s_waitcnt vmcnt(0) lgkmcnt(0)
	v_cmpx_lt_i16_e32 0x7f, v1
	s_xor_b32 s28, exec_lo, s28
	s_cbranch_execz .LBB6_4489
; %bb.3632:                             ;   in Loop: Header=BB6_3357 Depth=2
	s_mov_b32 s13, -1
	s_mov_b32 s29, exec_lo
	v_cmpx_eq_u16_e32 0x80, v1
; %bb.3633:                             ;   in Loop: Header=BB6_3357 Depth=2
	s_xor_b32 s13, exec_lo, -1
; %bb.3634:                             ;   in Loop: Header=BB6_3357 Depth=2
	s_or_b32 exec_lo, exec_lo, s29
	s_and_b32 s13, s13, exec_lo
	s_or_saveexec_b32 s28, s28
	v_mov_b32_e32 v4, 0x7f800001
	s_xor_b32 exec_lo, exec_lo, s28
	s_cbranch_execnz .LBB6_4490
.LBB6_3635:                             ;   in Loop: Header=BB6_3357 Depth=2
	s_or_b32 exec_lo, exec_lo, s28
	s_and_saveexec_b32 s28, s13
	s_cbranch_execz .LBB6_3637
.LBB6_3636:                             ;   in Loop: Header=BB6_3357 Depth=2
	v_and_b32_e32 v4, 0xffff, v1
	v_lshlrev_b32_e32 v1, 24, v1
	v_and_b32_e32 v5, 7, v4
	v_bfe_u32 v9, v4, 3, 4
	v_and_b32_e32 v1, 0x80000000, v1
	v_ffbh_u32_e32 v7, v5
	v_cmp_eq_u32_e32 vcc_lo, 0, v9
	v_min_u32_e32 v7, 32, v7
	v_subrev_nc_u32_e32 v8, 28, v7
	v_sub_nc_u32_e32 v7, 29, v7
	v_lshlrev_b32_e32 v4, v8, v4
	v_cndmask_b32_e32 v7, v9, v7, vcc_lo
	v_and_b32_e32 v4, 7, v4
	v_cndmask_b32_e32 v4, v5, v4, vcc_lo
	v_lshl_add_u32 v5, v7, 23, 0x3b800000
	v_lshlrev_b32_e32 v4, 20, v4
	v_or3_b32 v4, v1, v5, v4
.LBB6_3637:                             ;   in Loop: Header=BB6_3357 Depth=2
	s_or_b32 exec_lo, exec_lo, s28
	v_mul_f32_e32 v1, v0, v4
	v_mov_b32_e32 v30, 0x80
	s_mov_b32 s28, exec_lo
	v_and_b32_e32 v4, 0x7f800000, v1
	v_cmpx_ne_u32_e32 0x7f800000, v4
	s_cbranch_execz .LBB6_3645
; %bb.3638:                             ;   in Loop: Header=BB6_3357 Depth=2
	v_mov_b32_e32 v30, 0
	s_mov_b32 s29, exec_lo
	v_cmpx_ne_u32_e32 0, v1
	s_cbranch_execz .LBB6_3644
; %bb.3639:                             ;   in Loop: Header=BB6_3357 Depth=2
	v_bfe_u32 v4, v1, 23, 8
	v_and_b32_e32 v5, 0x7fffff, v1
	v_sub_nc_u32_e32 v7, 0x78, v4
	v_cmp_gt_u32_e32 vcc_lo, 0x79, v4
	v_or_b32_e32 v8, 0x800000, v5
	v_cndmask_b32_e32 v7, 0, v7, vcc_lo
	v_cmp_eq_u32_e32 vcc_lo, 0, v4
	v_add_nc_u32_e32 v4, 0xffffff89, v4
	v_cndmask_b32_e64 v7, v7, 0x77, vcc_lo
	v_cndmask_b32_e32 v5, v8, v5, vcc_lo
	v_cndmask_b32_e64 v4, v4, 0xffffff8a, vcc_lo
	v_lshl_add_u32 v8, 0x100000, v7, -1
	v_lshrrev_b32_e32 v9, v7, v5
	v_lshlrev_b32_e64 v17, v7, 0x80000
	v_add_nc_u32_e32 v7, v7, v4
	v_and_b32_e32 v5, v8, v5
	v_bfe_u32 v16, v9, 20, 1
	v_cmp_eq_u32_e64 s13, v5, v17
	v_add_nc_u32_e32 v8, -1, v16
	v_cndmask_b32_e64 v5, 0, v8, s13
	v_lshrrev_b32_e32 v8, 23, v9
	s_mov_b32 s13, exec_lo
	v_add_nc_u32_e32 v5, v5, v9
	v_xor_b32_e32 v8, 1, v8
	v_and_b32_e32 v4, 0xfffff, v5
	v_add_nc_u32_e32 v5, v4, v9
                                        ; implicit-def: $vgpr4
	v_cmpx_ne_u32_e64 v7, v8
	s_xor_b32 s13, exec_lo, s13
; %bb.3640:                             ;   in Loop: Header=BB6_3357 Depth=2
	v_cmp_lt_u32_e32 vcc_lo, 0xffffff, v5
	v_sub_nc_u32_e32 v4, v7, v8
	v_cndmask_b32_e64 v7, 0, 1, vcc_lo
	v_add_co_ci_u32_e64 v4, null, 0, v4, vcc_lo
	v_lshrrev_b32_e32 v5, v7, v5
; %bb.3641:                             ;   in Loop: Header=BB6_3357 Depth=2
	s_andn2_saveexec_b32 s13, s13
; %bb.3642:                             ;   in Loop: Header=BB6_3357 Depth=2
	v_bfe_u32 v4, v5, 23, 1
; %bb.3643:                             ;   in Loop: Header=BB6_3357 Depth=2
	s_or_b32 exec_lo, exec_lo, s13
	v_lshrrev_b32_e32 v5, 20, v5
	v_cmp_gt_i32_e32 vcc_lo, 16, v4
	v_min_i32_e32 v7, 15, v4
	v_and_b32_sdwa v1, v1, v114 dst_sel:DWORD dst_unused:UNUSED_PAD src0_sel:BYTE_3 src1_sel:DWORD
	v_cndmask_b32_e32 v5, 7, v5, vcc_lo
	v_lshlrev_b32_e32 v7, 3, v7
	v_and_b32_e32 v8, 7, v5
	v_or_b32_e32 v4, v4, v5
	v_or3_b32 v1, v7, v1, v8
	v_cmp_ne_u32_e32 vcc_lo, 0, v4
	v_cndmask_b32_e32 v30, 0, v1, vcc_lo
.LBB6_3644:                             ;   in Loop: Header=BB6_3357 Depth=2
	s_or_b32 exec_lo, exec_lo, s29
.LBB6_3645:                             ;   in Loop: Header=BB6_3357 Depth=2
	s_or_b32 exec_lo, exec_lo, s28
	flat_load_ubyte v1, v[10:11] offset:640 slc
	s_mov_b32 s13, 0
	s_mov_b32 s28, exec_lo
	s_waitcnt vmcnt(0) lgkmcnt(0)
	v_cmpx_lt_i16_e32 0x7f, v1
	s_xor_b32 s28, exec_lo, s28
	s_cbranch_execz .LBB6_4491
; %bb.3646:                             ;   in Loop: Header=BB6_3357 Depth=2
	s_mov_b32 s13, -1
	s_mov_b32 s29, exec_lo
	v_cmpx_eq_u16_e32 0x80, v1
; %bb.3647:                             ;   in Loop: Header=BB6_3357 Depth=2
	s_xor_b32 s13, exec_lo, -1
; %bb.3648:                             ;   in Loop: Header=BB6_3357 Depth=2
	s_or_b32 exec_lo, exec_lo, s29
	s_and_b32 s13, s13, exec_lo
	s_or_saveexec_b32 s28, s28
	v_mov_b32_e32 v4, 0x7f800001
	s_xor_b32 exec_lo, exec_lo, s28
	s_cbranch_execnz .LBB6_4492
.LBB6_3649:                             ;   in Loop: Header=BB6_3357 Depth=2
	s_or_b32 exec_lo, exec_lo, s28
	s_and_saveexec_b32 s28, s13
	s_cbranch_execz .LBB6_3651
.LBB6_3650:                             ;   in Loop: Header=BB6_3357 Depth=2
	v_and_b32_e32 v4, 0xffff, v1
	v_lshlrev_b32_e32 v1, 24, v1
	v_and_b32_e32 v5, 7, v4
	v_bfe_u32 v9, v4, 3, 4
	v_and_b32_e32 v1, 0x80000000, v1
	v_ffbh_u32_e32 v7, v5
	v_cmp_eq_u32_e32 vcc_lo, 0, v9
	v_min_u32_e32 v7, 32, v7
	v_subrev_nc_u32_e32 v8, 28, v7
	v_sub_nc_u32_e32 v7, 29, v7
	v_lshlrev_b32_e32 v4, v8, v4
	v_cndmask_b32_e32 v7, v9, v7, vcc_lo
	v_and_b32_e32 v4, 7, v4
	v_cndmask_b32_e32 v4, v5, v4, vcc_lo
	v_lshl_add_u32 v5, v7, 23, 0x3b800000
	v_lshlrev_b32_e32 v4, 20, v4
	v_or3_b32 v4, v1, v5, v4
.LBB6_3651:                             ;   in Loop: Header=BB6_3357 Depth=2
	s_or_b32 exec_lo, exec_lo, s28
	v_mul_f32_e32 v1, v0, v4
	v_mov_b32_e32 v29, 0x80
	s_mov_b32 s28, exec_lo
	v_and_b32_e32 v4, 0x7f800000, v1
	v_cmpx_ne_u32_e32 0x7f800000, v4
	s_cbranch_execz .LBB6_3659
; %bb.3652:                             ;   in Loop: Header=BB6_3357 Depth=2
	v_mov_b32_e32 v29, 0
	s_mov_b32 s29, exec_lo
	v_cmpx_ne_u32_e32 0, v1
	s_cbranch_execz .LBB6_3658
; %bb.3653:                             ;   in Loop: Header=BB6_3357 Depth=2
	v_bfe_u32 v4, v1, 23, 8
	v_and_b32_e32 v5, 0x7fffff, v1
	v_sub_nc_u32_e32 v7, 0x78, v4
	v_cmp_gt_u32_e32 vcc_lo, 0x79, v4
	v_or_b32_e32 v8, 0x800000, v5
	v_cndmask_b32_e32 v7, 0, v7, vcc_lo
	v_cmp_eq_u32_e32 vcc_lo, 0, v4
	v_add_nc_u32_e32 v4, 0xffffff89, v4
	v_cndmask_b32_e64 v7, v7, 0x77, vcc_lo
	v_cndmask_b32_e32 v5, v8, v5, vcc_lo
	v_cndmask_b32_e64 v4, v4, 0xffffff8a, vcc_lo
	v_lshl_add_u32 v8, 0x100000, v7, -1
	v_lshrrev_b32_e32 v9, v7, v5
	v_lshlrev_b32_e64 v17, v7, 0x80000
	v_add_nc_u32_e32 v7, v7, v4
	v_and_b32_e32 v5, v8, v5
	v_bfe_u32 v16, v9, 20, 1
	v_cmp_eq_u32_e64 s13, v5, v17
	v_add_nc_u32_e32 v8, -1, v16
	v_cndmask_b32_e64 v5, 0, v8, s13
	v_lshrrev_b32_e32 v8, 23, v9
	s_mov_b32 s13, exec_lo
	v_add_nc_u32_e32 v5, v5, v9
	v_xor_b32_e32 v8, 1, v8
	v_and_b32_e32 v4, 0xfffff, v5
	v_add_nc_u32_e32 v5, v4, v9
                                        ; implicit-def: $vgpr4
	v_cmpx_ne_u32_e64 v7, v8
	s_xor_b32 s13, exec_lo, s13
; %bb.3654:                             ;   in Loop: Header=BB6_3357 Depth=2
	v_cmp_lt_u32_e32 vcc_lo, 0xffffff, v5
	v_sub_nc_u32_e32 v4, v7, v8
	v_cndmask_b32_e64 v7, 0, 1, vcc_lo
	v_add_co_ci_u32_e64 v4, null, 0, v4, vcc_lo
	v_lshrrev_b32_e32 v5, v7, v5
; %bb.3655:                             ;   in Loop: Header=BB6_3357 Depth=2
	s_andn2_saveexec_b32 s13, s13
; %bb.3656:                             ;   in Loop: Header=BB6_3357 Depth=2
	v_bfe_u32 v4, v5, 23, 1
; %bb.3657:                             ;   in Loop: Header=BB6_3357 Depth=2
	s_or_b32 exec_lo, exec_lo, s13
	v_lshrrev_b32_e32 v5, 20, v5
	v_cmp_gt_i32_e32 vcc_lo, 16, v4
	v_min_i32_e32 v7, 15, v4
	v_and_b32_sdwa v1, v1, v114 dst_sel:DWORD dst_unused:UNUSED_PAD src0_sel:BYTE_3 src1_sel:DWORD
	v_cndmask_b32_e32 v5, 7, v5, vcc_lo
	v_lshlrev_b32_e32 v7, 3, v7
	v_and_b32_e32 v8, 7, v5
	v_or_b32_e32 v4, v4, v5
	v_or3_b32 v1, v7, v1, v8
	v_cmp_ne_u32_e32 vcc_lo, 0, v4
	v_cndmask_b32_e32 v29, 0, v1, vcc_lo
.LBB6_3658:                             ;   in Loop: Header=BB6_3357 Depth=2
	s_or_b32 exec_lo, exec_lo, s29
.LBB6_3659:                             ;   in Loop: Header=BB6_3357 Depth=2
	s_or_b32 exec_lo, exec_lo, s28
	flat_load_ubyte v1, v[10:11] offset:672 slc
	s_mov_b32 s13, 0
	s_mov_b32 s28, exec_lo
	s_waitcnt vmcnt(0) lgkmcnt(0)
	v_cmpx_lt_i16_e32 0x7f, v1
	s_xor_b32 s28, exec_lo, s28
	s_cbranch_execz .LBB6_4493
; %bb.3660:                             ;   in Loop: Header=BB6_3357 Depth=2
	s_mov_b32 s13, -1
	s_mov_b32 s29, exec_lo
	v_cmpx_eq_u16_e32 0x80, v1
; %bb.3661:                             ;   in Loop: Header=BB6_3357 Depth=2
	s_xor_b32 s13, exec_lo, -1
; %bb.3662:                             ;   in Loop: Header=BB6_3357 Depth=2
	s_or_b32 exec_lo, exec_lo, s29
	s_and_b32 s13, s13, exec_lo
	s_or_saveexec_b32 s28, s28
	v_mov_b32_e32 v4, 0x7f800001
	s_xor_b32 exec_lo, exec_lo, s28
	s_cbranch_execnz .LBB6_4494
.LBB6_3663:                             ;   in Loop: Header=BB6_3357 Depth=2
	s_or_b32 exec_lo, exec_lo, s28
	s_and_saveexec_b32 s28, s13
	s_cbranch_execz .LBB6_3665
.LBB6_3664:                             ;   in Loop: Header=BB6_3357 Depth=2
	v_and_b32_e32 v4, 0xffff, v1
	v_lshlrev_b32_e32 v1, 24, v1
	v_and_b32_e32 v5, 7, v4
	v_bfe_u32 v9, v4, 3, 4
	v_and_b32_e32 v1, 0x80000000, v1
	v_ffbh_u32_e32 v7, v5
	v_cmp_eq_u32_e32 vcc_lo, 0, v9
	v_min_u32_e32 v7, 32, v7
	v_subrev_nc_u32_e32 v8, 28, v7
	v_sub_nc_u32_e32 v7, 29, v7
	v_lshlrev_b32_e32 v4, v8, v4
	v_cndmask_b32_e32 v7, v9, v7, vcc_lo
	v_and_b32_e32 v4, 7, v4
	v_cndmask_b32_e32 v4, v5, v4, vcc_lo
	v_lshl_add_u32 v5, v7, 23, 0x3b800000
	v_lshlrev_b32_e32 v4, 20, v4
	v_or3_b32 v4, v1, v5, v4
.LBB6_3665:                             ;   in Loop: Header=BB6_3357 Depth=2
	s_or_b32 exec_lo, exec_lo, s28
	v_mul_f32_e32 v1, v0, v4
	v_mov_b32_e32 v27, 0x80
	s_mov_b32 s28, exec_lo
	v_and_b32_e32 v4, 0x7f800000, v1
	v_cmpx_ne_u32_e32 0x7f800000, v4
	s_cbranch_execz .LBB6_3673
; %bb.3666:                             ;   in Loop: Header=BB6_3357 Depth=2
	v_mov_b32_e32 v27, 0
	s_mov_b32 s29, exec_lo
	v_cmpx_ne_u32_e32 0, v1
	s_cbranch_execz .LBB6_3672
; %bb.3667:                             ;   in Loop: Header=BB6_3357 Depth=2
	v_bfe_u32 v4, v1, 23, 8
	v_and_b32_e32 v5, 0x7fffff, v1
	v_sub_nc_u32_e32 v7, 0x78, v4
	v_cmp_gt_u32_e32 vcc_lo, 0x79, v4
	v_or_b32_e32 v8, 0x800000, v5
	v_cndmask_b32_e32 v7, 0, v7, vcc_lo
	v_cmp_eq_u32_e32 vcc_lo, 0, v4
	v_add_nc_u32_e32 v4, 0xffffff89, v4
	v_cndmask_b32_e64 v7, v7, 0x77, vcc_lo
	v_cndmask_b32_e32 v5, v8, v5, vcc_lo
	v_cndmask_b32_e64 v4, v4, 0xffffff8a, vcc_lo
	v_lshl_add_u32 v8, 0x100000, v7, -1
	v_lshrrev_b32_e32 v9, v7, v5
	v_lshlrev_b32_e64 v17, v7, 0x80000
	v_add_nc_u32_e32 v7, v7, v4
	v_and_b32_e32 v5, v8, v5
	v_bfe_u32 v16, v9, 20, 1
	v_cmp_eq_u32_e64 s13, v5, v17
	v_add_nc_u32_e32 v8, -1, v16
	v_cndmask_b32_e64 v5, 0, v8, s13
	v_lshrrev_b32_e32 v8, 23, v9
	s_mov_b32 s13, exec_lo
	v_add_nc_u32_e32 v5, v5, v9
	v_xor_b32_e32 v8, 1, v8
	v_and_b32_e32 v4, 0xfffff, v5
	v_add_nc_u32_e32 v5, v4, v9
                                        ; implicit-def: $vgpr4
	v_cmpx_ne_u32_e64 v7, v8
	s_xor_b32 s13, exec_lo, s13
; %bb.3668:                             ;   in Loop: Header=BB6_3357 Depth=2
	v_cmp_lt_u32_e32 vcc_lo, 0xffffff, v5
	v_sub_nc_u32_e32 v4, v7, v8
	v_cndmask_b32_e64 v7, 0, 1, vcc_lo
	v_add_co_ci_u32_e64 v4, null, 0, v4, vcc_lo
	v_lshrrev_b32_e32 v5, v7, v5
; %bb.3669:                             ;   in Loop: Header=BB6_3357 Depth=2
	s_andn2_saveexec_b32 s13, s13
; %bb.3670:                             ;   in Loop: Header=BB6_3357 Depth=2
	v_bfe_u32 v4, v5, 23, 1
; %bb.3671:                             ;   in Loop: Header=BB6_3357 Depth=2
	s_or_b32 exec_lo, exec_lo, s13
	v_lshrrev_b32_e32 v5, 20, v5
	v_cmp_gt_i32_e32 vcc_lo, 16, v4
	v_min_i32_e32 v7, 15, v4
	v_and_b32_sdwa v1, v1, v114 dst_sel:DWORD dst_unused:UNUSED_PAD src0_sel:BYTE_3 src1_sel:DWORD
	v_cndmask_b32_e32 v5, 7, v5, vcc_lo
	v_lshlrev_b32_e32 v7, 3, v7
	v_and_b32_e32 v8, 7, v5
	v_or_b32_e32 v4, v4, v5
	v_or3_b32 v1, v7, v1, v8
	v_cmp_ne_u32_e32 vcc_lo, 0, v4
	v_cndmask_b32_e32 v27, 0, v1, vcc_lo
.LBB6_3672:                             ;   in Loop: Header=BB6_3357 Depth=2
	s_or_b32 exec_lo, exec_lo, s29
.LBB6_3673:                             ;   in Loop: Header=BB6_3357 Depth=2
	s_or_b32 exec_lo, exec_lo, s28
	flat_load_ubyte v1, v[10:11] offset:704 slc
	s_mov_b32 s13, 0
	s_mov_b32 s28, exec_lo
	s_waitcnt vmcnt(0) lgkmcnt(0)
	v_cmpx_lt_i16_e32 0x7f, v1
	s_xor_b32 s28, exec_lo, s28
	s_cbranch_execz .LBB6_4495
; %bb.3674:                             ;   in Loop: Header=BB6_3357 Depth=2
	s_mov_b32 s13, -1
	s_mov_b32 s29, exec_lo
	v_cmpx_eq_u16_e32 0x80, v1
; %bb.3675:                             ;   in Loop: Header=BB6_3357 Depth=2
	s_xor_b32 s13, exec_lo, -1
; %bb.3676:                             ;   in Loop: Header=BB6_3357 Depth=2
	s_or_b32 exec_lo, exec_lo, s29
	s_and_b32 s13, s13, exec_lo
	s_or_saveexec_b32 s28, s28
	v_mov_b32_e32 v4, 0x7f800001
	s_xor_b32 exec_lo, exec_lo, s28
	s_cbranch_execnz .LBB6_4496
.LBB6_3677:                             ;   in Loop: Header=BB6_3357 Depth=2
	s_or_b32 exec_lo, exec_lo, s28
	s_and_saveexec_b32 s28, s13
	s_cbranch_execz .LBB6_3679
.LBB6_3678:                             ;   in Loop: Header=BB6_3357 Depth=2
	v_and_b32_e32 v4, 0xffff, v1
	v_lshlrev_b32_e32 v1, 24, v1
	v_and_b32_e32 v5, 7, v4
	v_bfe_u32 v9, v4, 3, 4
	v_and_b32_e32 v1, 0x80000000, v1
	v_ffbh_u32_e32 v7, v5
	v_cmp_eq_u32_e32 vcc_lo, 0, v9
	v_min_u32_e32 v7, 32, v7
	v_subrev_nc_u32_e32 v8, 28, v7
	v_sub_nc_u32_e32 v7, 29, v7
	v_lshlrev_b32_e32 v4, v8, v4
	v_cndmask_b32_e32 v7, v9, v7, vcc_lo
	v_and_b32_e32 v4, 7, v4
	v_cndmask_b32_e32 v4, v5, v4, vcc_lo
	v_lshl_add_u32 v5, v7, 23, 0x3b800000
	v_lshlrev_b32_e32 v4, 20, v4
	v_or3_b32 v4, v1, v5, v4
.LBB6_3679:                             ;   in Loop: Header=BB6_3357 Depth=2
	s_or_b32 exec_lo, exec_lo, s28
	v_mul_f32_e32 v1, v0, v4
	v_mov_b32_e32 v25, 0x80
	s_mov_b32 s28, exec_lo
	v_and_b32_e32 v4, 0x7f800000, v1
	v_cmpx_ne_u32_e32 0x7f800000, v4
	s_cbranch_execz .LBB6_3687
; %bb.3680:                             ;   in Loop: Header=BB6_3357 Depth=2
	v_mov_b32_e32 v25, 0
	s_mov_b32 s29, exec_lo
	v_cmpx_ne_u32_e32 0, v1
	s_cbranch_execz .LBB6_3686
; %bb.3681:                             ;   in Loop: Header=BB6_3357 Depth=2
	v_bfe_u32 v4, v1, 23, 8
	v_and_b32_e32 v5, 0x7fffff, v1
	v_sub_nc_u32_e32 v7, 0x78, v4
	v_cmp_gt_u32_e32 vcc_lo, 0x79, v4
	v_or_b32_e32 v8, 0x800000, v5
	v_cndmask_b32_e32 v7, 0, v7, vcc_lo
	v_cmp_eq_u32_e32 vcc_lo, 0, v4
	v_add_nc_u32_e32 v4, 0xffffff89, v4
	v_cndmask_b32_e64 v7, v7, 0x77, vcc_lo
	v_cndmask_b32_e32 v5, v8, v5, vcc_lo
	v_cndmask_b32_e64 v4, v4, 0xffffff8a, vcc_lo
	v_lshl_add_u32 v8, 0x100000, v7, -1
	v_lshrrev_b32_e32 v9, v7, v5
	v_lshlrev_b32_e64 v17, v7, 0x80000
	v_add_nc_u32_e32 v7, v7, v4
	v_and_b32_e32 v5, v8, v5
	v_bfe_u32 v16, v9, 20, 1
	v_cmp_eq_u32_e64 s13, v5, v17
	v_add_nc_u32_e32 v8, -1, v16
	v_cndmask_b32_e64 v5, 0, v8, s13
	v_lshrrev_b32_e32 v8, 23, v9
	s_mov_b32 s13, exec_lo
	v_add_nc_u32_e32 v5, v5, v9
	v_xor_b32_e32 v8, 1, v8
	v_and_b32_e32 v4, 0xfffff, v5
	v_add_nc_u32_e32 v5, v4, v9
                                        ; implicit-def: $vgpr4
	v_cmpx_ne_u32_e64 v7, v8
	s_xor_b32 s13, exec_lo, s13
; %bb.3682:                             ;   in Loop: Header=BB6_3357 Depth=2
	v_cmp_lt_u32_e32 vcc_lo, 0xffffff, v5
	v_sub_nc_u32_e32 v4, v7, v8
	v_cndmask_b32_e64 v7, 0, 1, vcc_lo
	v_add_co_ci_u32_e64 v4, null, 0, v4, vcc_lo
	v_lshrrev_b32_e32 v5, v7, v5
; %bb.3683:                             ;   in Loop: Header=BB6_3357 Depth=2
	s_andn2_saveexec_b32 s13, s13
; %bb.3684:                             ;   in Loop: Header=BB6_3357 Depth=2
	v_bfe_u32 v4, v5, 23, 1
; %bb.3685:                             ;   in Loop: Header=BB6_3357 Depth=2
	s_or_b32 exec_lo, exec_lo, s13
	v_lshrrev_b32_e32 v5, 20, v5
	v_cmp_gt_i32_e32 vcc_lo, 16, v4
	v_min_i32_e32 v7, 15, v4
	v_and_b32_sdwa v1, v1, v114 dst_sel:DWORD dst_unused:UNUSED_PAD src0_sel:BYTE_3 src1_sel:DWORD
	v_cndmask_b32_e32 v5, 7, v5, vcc_lo
	v_lshlrev_b32_e32 v7, 3, v7
	v_and_b32_e32 v8, 7, v5
	v_or_b32_e32 v4, v4, v5
	v_or3_b32 v1, v7, v1, v8
	v_cmp_ne_u32_e32 vcc_lo, 0, v4
	v_cndmask_b32_e32 v25, 0, v1, vcc_lo
.LBB6_3686:                             ;   in Loop: Header=BB6_3357 Depth=2
	s_or_b32 exec_lo, exec_lo, s29
.LBB6_3687:                             ;   in Loop: Header=BB6_3357 Depth=2
	s_or_b32 exec_lo, exec_lo, s28
	flat_load_ubyte v1, v[10:11] offset:736 slc
	s_mov_b32 s13, 0
	s_mov_b32 s28, exec_lo
	s_waitcnt vmcnt(0) lgkmcnt(0)
	v_cmpx_lt_i16_e32 0x7f, v1
	s_xor_b32 s28, exec_lo, s28
	s_cbranch_execz .LBB6_4497
; %bb.3688:                             ;   in Loop: Header=BB6_3357 Depth=2
	s_mov_b32 s13, -1
	s_mov_b32 s29, exec_lo
	v_cmpx_eq_u16_e32 0x80, v1
; %bb.3689:                             ;   in Loop: Header=BB6_3357 Depth=2
	s_xor_b32 s13, exec_lo, -1
; %bb.3690:                             ;   in Loop: Header=BB6_3357 Depth=2
	s_or_b32 exec_lo, exec_lo, s29
	s_and_b32 s13, s13, exec_lo
	s_or_saveexec_b32 s28, s28
	v_mov_b32_e32 v4, 0x7f800001
	s_xor_b32 exec_lo, exec_lo, s28
	s_cbranch_execnz .LBB6_4498
.LBB6_3691:                             ;   in Loop: Header=BB6_3357 Depth=2
	s_or_b32 exec_lo, exec_lo, s28
	s_and_saveexec_b32 s28, s13
	s_cbranch_execz .LBB6_3693
.LBB6_3692:                             ;   in Loop: Header=BB6_3357 Depth=2
	v_and_b32_e32 v4, 0xffff, v1
	v_lshlrev_b32_e32 v1, 24, v1
	v_and_b32_e32 v5, 7, v4
	v_bfe_u32 v9, v4, 3, 4
	v_and_b32_e32 v1, 0x80000000, v1
	v_ffbh_u32_e32 v7, v5
	v_cmp_eq_u32_e32 vcc_lo, 0, v9
	v_min_u32_e32 v7, 32, v7
	v_subrev_nc_u32_e32 v8, 28, v7
	v_sub_nc_u32_e32 v7, 29, v7
	v_lshlrev_b32_e32 v4, v8, v4
	v_cndmask_b32_e32 v7, v9, v7, vcc_lo
	v_and_b32_e32 v4, 7, v4
	v_cndmask_b32_e32 v4, v5, v4, vcc_lo
	v_lshl_add_u32 v5, v7, 23, 0x3b800000
	v_lshlrev_b32_e32 v4, 20, v4
	v_or3_b32 v4, v1, v5, v4
.LBB6_3693:                             ;   in Loop: Header=BB6_3357 Depth=2
	s_or_b32 exec_lo, exec_lo, s28
	v_mul_f32_e32 v1, v0, v4
	v_mov_b32_e32 v24, 0x80
	s_mov_b32 s28, exec_lo
	v_and_b32_e32 v4, 0x7f800000, v1
	v_cmpx_ne_u32_e32 0x7f800000, v4
	s_cbranch_execz .LBB6_3701
; %bb.3694:                             ;   in Loop: Header=BB6_3357 Depth=2
	v_mov_b32_e32 v24, 0
	s_mov_b32 s29, exec_lo
	v_cmpx_ne_u32_e32 0, v1
	s_cbranch_execz .LBB6_3700
; %bb.3695:                             ;   in Loop: Header=BB6_3357 Depth=2
	v_bfe_u32 v4, v1, 23, 8
	v_and_b32_e32 v5, 0x7fffff, v1
	v_sub_nc_u32_e32 v7, 0x78, v4
	v_cmp_gt_u32_e32 vcc_lo, 0x79, v4
	v_or_b32_e32 v8, 0x800000, v5
	v_cndmask_b32_e32 v7, 0, v7, vcc_lo
	v_cmp_eq_u32_e32 vcc_lo, 0, v4
	v_add_nc_u32_e32 v4, 0xffffff89, v4
	v_cndmask_b32_e64 v7, v7, 0x77, vcc_lo
	v_cndmask_b32_e32 v5, v8, v5, vcc_lo
	v_cndmask_b32_e64 v4, v4, 0xffffff8a, vcc_lo
	v_lshl_add_u32 v8, 0x100000, v7, -1
	v_lshrrev_b32_e32 v9, v7, v5
	v_lshlrev_b32_e64 v17, v7, 0x80000
	v_add_nc_u32_e32 v7, v7, v4
	v_and_b32_e32 v5, v8, v5
	v_bfe_u32 v16, v9, 20, 1
	v_cmp_eq_u32_e64 s13, v5, v17
	v_add_nc_u32_e32 v8, -1, v16
	v_cndmask_b32_e64 v5, 0, v8, s13
	v_lshrrev_b32_e32 v8, 23, v9
	s_mov_b32 s13, exec_lo
	v_add_nc_u32_e32 v5, v5, v9
	v_xor_b32_e32 v8, 1, v8
	v_and_b32_e32 v4, 0xfffff, v5
	v_add_nc_u32_e32 v5, v4, v9
                                        ; implicit-def: $vgpr4
	v_cmpx_ne_u32_e64 v7, v8
	s_xor_b32 s13, exec_lo, s13
; %bb.3696:                             ;   in Loop: Header=BB6_3357 Depth=2
	v_cmp_lt_u32_e32 vcc_lo, 0xffffff, v5
	v_sub_nc_u32_e32 v4, v7, v8
	v_cndmask_b32_e64 v7, 0, 1, vcc_lo
	v_add_co_ci_u32_e64 v4, null, 0, v4, vcc_lo
	v_lshrrev_b32_e32 v5, v7, v5
; %bb.3697:                             ;   in Loop: Header=BB6_3357 Depth=2
	s_andn2_saveexec_b32 s13, s13
; %bb.3698:                             ;   in Loop: Header=BB6_3357 Depth=2
	v_bfe_u32 v4, v5, 23, 1
; %bb.3699:                             ;   in Loop: Header=BB6_3357 Depth=2
	s_or_b32 exec_lo, exec_lo, s13
	v_lshrrev_b32_e32 v5, 20, v5
	v_cmp_gt_i32_e32 vcc_lo, 16, v4
	v_min_i32_e32 v7, 15, v4
	v_and_b32_sdwa v1, v1, v114 dst_sel:DWORD dst_unused:UNUSED_PAD src0_sel:BYTE_3 src1_sel:DWORD
	v_cndmask_b32_e32 v5, 7, v5, vcc_lo
	v_lshlrev_b32_e32 v7, 3, v7
	v_and_b32_e32 v8, 7, v5
	v_or_b32_e32 v4, v4, v5
	v_or3_b32 v1, v7, v1, v8
	v_cmp_ne_u32_e32 vcc_lo, 0, v4
	v_cndmask_b32_e32 v24, 0, v1, vcc_lo
.LBB6_3700:                             ;   in Loop: Header=BB6_3357 Depth=2
	s_or_b32 exec_lo, exec_lo, s29
.LBB6_3701:                             ;   in Loop: Header=BB6_3357 Depth=2
	s_or_b32 exec_lo, exec_lo, s28
	flat_load_ubyte v1, v[10:11] offset:768 slc
	s_mov_b32 s13, 0
	s_mov_b32 s28, exec_lo
	s_waitcnt vmcnt(0) lgkmcnt(0)
	v_cmpx_lt_i16_e32 0x7f, v1
	s_xor_b32 s28, exec_lo, s28
	s_cbranch_execz .LBB6_4499
; %bb.3702:                             ;   in Loop: Header=BB6_3357 Depth=2
	s_mov_b32 s13, -1
	s_mov_b32 s29, exec_lo
	v_cmpx_eq_u16_e32 0x80, v1
; %bb.3703:                             ;   in Loop: Header=BB6_3357 Depth=2
	s_xor_b32 s13, exec_lo, -1
; %bb.3704:                             ;   in Loop: Header=BB6_3357 Depth=2
	s_or_b32 exec_lo, exec_lo, s29
	s_and_b32 s13, s13, exec_lo
	s_or_saveexec_b32 s28, s28
	v_mov_b32_e32 v4, 0x7f800001
	s_xor_b32 exec_lo, exec_lo, s28
	s_cbranch_execnz .LBB6_4500
.LBB6_3705:                             ;   in Loop: Header=BB6_3357 Depth=2
	s_or_b32 exec_lo, exec_lo, s28
	s_and_saveexec_b32 s28, s13
	s_cbranch_execz .LBB6_3707
.LBB6_3706:                             ;   in Loop: Header=BB6_3357 Depth=2
	v_and_b32_e32 v4, 0xffff, v1
	v_lshlrev_b32_e32 v1, 24, v1
	v_and_b32_e32 v5, 7, v4
	v_bfe_u32 v9, v4, 3, 4
	v_and_b32_e32 v1, 0x80000000, v1
	v_ffbh_u32_e32 v7, v5
	v_cmp_eq_u32_e32 vcc_lo, 0, v9
	v_min_u32_e32 v7, 32, v7
	v_subrev_nc_u32_e32 v8, 28, v7
	v_sub_nc_u32_e32 v7, 29, v7
	v_lshlrev_b32_e32 v4, v8, v4
	v_cndmask_b32_e32 v7, v9, v7, vcc_lo
	v_and_b32_e32 v4, 7, v4
	v_cndmask_b32_e32 v4, v5, v4, vcc_lo
	v_lshl_add_u32 v5, v7, 23, 0x3b800000
	v_lshlrev_b32_e32 v4, 20, v4
	v_or3_b32 v4, v1, v5, v4
.LBB6_3707:                             ;   in Loop: Header=BB6_3357 Depth=2
	s_or_b32 exec_lo, exec_lo, s28
	v_mul_f32_e32 v1, v0, v4
	v_mov_b32_e32 v23, 0x80
	s_mov_b32 s28, exec_lo
	v_and_b32_e32 v4, 0x7f800000, v1
	v_cmpx_ne_u32_e32 0x7f800000, v4
	s_cbranch_execz .LBB6_3715
; %bb.3708:                             ;   in Loop: Header=BB6_3357 Depth=2
	v_mov_b32_e32 v23, 0
	s_mov_b32 s29, exec_lo
	v_cmpx_ne_u32_e32 0, v1
	s_cbranch_execz .LBB6_3714
; %bb.3709:                             ;   in Loop: Header=BB6_3357 Depth=2
	v_bfe_u32 v4, v1, 23, 8
	v_and_b32_e32 v5, 0x7fffff, v1
	v_sub_nc_u32_e32 v7, 0x78, v4
	v_cmp_gt_u32_e32 vcc_lo, 0x79, v4
	v_or_b32_e32 v8, 0x800000, v5
	v_cndmask_b32_e32 v7, 0, v7, vcc_lo
	v_cmp_eq_u32_e32 vcc_lo, 0, v4
	v_add_nc_u32_e32 v4, 0xffffff89, v4
	v_cndmask_b32_e64 v7, v7, 0x77, vcc_lo
	v_cndmask_b32_e32 v5, v8, v5, vcc_lo
	v_cndmask_b32_e64 v4, v4, 0xffffff8a, vcc_lo
	v_lshl_add_u32 v8, 0x100000, v7, -1
	v_lshrrev_b32_e32 v9, v7, v5
	v_lshlrev_b32_e64 v17, v7, 0x80000
	v_add_nc_u32_e32 v7, v7, v4
	v_and_b32_e32 v5, v8, v5
	v_bfe_u32 v16, v9, 20, 1
	v_cmp_eq_u32_e64 s13, v5, v17
	v_add_nc_u32_e32 v8, -1, v16
	v_cndmask_b32_e64 v5, 0, v8, s13
	v_lshrrev_b32_e32 v8, 23, v9
	s_mov_b32 s13, exec_lo
	v_add_nc_u32_e32 v5, v5, v9
	v_xor_b32_e32 v8, 1, v8
	v_and_b32_e32 v4, 0xfffff, v5
	v_add_nc_u32_e32 v5, v4, v9
                                        ; implicit-def: $vgpr4
	v_cmpx_ne_u32_e64 v7, v8
	s_xor_b32 s13, exec_lo, s13
; %bb.3710:                             ;   in Loop: Header=BB6_3357 Depth=2
	v_cmp_lt_u32_e32 vcc_lo, 0xffffff, v5
	v_sub_nc_u32_e32 v4, v7, v8
	v_cndmask_b32_e64 v7, 0, 1, vcc_lo
	v_add_co_ci_u32_e64 v4, null, 0, v4, vcc_lo
	v_lshrrev_b32_e32 v5, v7, v5
; %bb.3711:                             ;   in Loop: Header=BB6_3357 Depth=2
	s_andn2_saveexec_b32 s13, s13
; %bb.3712:                             ;   in Loop: Header=BB6_3357 Depth=2
	v_bfe_u32 v4, v5, 23, 1
; %bb.3713:                             ;   in Loop: Header=BB6_3357 Depth=2
	s_or_b32 exec_lo, exec_lo, s13
	v_lshrrev_b32_e32 v5, 20, v5
	v_cmp_gt_i32_e32 vcc_lo, 16, v4
	v_min_i32_e32 v7, 15, v4
	v_and_b32_sdwa v1, v1, v114 dst_sel:DWORD dst_unused:UNUSED_PAD src0_sel:BYTE_3 src1_sel:DWORD
	v_cndmask_b32_e32 v5, 7, v5, vcc_lo
	v_lshlrev_b32_e32 v7, 3, v7
	v_and_b32_e32 v8, 7, v5
	v_or_b32_e32 v4, v4, v5
	v_or3_b32 v1, v7, v1, v8
	v_cmp_ne_u32_e32 vcc_lo, 0, v4
	v_cndmask_b32_e32 v23, 0, v1, vcc_lo
.LBB6_3714:                             ;   in Loop: Header=BB6_3357 Depth=2
	s_or_b32 exec_lo, exec_lo, s29
.LBB6_3715:                             ;   in Loop: Header=BB6_3357 Depth=2
	s_or_b32 exec_lo, exec_lo, s28
	flat_load_ubyte v1, v[10:11] offset:800 slc
	s_mov_b32 s13, 0
	s_mov_b32 s28, exec_lo
	s_waitcnt vmcnt(0) lgkmcnt(0)
	v_cmpx_lt_i16_e32 0x7f, v1
	s_xor_b32 s28, exec_lo, s28
	s_cbranch_execz .LBB6_4501
; %bb.3716:                             ;   in Loop: Header=BB6_3357 Depth=2
	s_mov_b32 s13, -1
	s_mov_b32 s29, exec_lo
	v_cmpx_eq_u16_e32 0x80, v1
; %bb.3717:                             ;   in Loop: Header=BB6_3357 Depth=2
	s_xor_b32 s13, exec_lo, -1
; %bb.3718:                             ;   in Loop: Header=BB6_3357 Depth=2
	s_or_b32 exec_lo, exec_lo, s29
	s_and_b32 s13, s13, exec_lo
	s_or_saveexec_b32 s28, s28
	v_mov_b32_e32 v4, 0x7f800001
	s_xor_b32 exec_lo, exec_lo, s28
	s_cbranch_execnz .LBB6_4502
.LBB6_3719:                             ;   in Loop: Header=BB6_3357 Depth=2
	s_or_b32 exec_lo, exec_lo, s28
	s_and_saveexec_b32 s28, s13
	s_cbranch_execz .LBB6_3721
.LBB6_3720:                             ;   in Loop: Header=BB6_3357 Depth=2
	v_and_b32_e32 v4, 0xffff, v1
	v_lshlrev_b32_e32 v1, 24, v1
	v_and_b32_e32 v5, 7, v4
	v_bfe_u32 v9, v4, 3, 4
	v_and_b32_e32 v1, 0x80000000, v1
	v_ffbh_u32_e32 v7, v5
	v_cmp_eq_u32_e32 vcc_lo, 0, v9
	v_min_u32_e32 v7, 32, v7
	v_subrev_nc_u32_e32 v8, 28, v7
	v_sub_nc_u32_e32 v7, 29, v7
	v_lshlrev_b32_e32 v4, v8, v4
	v_cndmask_b32_e32 v7, v9, v7, vcc_lo
	v_and_b32_e32 v4, 7, v4
	v_cndmask_b32_e32 v4, v5, v4, vcc_lo
	v_lshl_add_u32 v5, v7, 23, 0x3b800000
	v_lshlrev_b32_e32 v4, 20, v4
	v_or3_b32 v4, v1, v5, v4
.LBB6_3721:                             ;   in Loop: Header=BB6_3357 Depth=2
	s_or_b32 exec_lo, exec_lo, s28
	v_mul_f32_e32 v1, v0, v4
	v_mov_b32_e32 v17, 0x80
	s_mov_b32 s28, exec_lo
	v_and_b32_e32 v4, 0x7f800000, v1
	v_cmpx_ne_u32_e32 0x7f800000, v4
	s_cbranch_execz .LBB6_3729
; %bb.3722:                             ;   in Loop: Header=BB6_3357 Depth=2
	v_mov_b32_e32 v17, 0
	s_mov_b32 s29, exec_lo
	v_cmpx_ne_u32_e32 0, v1
	s_cbranch_execz .LBB6_3728
; %bb.3723:                             ;   in Loop: Header=BB6_3357 Depth=2
	v_bfe_u32 v4, v1, 23, 8
	v_and_b32_e32 v5, 0x7fffff, v1
	v_sub_nc_u32_e32 v7, 0x78, v4
	v_cmp_gt_u32_e32 vcc_lo, 0x79, v4
	v_or_b32_e32 v8, 0x800000, v5
	v_cndmask_b32_e32 v7, 0, v7, vcc_lo
	v_cmp_eq_u32_e32 vcc_lo, 0, v4
	v_add_nc_u32_e32 v4, 0xffffff89, v4
	v_cndmask_b32_e64 v7, v7, 0x77, vcc_lo
	v_cndmask_b32_e32 v5, v8, v5, vcc_lo
	v_cndmask_b32_e64 v4, v4, 0xffffff8a, vcc_lo
	v_lshl_add_u32 v8, 0x100000, v7, -1
	v_lshrrev_b32_e32 v9, v7, v5
	v_lshlrev_b32_e64 v17, v7, 0x80000
	v_add_nc_u32_e32 v7, v7, v4
	v_and_b32_e32 v5, v8, v5
	v_bfe_u32 v16, v9, 20, 1
	v_cmp_eq_u32_e64 s13, v5, v17
	v_add_nc_u32_e32 v8, -1, v16
	v_cndmask_b32_e64 v5, 0, v8, s13
	v_lshrrev_b32_e32 v8, 23, v9
	s_mov_b32 s13, exec_lo
	v_add_nc_u32_e32 v5, v5, v9
	v_xor_b32_e32 v8, 1, v8
	v_and_b32_e32 v4, 0xfffff, v5
	v_add_nc_u32_e32 v5, v4, v9
                                        ; implicit-def: $vgpr4
	v_cmpx_ne_u32_e64 v7, v8
	s_xor_b32 s13, exec_lo, s13
; %bb.3724:                             ;   in Loop: Header=BB6_3357 Depth=2
	v_cmp_lt_u32_e32 vcc_lo, 0xffffff, v5
	v_sub_nc_u32_e32 v4, v7, v8
	v_cndmask_b32_e64 v7, 0, 1, vcc_lo
	v_add_co_ci_u32_e64 v4, null, 0, v4, vcc_lo
	v_lshrrev_b32_e32 v5, v7, v5
; %bb.3725:                             ;   in Loop: Header=BB6_3357 Depth=2
	s_andn2_saveexec_b32 s13, s13
; %bb.3726:                             ;   in Loop: Header=BB6_3357 Depth=2
	v_bfe_u32 v4, v5, 23, 1
; %bb.3727:                             ;   in Loop: Header=BB6_3357 Depth=2
	s_or_b32 exec_lo, exec_lo, s13
	v_lshrrev_b32_e32 v5, 20, v5
	v_cmp_gt_i32_e32 vcc_lo, 16, v4
	v_min_i32_e32 v7, 15, v4
	v_and_b32_sdwa v1, v1, v114 dst_sel:DWORD dst_unused:UNUSED_PAD src0_sel:BYTE_3 src1_sel:DWORD
	v_cndmask_b32_e32 v5, 7, v5, vcc_lo
	v_lshlrev_b32_e32 v7, 3, v7
	v_and_b32_e32 v8, 7, v5
	v_or_b32_e32 v4, v4, v5
	v_or3_b32 v1, v7, v1, v8
	v_cmp_ne_u32_e32 vcc_lo, 0, v4
	v_cndmask_b32_e32 v17, 0, v1, vcc_lo
.LBB6_3728:                             ;   in Loop: Header=BB6_3357 Depth=2
	s_or_b32 exec_lo, exec_lo, s29
.LBB6_3729:                             ;   in Loop: Header=BB6_3357 Depth=2
	s_or_b32 exec_lo, exec_lo, s28
	flat_load_ubyte v1, v[10:11] offset:832 slc
	s_mov_b32 s13, 0
	s_mov_b32 s28, exec_lo
	s_waitcnt vmcnt(0) lgkmcnt(0)
	v_cmpx_lt_i16_e32 0x7f, v1
	s_xor_b32 s28, exec_lo, s28
	s_cbranch_execz .LBB6_4503
; %bb.3730:                             ;   in Loop: Header=BB6_3357 Depth=2
	s_mov_b32 s13, -1
	s_mov_b32 s29, exec_lo
	v_cmpx_eq_u16_e32 0x80, v1
; %bb.3731:                             ;   in Loop: Header=BB6_3357 Depth=2
	s_xor_b32 s13, exec_lo, -1
; %bb.3732:                             ;   in Loop: Header=BB6_3357 Depth=2
	s_or_b32 exec_lo, exec_lo, s29
	s_and_b32 s13, s13, exec_lo
	s_or_saveexec_b32 s28, s28
	v_mov_b32_e32 v4, 0x7f800001
	s_xor_b32 exec_lo, exec_lo, s28
	s_cbranch_execnz .LBB6_4504
.LBB6_3733:                             ;   in Loop: Header=BB6_3357 Depth=2
	s_or_b32 exec_lo, exec_lo, s28
	s_and_saveexec_b32 s28, s13
	s_cbranch_execz .LBB6_3735
.LBB6_3734:                             ;   in Loop: Header=BB6_3357 Depth=2
	v_and_b32_e32 v4, 0xffff, v1
	v_lshlrev_b32_e32 v1, 24, v1
	v_and_b32_e32 v5, 7, v4
	v_bfe_u32 v9, v4, 3, 4
	v_and_b32_e32 v1, 0x80000000, v1
	v_ffbh_u32_e32 v7, v5
	v_cmp_eq_u32_e32 vcc_lo, 0, v9
	v_min_u32_e32 v7, 32, v7
	v_subrev_nc_u32_e32 v8, 28, v7
	v_sub_nc_u32_e32 v7, 29, v7
	v_lshlrev_b32_e32 v4, v8, v4
	v_cndmask_b32_e32 v7, v9, v7, vcc_lo
	v_and_b32_e32 v4, 7, v4
	v_cndmask_b32_e32 v4, v5, v4, vcc_lo
	v_lshl_add_u32 v5, v7, 23, 0x3b800000
	v_lshlrev_b32_e32 v4, 20, v4
	v_or3_b32 v4, v1, v5, v4
.LBB6_3735:                             ;   in Loop: Header=BB6_3357 Depth=2
	s_or_b32 exec_lo, exec_lo, s28
	v_mul_f32_e32 v1, v0, v4
	v_mov_b32_e32 v16, 0x80
	s_mov_b32 s28, exec_lo
	v_and_b32_e32 v4, 0x7f800000, v1
	v_cmpx_ne_u32_e32 0x7f800000, v4
	s_cbranch_execz .LBB6_3743
; %bb.3736:                             ;   in Loop: Header=BB6_3357 Depth=2
	v_mov_b32_e32 v16, 0
	s_mov_b32 s29, exec_lo
	v_cmpx_ne_u32_e32 0, v1
	s_cbranch_execz .LBB6_3742
; %bb.3737:                             ;   in Loop: Header=BB6_3357 Depth=2
	v_bfe_u32 v4, v1, 23, 8
	v_and_b32_e32 v5, 0x7fffff, v1
	v_sub_nc_u32_e32 v7, 0x78, v4
	v_cmp_gt_u32_e32 vcc_lo, 0x79, v4
	v_or_b32_e32 v8, 0x800000, v5
	v_cndmask_b32_e32 v7, 0, v7, vcc_lo
	v_cmp_eq_u32_e32 vcc_lo, 0, v4
	v_add_nc_u32_e32 v4, 0xffffff89, v4
	v_cndmask_b32_e64 v7, v7, 0x77, vcc_lo
	v_cndmask_b32_e32 v5, v8, v5, vcc_lo
	v_cndmask_b32_e64 v4, v4, 0xffffff8a, vcc_lo
	v_lshl_add_u32 v8, 0x100000, v7, -1
	v_lshrrev_b32_e32 v9, v7, v5
	v_lshlrev_b32_e64 v22, v7, 0x80000
	v_add_nc_u32_e32 v7, v7, v4
	v_and_b32_e32 v5, v8, v5
	v_bfe_u32 v16, v9, 20, 1
	v_cmp_eq_u32_e64 s13, v5, v22
	v_add_nc_u32_e32 v8, -1, v16
	v_cndmask_b32_e64 v5, 0, v8, s13
	v_lshrrev_b32_e32 v8, 23, v9
	s_mov_b32 s13, exec_lo
	v_add_nc_u32_e32 v5, v5, v9
	v_xor_b32_e32 v8, 1, v8
	v_and_b32_e32 v4, 0xfffff, v5
	v_add_nc_u32_e32 v5, v4, v9
                                        ; implicit-def: $vgpr4
	v_cmpx_ne_u32_e64 v7, v8
	s_xor_b32 s13, exec_lo, s13
; %bb.3738:                             ;   in Loop: Header=BB6_3357 Depth=2
	v_cmp_lt_u32_e32 vcc_lo, 0xffffff, v5
	v_sub_nc_u32_e32 v4, v7, v8
	v_cndmask_b32_e64 v7, 0, 1, vcc_lo
	v_add_co_ci_u32_e64 v4, null, 0, v4, vcc_lo
	v_lshrrev_b32_e32 v5, v7, v5
; %bb.3739:                             ;   in Loop: Header=BB6_3357 Depth=2
	s_andn2_saveexec_b32 s13, s13
; %bb.3740:                             ;   in Loop: Header=BB6_3357 Depth=2
	v_bfe_u32 v4, v5, 23, 1
; %bb.3741:                             ;   in Loop: Header=BB6_3357 Depth=2
	s_or_b32 exec_lo, exec_lo, s13
	v_lshrrev_b32_e32 v5, 20, v5
	v_cmp_gt_i32_e32 vcc_lo, 16, v4
	v_min_i32_e32 v7, 15, v4
	v_and_b32_sdwa v1, v1, v114 dst_sel:DWORD dst_unused:UNUSED_PAD src0_sel:BYTE_3 src1_sel:DWORD
	v_cndmask_b32_e32 v5, 7, v5, vcc_lo
	v_lshlrev_b32_e32 v7, 3, v7
	v_and_b32_e32 v8, 7, v5
	v_or_b32_e32 v4, v4, v5
	v_or3_b32 v1, v7, v1, v8
	v_cmp_ne_u32_e32 vcc_lo, 0, v4
	v_cndmask_b32_e32 v16, 0, v1, vcc_lo
.LBB6_3742:                             ;   in Loop: Header=BB6_3357 Depth=2
	s_or_b32 exec_lo, exec_lo, s29
.LBB6_3743:                             ;   in Loop: Header=BB6_3357 Depth=2
	s_or_b32 exec_lo, exec_lo, s28
	flat_load_ubyte v1, v[10:11] offset:864 slc
	s_mov_b32 s13, 0
	s_mov_b32 s28, exec_lo
	s_waitcnt vmcnt(0) lgkmcnt(0)
	v_cmpx_lt_i16_e32 0x7f, v1
	s_xor_b32 s28, exec_lo, s28
	s_cbranch_execz .LBB6_4505
; %bb.3744:                             ;   in Loop: Header=BB6_3357 Depth=2
	s_mov_b32 s13, -1
	s_mov_b32 s29, exec_lo
	v_cmpx_eq_u16_e32 0x80, v1
; %bb.3745:                             ;   in Loop: Header=BB6_3357 Depth=2
	s_xor_b32 s13, exec_lo, -1
; %bb.3746:                             ;   in Loop: Header=BB6_3357 Depth=2
	s_or_b32 exec_lo, exec_lo, s29
	s_and_b32 s13, s13, exec_lo
	s_or_saveexec_b32 s28, s28
	v_mov_b32_e32 v4, 0x7f800001
	s_xor_b32 exec_lo, exec_lo, s28
	s_cbranch_execnz .LBB6_4506
.LBB6_3747:                             ;   in Loop: Header=BB6_3357 Depth=2
	s_or_b32 exec_lo, exec_lo, s28
	s_and_saveexec_b32 s28, s13
	s_cbranch_execz .LBB6_3749
.LBB6_3748:                             ;   in Loop: Header=BB6_3357 Depth=2
	v_and_b32_e32 v4, 0xffff, v1
	v_lshlrev_b32_e32 v1, 24, v1
	v_and_b32_e32 v5, 7, v4
	v_bfe_u32 v9, v4, 3, 4
	v_and_b32_e32 v1, 0x80000000, v1
	v_ffbh_u32_e32 v7, v5
	v_cmp_eq_u32_e32 vcc_lo, 0, v9
	v_min_u32_e32 v7, 32, v7
	v_subrev_nc_u32_e32 v8, 28, v7
	v_sub_nc_u32_e32 v7, 29, v7
	v_lshlrev_b32_e32 v4, v8, v4
	v_cndmask_b32_e32 v7, v9, v7, vcc_lo
	v_and_b32_e32 v4, 7, v4
	v_cndmask_b32_e32 v4, v5, v4, vcc_lo
	v_lshl_add_u32 v5, v7, 23, 0x3b800000
	v_lshlrev_b32_e32 v4, 20, v4
	v_or3_b32 v4, v1, v5, v4
.LBB6_3749:                             ;   in Loop: Header=BB6_3357 Depth=2
	s_or_b32 exec_lo, exec_lo, s28
	v_mul_f32_e32 v1, v0, v4
	v_mov_b32_e32 v9, 0x80
	s_mov_b32 s28, exec_lo
	v_and_b32_e32 v4, 0x7f800000, v1
	v_cmpx_ne_u32_e32 0x7f800000, v4
	s_cbranch_execz .LBB6_3757
; %bb.3750:                             ;   in Loop: Header=BB6_3357 Depth=2
	v_mov_b32_e32 v9, 0
	s_mov_b32 s29, exec_lo
	v_cmpx_ne_u32_e32 0, v1
	s_cbranch_execz .LBB6_3756
; %bb.3751:                             ;   in Loop: Header=BB6_3357 Depth=2
	v_bfe_u32 v4, v1, 23, 8
	v_and_b32_e32 v5, 0x7fffff, v1
	v_sub_nc_u32_e32 v7, 0x78, v4
	v_cmp_gt_u32_e32 vcc_lo, 0x79, v4
	v_or_b32_e32 v8, 0x800000, v5
	v_cndmask_b32_e32 v7, 0, v7, vcc_lo
	v_cmp_eq_u32_e32 vcc_lo, 0, v4
	v_add_nc_u32_e32 v4, 0xffffff89, v4
	v_cndmask_b32_e64 v7, v7, 0x77, vcc_lo
	v_cndmask_b32_e32 v5, v8, v5, vcc_lo
	v_cndmask_b32_e64 v4, v4, 0xffffff8a, vcc_lo
	v_lshl_add_u32 v8, 0x100000, v7, -1
	v_lshrrev_b32_e32 v9, v7, v5
	v_lshlrev_b32_e64 v26, v7, 0x80000
	v_add_nc_u32_e32 v7, v7, v4
	v_and_b32_e32 v5, v8, v5
	v_bfe_u32 v22, v9, 20, 1
	v_cmp_eq_u32_e64 s13, v5, v26
	v_add_nc_u32_e32 v8, -1, v22
	v_cndmask_b32_e64 v5, 0, v8, s13
	v_lshrrev_b32_e32 v8, 23, v9
	s_mov_b32 s13, exec_lo
	v_add_nc_u32_e32 v5, v5, v9
	v_xor_b32_e32 v8, 1, v8
	v_and_b32_e32 v4, 0xfffff, v5
	v_add_nc_u32_e32 v5, v4, v9
                                        ; implicit-def: $vgpr4
	v_cmpx_ne_u32_e64 v7, v8
	s_xor_b32 s13, exec_lo, s13
; %bb.3752:                             ;   in Loop: Header=BB6_3357 Depth=2
	v_cmp_lt_u32_e32 vcc_lo, 0xffffff, v5
	v_sub_nc_u32_e32 v4, v7, v8
	v_cndmask_b32_e64 v7, 0, 1, vcc_lo
	v_add_co_ci_u32_e64 v4, null, 0, v4, vcc_lo
	v_lshrrev_b32_e32 v5, v7, v5
; %bb.3753:                             ;   in Loop: Header=BB6_3357 Depth=2
	s_andn2_saveexec_b32 s13, s13
; %bb.3754:                             ;   in Loop: Header=BB6_3357 Depth=2
	v_bfe_u32 v4, v5, 23, 1
; %bb.3755:                             ;   in Loop: Header=BB6_3357 Depth=2
	s_or_b32 exec_lo, exec_lo, s13
	v_lshrrev_b32_e32 v5, 20, v5
	v_cmp_gt_i32_e32 vcc_lo, 16, v4
	v_min_i32_e32 v7, 15, v4
	v_and_b32_sdwa v1, v1, v114 dst_sel:DWORD dst_unused:UNUSED_PAD src0_sel:BYTE_3 src1_sel:DWORD
	v_cndmask_b32_e32 v5, 7, v5, vcc_lo
	v_lshlrev_b32_e32 v7, 3, v7
	v_and_b32_e32 v8, 7, v5
	v_or_b32_e32 v4, v4, v5
	v_or3_b32 v1, v7, v1, v8
	v_cmp_ne_u32_e32 vcc_lo, 0, v4
	v_cndmask_b32_e32 v9, 0, v1, vcc_lo
.LBB6_3756:                             ;   in Loop: Header=BB6_3357 Depth=2
	s_or_b32 exec_lo, exec_lo, s29
.LBB6_3757:                             ;   in Loop: Header=BB6_3357 Depth=2
	s_or_b32 exec_lo, exec_lo, s28
	flat_load_ubyte v1, v[10:11] offset:896 slc
	s_mov_b32 s13, 0
	s_mov_b32 s28, exec_lo
	s_waitcnt vmcnt(0) lgkmcnt(0)
	v_cmpx_lt_i16_e32 0x7f, v1
	s_xor_b32 s28, exec_lo, s28
	s_cbranch_execz .LBB6_4507
; %bb.3758:                             ;   in Loop: Header=BB6_3357 Depth=2
	s_mov_b32 s13, -1
	s_mov_b32 s29, exec_lo
	v_cmpx_eq_u16_e32 0x80, v1
; %bb.3759:                             ;   in Loop: Header=BB6_3357 Depth=2
	s_xor_b32 s13, exec_lo, -1
; %bb.3760:                             ;   in Loop: Header=BB6_3357 Depth=2
	s_or_b32 exec_lo, exec_lo, s29
	s_and_b32 s13, s13, exec_lo
	s_or_saveexec_b32 s28, s28
	v_mov_b32_e32 v4, 0x7f800001
	s_xor_b32 exec_lo, exec_lo, s28
	s_cbranch_execnz .LBB6_4508
.LBB6_3761:                             ;   in Loop: Header=BB6_3357 Depth=2
	s_or_b32 exec_lo, exec_lo, s28
	s_and_saveexec_b32 s28, s13
	s_cbranch_execz .LBB6_3763
.LBB6_3762:                             ;   in Loop: Header=BB6_3357 Depth=2
	v_and_b32_e32 v4, 0xffff, v1
	v_lshlrev_b32_e32 v1, 24, v1
	v_and_b32_e32 v5, 7, v4
	v_bfe_u32 v22, v4, 3, 4
	v_and_b32_e32 v1, 0x80000000, v1
	v_ffbh_u32_e32 v7, v5
	v_cmp_eq_u32_e32 vcc_lo, 0, v22
	v_min_u32_e32 v7, 32, v7
	v_subrev_nc_u32_e32 v8, 28, v7
	v_sub_nc_u32_e32 v7, 29, v7
	v_lshlrev_b32_e32 v4, v8, v4
	v_cndmask_b32_e32 v7, v22, v7, vcc_lo
	v_and_b32_e32 v4, 7, v4
	v_cndmask_b32_e32 v4, v5, v4, vcc_lo
	v_lshl_add_u32 v5, v7, 23, 0x3b800000
	v_lshlrev_b32_e32 v4, 20, v4
	v_or3_b32 v4, v1, v5, v4
.LBB6_3763:                             ;   in Loop: Header=BB6_3357 Depth=2
	s_or_b32 exec_lo, exec_lo, s28
	v_mul_f32_e32 v1, v0, v4
	v_mov_b32_e32 v7, 0x80
	s_mov_b32 s28, exec_lo
	v_and_b32_e32 v4, 0x7f800000, v1
	v_cmpx_ne_u32_e32 0x7f800000, v4
	s_cbranch_execz .LBB6_3771
; %bb.3764:                             ;   in Loop: Header=BB6_3357 Depth=2
	v_mov_b32_e32 v7, 0
	s_mov_b32 s29, exec_lo
	v_cmpx_ne_u32_e32 0, v1
	s_cbranch_execz .LBB6_3770
; %bb.3765:                             ;   in Loop: Header=BB6_3357 Depth=2
	v_bfe_u32 v4, v1, 23, 8
	v_and_b32_e32 v5, 0x7fffff, v1
	v_sub_nc_u32_e32 v7, 0x78, v4
	v_cmp_gt_u32_e32 vcc_lo, 0x79, v4
	v_or_b32_e32 v8, 0x800000, v5
	v_cndmask_b32_e32 v7, 0, v7, vcc_lo
	v_cmp_eq_u32_e32 vcc_lo, 0, v4
	v_add_nc_u32_e32 v4, 0xffffff89, v4
	v_cndmask_b32_e64 v7, v7, 0x77, vcc_lo
	v_cndmask_b32_e32 v5, v8, v5, vcc_lo
	v_cndmask_b32_e64 v4, v4, 0xffffff8a, vcc_lo
	v_lshl_add_u32 v8, 0x100000, v7, -1
	v_lshrrev_b32_e32 v22, v7, v5
	v_lshlrev_b32_e64 v32, v7, 0x80000
	v_add_nc_u32_e32 v7, v7, v4
	v_and_b32_e32 v5, v8, v5
	v_bfe_u32 v26, v22, 20, 1
	v_cmp_eq_u32_e64 s13, v5, v32
	v_add_nc_u32_e32 v8, -1, v26
	v_cndmask_b32_e64 v5, 0, v8, s13
	v_lshrrev_b32_e32 v8, 23, v22
	s_mov_b32 s13, exec_lo
	v_add_nc_u32_e32 v5, v5, v22
	v_xor_b32_e32 v8, 1, v8
	v_and_b32_e32 v4, 0xfffff, v5
	v_add_nc_u32_e32 v5, v4, v22
                                        ; implicit-def: $vgpr4
	v_cmpx_ne_u32_e64 v7, v8
	s_xor_b32 s13, exec_lo, s13
; %bb.3766:                             ;   in Loop: Header=BB6_3357 Depth=2
	v_cmp_lt_u32_e32 vcc_lo, 0xffffff, v5
	v_sub_nc_u32_e32 v4, v7, v8
	v_cndmask_b32_e64 v7, 0, 1, vcc_lo
	v_add_co_ci_u32_e64 v4, null, 0, v4, vcc_lo
	v_lshrrev_b32_e32 v5, v7, v5
; %bb.3767:                             ;   in Loop: Header=BB6_3357 Depth=2
	s_andn2_saveexec_b32 s13, s13
; %bb.3768:                             ;   in Loop: Header=BB6_3357 Depth=2
	v_bfe_u32 v4, v5, 23, 1
; %bb.3769:                             ;   in Loop: Header=BB6_3357 Depth=2
	s_or_b32 exec_lo, exec_lo, s13
	v_lshrrev_b32_e32 v5, 20, v5
	v_cmp_gt_i32_e32 vcc_lo, 16, v4
	v_min_i32_e32 v7, 15, v4
	v_and_b32_sdwa v1, v1, v114 dst_sel:DWORD dst_unused:UNUSED_PAD src0_sel:BYTE_3 src1_sel:DWORD
	v_cndmask_b32_e32 v5, 7, v5, vcc_lo
	v_lshlrev_b32_e32 v7, 3, v7
	v_and_b32_e32 v8, 7, v5
	v_or_b32_e32 v4, v4, v5
	v_or3_b32 v1, v7, v1, v8
	v_cmp_ne_u32_e32 vcc_lo, 0, v4
	v_cndmask_b32_e32 v7, 0, v1, vcc_lo
.LBB6_3770:                             ;   in Loop: Header=BB6_3357 Depth=2
	s_or_b32 exec_lo, exec_lo, s29
.LBB6_3771:                             ;   in Loop: Header=BB6_3357 Depth=2
	s_or_b32 exec_lo, exec_lo, s28
	flat_load_ubyte v1, v[10:11] offset:928 slc
	s_mov_b32 s13, 0
	s_mov_b32 s28, exec_lo
	s_waitcnt vmcnt(0) lgkmcnt(0)
	v_cmpx_lt_i16_e32 0x7f, v1
	s_xor_b32 s28, exec_lo, s28
	s_cbranch_execz .LBB6_4509
; %bb.3772:                             ;   in Loop: Header=BB6_3357 Depth=2
	s_mov_b32 s13, -1
	s_mov_b32 s29, exec_lo
	v_cmpx_eq_u16_e32 0x80, v1
; %bb.3773:                             ;   in Loop: Header=BB6_3357 Depth=2
	s_xor_b32 s13, exec_lo, -1
; %bb.3774:                             ;   in Loop: Header=BB6_3357 Depth=2
	s_or_b32 exec_lo, exec_lo, s29
	s_and_b32 s13, s13, exec_lo
	s_or_saveexec_b32 s28, s28
	v_mov_b32_e32 v4, 0x7f800001
	s_xor_b32 exec_lo, exec_lo, s28
	s_cbranch_execnz .LBB6_4510
.LBB6_3775:                             ;   in Loop: Header=BB6_3357 Depth=2
	s_or_b32 exec_lo, exec_lo, s28
	s_and_saveexec_b32 s28, s13
	s_cbranch_execz .LBB6_3777
.LBB6_3776:                             ;   in Loop: Header=BB6_3357 Depth=2
	v_and_b32_e32 v4, 0xffff, v1
	v_lshlrev_b32_e32 v1, 24, v1
	v_and_b32_e32 v5, 7, v4
	v_bfe_u32 v26, v4, 3, 4
	v_and_b32_e32 v1, 0x80000000, v1
	v_ffbh_u32_e32 v8, v5
	v_cmp_eq_u32_e32 vcc_lo, 0, v26
	v_min_u32_e32 v8, 32, v8
	v_subrev_nc_u32_e32 v22, 28, v8
	v_sub_nc_u32_e32 v8, 29, v8
	v_lshlrev_b32_e32 v4, v22, v4
	v_cndmask_b32_e32 v8, v26, v8, vcc_lo
	v_and_b32_e32 v4, 7, v4
	v_cndmask_b32_e32 v4, v5, v4, vcc_lo
	v_lshl_add_u32 v5, v8, 23, 0x3b800000
	v_lshlrev_b32_e32 v4, 20, v4
	v_or3_b32 v4, v1, v5, v4
.LBB6_3777:                             ;   in Loop: Header=BB6_3357 Depth=2
	s_or_b32 exec_lo, exec_lo, s28
	v_mul_f32_e32 v1, v0, v4
	v_mov_b32_e32 v5, 0x80
	s_mov_b32 s28, exec_lo
	v_and_b32_e32 v4, 0x7f800000, v1
	v_cmpx_ne_u32_e32 0x7f800000, v4
	s_cbranch_execz .LBB6_3785
; %bb.3778:                             ;   in Loop: Header=BB6_3357 Depth=2
	v_mov_b32_e32 v5, 0
	s_mov_b32 s29, exec_lo
	v_cmpx_ne_u32_e32 0, v1
	s_cbranch_execz .LBB6_3784
; %bb.3779:                             ;   in Loop: Header=BB6_3357 Depth=2
	v_bfe_u32 v4, v1, 23, 8
	v_and_b32_e32 v5, 0x7fffff, v1
	v_sub_nc_u32_e32 v8, 0x78, v4
	v_cmp_gt_u32_e32 vcc_lo, 0x79, v4
	v_or_b32_e32 v22, 0x800000, v5
	v_cndmask_b32_e32 v8, 0, v8, vcc_lo
	v_cmp_eq_u32_e32 vcc_lo, 0, v4
	v_add_nc_u32_e32 v4, 0xffffff89, v4
	v_cndmask_b32_e64 v8, v8, 0x77, vcc_lo
	v_cndmask_b32_e32 v5, v22, v5, vcc_lo
	v_cndmask_b32_e64 v4, v4, 0xffffff8a, vcc_lo
	v_lshl_add_u32 v22, 0x100000, v8, -1
	v_lshrrev_b32_e32 v26, v8, v5
	v_lshlrev_b32_e64 v37, v8, 0x80000
	v_add_nc_u32_e32 v8, v8, v4
	v_and_b32_e32 v5, v22, v5
	v_bfe_u32 v32, v26, 20, 1
	v_cmp_eq_u32_e64 s13, v5, v37
	v_add_nc_u32_e32 v22, -1, v32
	v_cndmask_b32_e64 v5, 0, v22, s13
	v_lshrrev_b32_e32 v22, 23, v26
	s_mov_b32 s13, exec_lo
	v_add_nc_u32_e32 v5, v5, v26
	v_xor_b32_e32 v22, 1, v22
	v_and_b32_e32 v4, 0xfffff, v5
	v_add_nc_u32_e32 v5, v4, v26
                                        ; implicit-def: $vgpr4
	v_cmpx_ne_u32_e64 v8, v22
	s_xor_b32 s13, exec_lo, s13
; %bb.3780:                             ;   in Loop: Header=BB6_3357 Depth=2
	v_cmp_lt_u32_e32 vcc_lo, 0xffffff, v5
	v_sub_nc_u32_e32 v4, v8, v22
	v_cndmask_b32_e64 v8, 0, 1, vcc_lo
	v_add_co_ci_u32_e64 v4, null, 0, v4, vcc_lo
	v_lshrrev_b32_e32 v5, v8, v5
; %bb.3781:                             ;   in Loop: Header=BB6_3357 Depth=2
	s_andn2_saveexec_b32 s13, s13
; %bb.3782:                             ;   in Loop: Header=BB6_3357 Depth=2
	v_bfe_u32 v4, v5, 23, 1
; %bb.3783:                             ;   in Loop: Header=BB6_3357 Depth=2
	s_or_b32 exec_lo, exec_lo, s13
	v_lshrrev_b32_e32 v5, 20, v5
	v_cmp_gt_i32_e32 vcc_lo, 16, v4
	v_min_i32_e32 v8, 15, v4
	v_and_b32_sdwa v1, v1, v114 dst_sel:DWORD dst_unused:UNUSED_PAD src0_sel:BYTE_3 src1_sel:DWORD
	v_cndmask_b32_e32 v5, 7, v5, vcc_lo
	v_lshlrev_b32_e32 v8, 3, v8
	v_and_b32_e32 v22, 7, v5
	v_or_b32_e32 v4, v4, v5
	v_or3_b32 v1, v8, v1, v22
	v_cmp_ne_u32_e32 vcc_lo, 0, v4
	v_cndmask_b32_e32 v5, 0, v1, vcc_lo
.LBB6_3784:                             ;   in Loop: Header=BB6_3357 Depth=2
	s_or_b32 exec_lo, exec_lo, s29
.LBB6_3785:                             ;   in Loop: Header=BB6_3357 Depth=2
	s_or_b32 exec_lo, exec_lo, s28
	flat_load_ubyte v1, v[10:11] offset:960 slc
	s_mov_b32 s13, 0
	s_mov_b32 s28, exec_lo
	s_waitcnt vmcnt(0) lgkmcnt(0)
	v_cmpx_lt_i16_e32 0x7f, v1
	s_xor_b32 s28, exec_lo, s28
	s_cbranch_execz .LBB6_4511
; %bb.3786:                             ;   in Loop: Header=BB6_3357 Depth=2
	s_mov_b32 s13, -1
	s_mov_b32 s29, exec_lo
	v_cmpx_eq_u16_e32 0x80, v1
; %bb.3787:                             ;   in Loop: Header=BB6_3357 Depth=2
	s_xor_b32 s13, exec_lo, -1
; %bb.3788:                             ;   in Loop: Header=BB6_3357 Depth=2
	s_or_b32 exec_lo, exec_lo, s29
	s_and_b32 s13, s13, exec_lo
	s_or_saveexec_b32 s28, s28
	v_mov_b32_e32 v4, 0x7f800001
	s_xor_b32 exec_lo, exec_lo, s28
	s_cbranch_execnz .LBB6_4512
.LBB6_3789:                             ;   in Loop: Header=BB6_3357 Depth=2
	s_or_b32 exec_lo, exec_lo, s28
	s_and_saveexec_b32 s28, s13
	s_cbranch_execz .LBB6_3791
.LBB6_3790:                             ;   in Loop: Header=BB6_3357 Depth=2
	v_and_b32_e32 v4, 0xffff, v1
	v_lshlrev_b32_e32 v1, 24, v1
	v_and_b32_e32 v8, 7, v4
	v_bfe_u32 v32, v4, 3, 4
	v_and_b32_e32 v1, 0x80000000, v1
	v_ffbh_u32_e32 v22, v8
	v_cmp_eq_u32_e32 vcc_lo, 0, v32
	v_min_u32_e32 v22, 32, v22
	v_subrev_nc_u32_e32 v26, 28, v22
	v_sub_nc_u32_e32 v22, 29, v22
	v_lshlrev_b32_e32 v4, v26, v4
	v_cndmask_b32_e32 v22, v32, v22, vcc_lo
	v_and_b32_e32 v4, 7, v4
	v_cndmask_b32_e32 v4, v8, v4, vcc_lo
	v_lshl_add_u32 v8, v22, 23, 0x3b800000
	v_lshlrev_b32_e32 v4, 20, v4
	v_or3_b32 v4, v1, v8, v4
.LBB6_3791:                             ;   in Loop: Header=BB6_3357 Depth=2
	s_or_b32 exec_lo, exec_lo, s28
	v_mul_f32_e32 v1, v0, v4
	v_and_b32_e32 v4, 0x7f800000, v1
	v_cmp_ne_u32_e32 vcc_lo, 0x7f800000, v4
	v_mov_b32_e32 v4, 0x80
	s_and_saveexec_b32 s28, vcc_lo
	s_cbranch_execz .LBB6_3799
; %bb.3792:                             ;   in Loop: Header=BB6_3357 Depth=2
	v_mov_b32_e32 v4, 0
	s_mov_b32 s29, exec_lo
	v_cmpx_ne_u32_e32 0, v1
	s_cbranch_execz .LBB6_3798
; %bb.3793:                             ;   in Loop: Header=BB6_3357 Depth=2
	v_bfe_u32 v4, v1, 23, 8
	v_and_b32_e32 v8, 0x7fffff, v1
	v_sub_nc_u32_e32 v22, 0x78, v4
	v_cmp_gt_u32_e32 vcc_lo, 0x79, v4
	v_or_b32_e32 v26, 0x800000, v8
	v_cndmask_b32_e32 v22, 0, v22, vcc_lo
	v_cmp_eq_u32_e32 vcc_lo, 0, v4
	v_add_nc_u32_e32 v4, 0xffffff89, v4
	v_cndmask_b32_e64 v22, v22, 0x77, vcc_lo
	v_cndmask_b32_e32 v8, v26, v8, vcc_lo
	v_cndmask_b32_e64 v4, v4, 0xffffff8a, vcc_lo
	v_lshl_add_u32 v26, 0x100000, v22, -1
	v_lshrrev_b32_e32 v32, v22, v8
	v_lshlrev_b32_e64 v66, v22, 0x80000
	v_add_nc_u32_e32 v22, v22, v4
	v_and_b32_e32 v8, v26, v8
	v_bfe_u32 v37, v32, 20, 1
	v_cmp_eq_u32_e64 s13, v8, v66
	v_add_nc_u32_e32 v26, -1, v37
	v_cndmask_b32_e64 v8, 0, v26, s13
	v_lshrrev_b32_e32 v26, 23, v32
	s_mov_b32 s13, exec_lo
	v_add_nc_u32_e32 v8, v8, v32
	v_xor_b32_e32 v26, 1, v26
	v_and_b32_e32 v4, 0xfffff, v8
	v_add_nc_u32_e32 v8, v4, v32
                                        ; implicit-def: $vgpr4
	v_cmpx_ne_u32_e64 v22, v26
	s_xor_b32 s13, exec_lo, s13
; %bb.3794:                             ;   in Loop: Header=BB6_3357 Depth=2
	v_cmp_lt_u32_e32 vcc_lo, 0xffffff, v8
	v_sub_nc_u32_e32 v4, v22, v26
	v_cndmask_b32_e64 v22, 0, 1, vcc_lo
	v_add_co_ci_u32_e64 v4, null, 0, v4, vcc_lo
	v_lshrrev_b32_e32 v8, v22, v8
; %bb.3795:                             ;   in Loop: Header=BB6_3357 Depth=2
	s_andn2_saveexec_b32 s13, s13
; %bb.3796:                             ;   in Loop: Header=BB6_3357 Depth=2
	v_bfe_u32 v4, v8, 23, 1
; %bb.3797:                             ;   in Loop: Header=BB6_3357 Depth=2
	s_or_b32 exec_lo, exec_lo, s13
	v_lshrrev_b32_e32 v8, 20, v8
	v_cmp_gt_i32_e32 vcc_lo, 16, v4
	v_min_i32_e32 v22, 15, v4
	v_and_b32_sdwa v1, v1, v114 dst_sel:DWORD dst_unused:UNUSED_PAD src0_sel:BYTE_3 src1_sel:DWORD
	v_cndmask_b32_e32 v8, 7, v8, vcc_lo
	v_lshlrev_b32_e32 v22, 3, v22
	v_and_b32_e32 v26, 7, v8
	v_or_b32_e32 v4, v4, v8
	v_or3_b32 v1, v22, v1, v26
	v_cmp_ne_u32_e32 vcc_lo, 0, v4
	v_cndmask_b32_e32 v4, 0, v1, vcc_lo
.LBB6_3798:                             ;   in Loop: Header=BB6_3357 Depth=2
	s_or_b32 exec_lo, exec_lo, s29
.LBB6_3799:                             ;   in Loop: Header=BB6_3357 Depth=2
	s_or_b32 exec_lo, exec_lo, s28
	flat_load_ubyte v1, v[10:11] offset:992 slc
	s_mov_b32 s13, 0
	s_mov_b32 s28, exec_lo
	s_waitcnt vmcnt(0) lgkmcnt(0)
	v_cmpx_lt_i16_e32 0x7f, v1
	s_xor_b32 s28, exec_lo, s28
	s_cbranch_execz .LBB6_4513
; %bb.3800:                             ;   in Loop: Header=BB6_3357 Depth=2
	s_mov_b32 s13, -1
	s_mov_b32 s29, exec_lo
	v_cmpx_eq_u16_e32 0x80, v1
; %bb.3801:                             ;   in Loop: Header=BB6_3357 Depth=2
	s_xor_b32 s13, exec_lo, -1
; %bb.3802:                             ;   in Loop: Header=BB6_3357 Depth=2
	s_or_b32 exec_lo, exec_lo, s29
	s_and_b32 s13, s13, exec_lo
	s_or_saveexec_b32 s28, s28
	v_mov_b32_e32 v8, 0x7f800001
	s_xor_b32 exec_lo, exec_lo, s28
	s_cbranch_execnz .LBB6_4514
.LBB6_3803:                             ;   in Loop: Header=BB6_3357 Depth=2
	s_or_b32 exec_lo, exec_lo, s28
	s_and_saveexec_b32 s28, s13
	s_cbranch_execz .LBB6_3805
.LBB6_3804:                             ;   in Loop: Header=BB6_3357 Depth=2
	v_and_b32_e32 v8, 0xffff, v1
	v_lshlrev_b32_e32 v1, 24, v1
	v_and_b32_e32 v22, 7, v8
	v_bfe_u32 v37, v8, 3, 4
	v_and_b32_e32 v1, 0x80000000, v1
	v_ffbh_u32_e32 v26, v22
	v_cmp_eq_u32_e32 vcc_lo, 0, v37
	v_min_u32_e32 v26, 32, v26
	v_subrev_nc_u32_e32 v32, 28, v26
	v_sub_nc_u32_e32 v26, 29, v26
	v_lshlrev_b32_e32 v8, v32, v8
	v_cndmask_b32_e32 v26, v37, v26, vcc_lo
	v_and_b32_e32 v8, 7, v8
	v_cndmask_b32_e32 v8, v22, v8, vcc_lo
	v_lshl_add_u32 v22, v26, 23, 0x3b800000
	v_lshlrev_b32_e32 v8, 20, v8
	v_or3_b32 v8, v1, v22, v8
.LBB6_3805:                             ;   in Loop: Header=BB6_3357 Depth=2
	s_or_b32 exec_lo, exec_lo, s28
	v_mul_f32_e32 v0, v0, v8
	v_and_b32_e32 v1, 0x7f800000, v0
	v_cmp_ne_u32_e32 vcc_lo, 0x7f800000, v1
	v_mov_b32_e32 v1, 0x80
	s_and_saveexec_b32 s28, vcc_lo
	s_cbranch_execz .LBB6_3813
; %bb.3806:                             ;   in Loop: Header=BB6_3357 Depth=2
	v_mov_b32_e32 v1, 0
	s_mov_b32 s29, exec_lo
	v_cmpx_ne_u32_e32 0, v0
	s_cbranch_execz .LBB6_3812
; %bb.3807:                             ;   in Loop: Header=BB6_3357 Depth=2
	v_bfe_u32 v1, v0, 23, 8
	v_and_b32_e32 v8, 0x7fffff, v0
	v_sub_nc_u32_e32 v22, 0x78, v1
	v_cmp_gt_u32_e32 vcc_lo, 0x79, v1
	v_or_b32_e32 v26, 0x800000, v8
	v_cndmask_b32_e32 v22, 0, v22, vcc_lo
	v_cmp_eq_u32_e32 vcc_lo, 0, v1
	v_add_nc_u32_e32 v1, 0xffffff89, v1
	v_cndmask_b32_e64 v22, v22, 0x77, vcc_lo
	v_cndmask_b32_e32 v8, v26, v8, vcc_lo
	v_cndmask_b32_e64 v1, v1, 0xffffff8a, vcc_lo
	v_lshl_add_u32 v26, 0x100000, v22, -1
	v_lshrrev_b32_e32 v32, v22, v8
	v_lshlrev_b32_e64 v66, v22, 0x80000
	v_add_nc_u32_e32 v22, v22, v1
	v_and_b32_e32 v8, v26, v8
	v_bfe_u32 v37, v32, 20, 1
	v_cmp_eq_u32_e64 s13, v8, v66
	v_add_nc_u32_e32 v26, -1, v37
	v_cndmask_b32_e64 v8, 0, v26, s13
	v_lshrrev_b32_e32 v26, 23, v32
	s_mov_b32 s13, exec_lo
	v_add_nc_u32_e32 v8, v8, v32
	v_xor_b32_e32 v26, 1, v26
	v_and_b32_e32 v1, 0xfffff, v8
	v_add_nc_u32_e32 v8, v1, v32
                                        ; implicit-def: $vgpr1
	v_cmpx_ne_u32_e64 v22, v26
	s_xor_b32 s13, exec_lo, s13
; %bb.3808:                             ;   in Loop: Header=BB6_3357 Depth=2
	v_cmp_lt_u32_e32 vcc_lo, 0xffffff, v8
	v_sub_nc_u32_e32 v1, v22, v26
	v_cndmask_b32_e64 v22, 0, 1, vcc_lo
	v_add_co_ci_u32_e64 v1, null, 0, v1, vcc_lo
	v_lshrrev_b32_e32 v8, v22, v8
; %bb.3809:                             ;   in Loop: Header=BB6_3357 Depth=2
	s_andn2_saveexec_b32 s13, s13
; %bb.3810:                             ;   in Loop: Header=BB6_3357 Depth=2
	v_bfe_u32 v1, v8, 23, 1
; %bb.3811:                             ;   in Loop: Header=BB6_3357 Depth=2
	s_or_b32 exec_lo, exec_lo, s13
	v_lshrrev_b32_e32 v8, 20, v8
	v_cmp_gt_i32_e32 vcc_lo, 16, v1
	v_min_i32_e32 v22, 15, v1
	v_and_b32_sdwa v0, v0, v114 dst_sel:DWORD dst_unused:UNUSED_PAD src0_sel:BYTE_3 src1_sel:DWORD
	v_cndmask_b32_e32 v8, 7, v8, vcc_lo
	v_lshlrev_b32_e32 v22, 3, v22
	v_and_b32_e32 v26, 7, v8
	v_or_b32_e32 v1, v1, v8
	v_or3_b32 v0, v22, v0, v26
	v_cmp_ne_u32_e32 vcc_lo, 0, v1
	v_cndmask_b32_e32 v1, 0, v0, vcc_lo
.LBB6_3812:                             ;   in Loop: Header=BB6_3357 Depth=2
	s_or_b32 exec_lo, exec_lo, s29
.LBB6_3813:                             ;   in Loop: Header=BB6_3357 Depth=2
	s_or_b32 exec_lo, exec_lo, s28
	s_clause 0x1f
	flat_load_ubyte v61, v[12:13] slc
	flat_load_ubyte v60, v[12:13] offset:32 slc
	flat_load_ubyte v59, v[12:13] offset:64 slc
	;; [unrolled: 1-line block ×31, first 2 shown]
	v_cmp_gt_i16_sdwa s13, v6, v113 src0_sel:BYTE_0 src1_sel:DWORD
	s_mov_b32 s28, 0
	s_and_saveexec_b32 s29, s13
	s_xor_b32 s13, exec_lo, s29
	s_cbranch_execz .LBB6_4515
; %bb.3814:                             ;   in Loop: Header=BB6_3357 Depth=2
	v_cmp_eq_u16_sdwa s40, v6, v114 src0_sel:BYTE_0 src1_sel:DWORD
	s_mov_b32 s28, -1
	s_and_saveexec_b32 s29, s40
; %bb.3815:                             ;   in Loop: Header=BB6_3357 Depth=2
	s_xor_b32 s28, exec_lo, -1
; %bb.3816:                             ;   in Loop: Header=BB6_3357 Depth=2
	s_or_b32 exec_lo, exec_lo, s29
	s_and_b32 s28, s28, exec_lo
	s_or_saveexec_b32 s13, s13
	v_mov_b32_e32 v62, 0x7f800001
	s_xor_b32 exec_lo, exec_lo, s13
	s_cbranch_execnz .LBB6_4516
.LBB6_3817:                             ;   in Loop: Header=BB6_3357 Depth=2
	s_or_b32 exec_lo, exec_lo, s13
	s_and_saveexec_b32 s13, s28
	s_cbranch_execz .LBB6_3819
.LBB6_3818:                             ;   in Loop: Header=BB6_3357 Depth=2
	v_and_b32_e32 v62, 7, v6
	v_lshrrev_b16 v72, 3, v6
	v_ffbh_u32_e32 v63, v62
	v_and_b32_e32 v72, 15, v72
	v_min_u32_e32 v63, 32, v63
	v_cmp_eq_u32_e32 vcc_lo, 0, v72
	v_subrev_nc_u32_e32 v73, 28, v63
	v_sub_nc_u32_e32 v63, 29, v63
	v_lshlrev_b32_e32 v73, v73, v6
	v_lshlrev_b32_e32 v6, 24, v6
	v_cndmask_b32_e32 v63, v72, v63, vcc_lo
	v_and_b32_e32 v73, 7, v73
	v_and_b32_e32 v6, 0x80000000, v6
	v_lshl_add_u32 v63, v63, 23, 0x3b800000
	v_cndmask_b32_e32 v62, v62, v73, vcc_lo
	v_lshlrev_b32_e32 v62, 20, v62
	v_or3_b32 v62, v6, v63, v62
.LBB6_3819:                             ;   in Loop: Header=BB6_3357 Depth=2
	s_or_b32 exec_lo, exec_lo, s13
	s_waitcnt vmcnt(31) lgkmcnt(31)
	v_cmp_gt_i16_sdwa s13, v61, v113 src0_sel:BYTE_0 src1_sel:DWORD
	s_mov_b32 s28, 0
	s_and_saveexec_b32 s29, s13
	s_xor_b32 s13, exec_lo, s29
	s_cbranch_execz .LBB6_4517
; %bb.3820:                             ;   in Loop: Header=BB6_3357 Depth=2
	v_cmp_eq_u16_sdwa s40, v61, v114 src0_sel:BYTE_0 src1_sel:DWORD
	s_mov_b32 s28, -1
	s_and_saveexec_b32 s29, s40
; %bb.3821:                             ;   in Loop: Header=BB6_3357 Depth=2
	s_xor_b32 s28, exec_lo, -1
; %bb.3822:                             ;   in Loop: Header=BB6_3357 Depth=2
	s_or_b32 exec_lo, exec_lo, s29
	s_and_b32 s28, s28, exec_lo
	s_or_saveexec_b32 s13, s13
	v_mov_b32_e32 v6, 0x7f800001
	s_xor_b32 exec_lo, exec_lo, s13
	s_cbranch_execnz .LBB6_4518
.LBB6_3823:                             ;   in Loop: Header=BB6_3357 Depth=2
	s_or_b32 exec_lo, exec_lo, s13
	s_and_saveexec_b32 s13, s28
	s_cbranch_execz .LBB6_3825
.LBB6_3824:                             ;   in Loop: Header=BB6_3357 Depth=2
	v_and_b32_e32 v6, 7, v61
	v_lshrrev_b16 v72, 3, v61
	v_ffbh_u32_e32 v63, v6
	v_and_b32_e32 v72, 15, v72
	v_min_u32_e32 v63, 32, v63
	v_cmp_eq_u32_e32 vcc_lo, 0, v72
	v_subrev_nc_u32_e32 v73, 28, v63
	v_sub_nc_u32_e32 v63, 29, v63
	v_lshlrev_b32_e32 v73, v73, v61
	v_lshlrev_b32_e32 v61, 24, v61
	v_cndmask_b32_e32 v63, v72, v63, vcc_lo
	v_and_b32_e32 v73, 7, v73
	v_and_b32_e32 v61, 0x80000000, v61
	v_lshl_add_u32 v63, v63, 23, 0x3b800000
	v_cndmask_b32_e32 v6, v6, v73, vcc_lo
	v_lshlrev_b32_e32 v6, 20, v6
	v_or3_b32 v6, v61, v63, v6
.LBB6_3825:                             ;   in Loop: Header=BB6_3357 Depth=2
	s_or_b32 exec_lo, exec_lo, s13
	v_add_f32_e32 v61, v62, v6
	v_and_b32_e32 v6, 0x7f800000, v61
	v_cmp_ne_u32_e32 vcc_lo, 0x7f800000, v6
	v_mov_b32_e32 v6, 0x80
	s_and_saveexec_b32 s28, vcc_lo
	s_cbranch_execz .LBB6_3833
; %bb.3826:                             ;   in Loop: Header=BB6_3357 Depth=2
	v_mov_b32_e32 v6, 0
	s_mov_b32 s29, exec_lo
	v_cmpx_ne_u32_e32 0, v61
	s_cbranch_execz .LBB6_3832
; %bb.3827:                             ;   in Loop: Header=BB6_3357 Depth=2
	v_bfe_u32 v62, v61, 23, 8
	v_and_b32_e32 v6, 0x7fffff, v61
	v_cmp_gt_u32_e64 s13, 0x79, v62
	v_sub_nc_u32_e32 v63, 0x78, v62
	v_cmp_eq_u32_e32 vcc_lo, 0, v62
	v_or_b32_e32 v72, 0x800000, v6
	v_cndmask_b32_e64 v63, 0, v63, s13
	v_cndmask_b32_e32 v6, v72, v6, vcc_lo
	v_cndmask_b32_e64 v63, v63, 0x77, vcc_lo
	v_lshl_add_u32 v72, 0x100000, v63, -1
	v_lshlrev_b32_e64 v73, v63, 0x80000
	v_and_b32_e32 v72, v72, v6
	v_cmp_eq_u32_e64 s13, v72, v73
	v_lshrrev_b32_e32 v72, v63, v6
	v_add_nc_u32_e32 v6, 0xffffff89, v62
	v_lshrrev_b32_e32 v62, 23, v72
	v_cndmask_b32_e64 v6, v6, 0xffffff8a, vcc_lo
	v_xor_b32_e32 v62, 1, v62
	v_add_nc_u32_e32 v6, v63, v6
	v_bfe_u32 v63, v72, 20, 1
	v_add_nc_u32_e32 v63, -1, v63
	v_cndmask_b32_e64 v63, 0, v63, s13
	s_mov_b32 s13, exec_lo
	v_add_nc_u32_e32 v63, v63, v72
	v_and_b32_e32 v63, 0xfffff, v63
	v_add_nc_u32_e32 v63, v63, v72
                                        ; implicit-def: $vgpr72
	v_cmpx_ne_u32_e64 v6, v62
	s_xor_b32 s13, exec_lo, s13
; %bb.3828:                             ;   in Loop: Header=BB6_3357 Depth=2
	v_cmp_lt_u32_e32 vcc_lo, 0xffffff, v63
	v_sub_nc_u32_e32 v6, v6, v62
	v_cndmask_b32_e64 v62, 0, 1, vcc_lo
	v_add_co_ci_u32_e64 v72, null, 0, v6, vcc_lo
	v_lshrrev_b32_e32 v63, v62, v63
; %bb.3829:                             ;   in Loop: Header=BB6_3357 Depth=2
	s_andn2_saveexec_b32 s13, s13
; %bb.3830:                             ;   in Loop: Header=BB6_3357 Depth=2
	v_bfe_u32 v72, v63, 23, 1
; %bb.3831:                             ;   in Loop: Header=BB6_3357 Depth=2
	s_or_b32 exec_lo, exec_lo, s13
	v_and_b32_sdwa v6, v61, v114 dst_sel:DWORD dst_unused:UNUSED_PAD src0_sel:BYTE_3 src1_sel:DWORD
	v_lshrrev_b32_e32 v61, 20, v63
	v_cmp_gt_i32_e32 vcc_lo, 16, v72
	v_min_i32_e32 v62, 15, v72
	v_cndmask_b32_e32 v61, 7, v61, vcc_lo
	v_lshlrev_b32_e32 v62, 3, v62
	v_or_b32_e32 v63, v72, v61
	v_and_b32_e32 v61, 7, v61
	v_cmp_ne_u32_e32 vcc_lo, 0, v63
	v_or3_b32 v6, v62, v6, v61
	v_cndmask_b32_e32 v6, 0, v6, vcc_lo
.LBB6_3832:                             ;   in Loop: Header=BB6_3357 Depth=2
	s_or_b32 exec_lo, exec_lo, s29
.LBB6_3833:                             ;   in Loop: Header=BB6_3357 Depth=2
	s_or_b32 exec_lo, exec_lo, s28
	v_cmp_gt_i16_sdwa s13, v21, v113 src0_sel:BYTE_0 src1_sel:DWORD
	s_mov_b32 s28, 0
	s_and_saveexec_b32 s29, s13
	s_xor_b32 s13, exec_lo, s29
	s_cbranch_execz .LBB6_4519
; %bb.3834:                             ;   in Loop: Header=BB6_3357 Depth=2
	v_cmp_eq_u16_sdwa s40, v21, v114 src0_sel:BYTE_0 src1_sel:DWORD
	s_mov_b32 s28, -1
	s_and_saveexec_b32 s29, s40
; %bb.3835:                             ;   in Loop: Header=BB6_3357 Depth=2
	s_xor_b32 s28, exec_lo, -1
; %bb.3836:                             ;   in Loop: Header=BB6_3357 Depth=2
	s_or_b32 exec_lo, exec_lo, s29
	s_and_b32 s28, s28, exec_lo
	s_or_saveexec_b32 s13, s13
	v_mov_b32_e32 v61, 0x7f800001
	s_xor_b32 exec_lo, exec_lo, s13
	s_cbranch_execnz .LBB6_4520
.LBB6_3837:                             ;   in Loop: Header=BB6_3357 Depth=2
	s_or_b32 exec_lo, exec_lo, s13
	s_and_saveexec_b32 s13, s28
	s_cbranch_execz .LBB6_3839
.LBB6_3838:                             ;   in Loop: Header=BB6_3357 Depth=2
	v_and_b32_e32 v61, 7, v21
	v_lshrrev_b16 v63, 3, v21
	v_ffbh_u32_e32 v62, v61
	v_and_b32_e32 v63, 15, v63
	v_min_u32_e32 v62, 32, v62
	v_cmp_eq_u32_e32 vcc_lo, 0, v63
	v_subrev_nc_u32_e32 v72, 28, v62
	v_sub_nc_u32_e32 v62, 29, v62
	v_lshlrev_b32_e32 v72, v72, v21
	v_lshlrev_b32_e32 v21, 24, v21
	v_cndmask_b32_e32 v62, v63, v62, vcc_lo
	v_and_b32_e32 v72, 7, v72
	v_and_b32_e32 v21, 0x80000000, v21
	v_lshl_add_u32 v62, v62, 23, 0x3b800000
	v_cndmask_b32_e32 v61, v61, v72, vcc_lo
	v_lshlrev_b32_e32 v61, 20, v61
	v_or3_b32 v61, v21, v62, v61
.LBB6_3839:                             ;   in Loop: Header=BB6_3357 Depth=2
	s_or_b32 exec_lo, exec_lo, s13
	s_waitcnt vmcnt(30) lgkmcnt(30)
	v_cmp_gt_i16_sdwa s28, v60, v113 src0_sel:BYTE_0 src1_sel:DWORD
	s_mov_b32 s13, 0
	s_and_saveexec_b32 s29, s28
	s_xor_b32 s28, exec_lo, s29
	s_cbranch_execz .LBB6_4521
; %bb.3840:                             ;   in Loop: Header=BB6_3357 Depth=2
	v_cmp_eq_u16_sdwa s40, v60, v114 src0_sel:BYTE_0 src1_sel:DWORD
	s_mov_b32 s13, -1
	s_and_saveexec_b32 s29, s40
; %bb.3841:                             ;   in Loop: Header=BB6_3357 Depth=2
	s_xor_b32 s13, exec_lo, -1
; %bb.3842:                             ;   in Loop: Header=BB6_3357 Depth=2
	s_or_b32 exec_lo, exec_lo, s29
	s_and_b32 s13, s13, exec_lo
	s_or_saveexec_b32 s28, s28
	v_mov_b32_e32 v21, 0x7f800001
	s_xor_b32 exec_lo, exec_lo, s28
	s_cbranch_execnz .LBB6_4522
.LBB6_3843:                             ;   in Loop: Header=BB6_3357 Depth=2
	s_or_b32 exec_lo, exec_lo, s28
	s_and_saveexec_b32 s28, s13
	s_cbranch_execz .LBB6_3845
.LBB6_3844:                             ;   in Loop: Header=BB6_3357 Depth=2
	v_and_b32_e32 v21, 7, v60
	v_lshrrev_b16 v63, 3, v60
	v_ffbh_u32_e32 v62, v21
	v_and_b32_e32 v63, 15, v63
	v_min_u32_e32 v62, 32, v62
	v_cmp_eq_u32_e32 vcc_lo, 0, v63
	v_subrev_nc_u32_e32 v72, 28, v62
	v_sub_nc_u32_e32 v62, 29, v62
	v_lshlrev_b32_e32 v72, v72, v60
	v_lshlrev_b32_e32 v60, 24, v60
	v_cndmask_b32_e32 v62, v63, v62, vcc_lo
	v_and_b32_e32 v72, 7, v72
	v_and_b32_e32 v60, 0x80000000, v60
	v_lshl_add_u32 v62, v62, 23, 0x3b800000
	v_cndmask_b32_e32 v21, v21, v72, vcc_lo
	v_lshlrev_b32_e32 v21, 20, v21
	v_or3_b32 v21, v60, v62, v21
.LBB6_3845:                             ;   in Loop: Header=BB6_3357 Depth=2
	s_or_b32 exec_lo, exec_lo, s28
	v_add_f32_e32 v60, v61, v21
	v_and_b32_e32 v21, 0x7f800000, v60
	v_cmp_ne_u32_e32 vcc_lo, 0x7f800000, v21
	v_mov_b32_e32 v21, 0x80
	s_and_saveexec_b32 s28, vcc_lo
	s_cbranch_execz .LBB6_3853
; %bb.3846:                             ;   in Loop: Header=BB6_3357 Depth=2
	v_mov_b32_e32 v21, 0
	s_mov_b32 s29, exec_lo
	v_cmpx_ne_u32_e32 0, v60
	s_cbranch_execz .LBB6_3852
; %bb.3847:                             ;   in Loop: Header=BB6_3357 Depth=2
	v_bfe_u32 v61, v60, 23, 8
	v_and_b32_e32 v21, 0x7fffff, v60
	v_cmp_gt_u32_e64 s13, 0x79, v61
	v_sub_nc_u32_e32 v62, 0x78, v61
	v_cmp_eq_u32_e32 vcc_lo, 0, v61
	v_or_b32_e32 v63, 0x800000, v21
	v_cndmask_b32_e64 v62, 0, v62, s13
	v_cndmask_b32_e32 v21, v63, v21, vcc_lo
	v_cndmask_b32_e64 v62, v62, 0x77, vcc_lo
	v_lshl_add_u32 v63, 0x100000, v62, -1
	v_lshlrev_b32_e64 v72, v62, 0x80000
	v_and_b32_e32 v63, v63, v21
	v_cmp_eq_u32_e64 s13, v63, v72
	v_lshrrev_b32_e32 v63, v62, v21
	v_add_nc_u32_e32 v21, 0xffffff89, v61
	v_lshrrev_b32_e32 v61, 23, v63
	v_cndmask_b32_e64 v21, v21, 0xffffff8a, vcc_lo
	v_xor_b32_e32 v61, 1, v61
	v_add_nc_u32_e32 v21, v62, v21
	v_bfe_u32 v62, v63, 20, 1
	v_add_nc_u32_e32 v62, -1, v62
	v_cndmask_b32_e64 v62, 0, v62, s13
	s_mov_b32 s13, exec_lo
	v_add_nc_u32_e32 v62, v62, v63
	v_and_b32_e32 v62, 0xfffff, v62
	v_add_nc_u32_e32 v62, v62, v63
                                        ; implicit-def: $vgpr63
	v_cmpx_ne_u32_e64 v21, v61
	s_xor_b32 s13, exec_lo, s13
; %bb.3848:                             ;   in Loop: Header=BB6_3357 Depth=2
	v_cmp_lt_u32_e32 vcc_lo, 0xffffff, v62
	v_sub_nc_u32_e32 v21, v21, v61
	v_cndmask_b32_e64 v61, 0, 1, vcc_lo
	v_add_co_ci_u32_e64 v63, null, 0, v21, vcc_lo
	v_lshrrev_b32_e32 v62, v61, v62
; %bb.3849:                             ;   in Loop: Header=BB6_3357 Depth=2
	s_andn2_saveexec_b32 s13, s13
; %bb.3850:                             ;   in Loop: Header=BB6_3357 Depth=2
	v_bfe_u32 v63, v62, 23, 1
; %bb.3851:                             ;   in Loop: Header=BB6_3357 Depth=2
	s_or_b32 exec_lo, exec_lo, s13
	v_and_b32_sdwa v21, v60, v114 dst_sel:DWORD dst_unused:UNUSED_PAD src0_sel:BYTE_3 src1_sel:DWORD
	v_lshrrev_b32_e32 v60, 20, v62
	v_cmp_gt_i32_e32 vcc_lo, 16, v63
	v_min_i32_e32 v61, 15, v63
	v_cndmask_b32_e32 v60, 7, v60, vcc_lo
	v_lshlrev_b32_e32 v61, 3, v61
	v_or_b32_e32 v62, v63, v60
	v_and_b32_e32 v60, 7, v60
	v_cmp_ne_u32_e32 vcc_lo, 0, v62
	v_or3_b32 v21, v61, v21, v60
	v_cndmask_b32_e32 v21, 0, v21, vcc_lo
.LBB6_3852:                             ;   in Loop: Header=BB6_3357 Depth=2
	s_or_b32 exec_lo, exec_lo, s29
.LBB6_3853:                             ;   in Loop: Header=BB6_3357 Depth=2
	s_or_b32 exec_lo, exec_lo, s28
	v_cmp_gt_i16_sdwa s13, v28, v113 src0_sel:BYTE_0 src1_sel:DWORD
	s_mov_b32 s28, 0
	s_and_saveexec_b32 s29, s13
	s_xor_b32 s13, exec_lo, s29
	s_cbranch_execz .LBB6_4523
; %bb.3854:                             ;   in Loop: Header=BB6_3357 Depth=2
	v_cmp_eq_u16_sdwa s40, v28, v114 src0_sel:BYTE_0 src1_sel:DWORD
	s_mov_b32 s28, -1
	s_and_saveexec_b32 s29, s40
; %bb.3855:                             ;   in Loop: Header=BB6_3357 Depth=2
	s_xor_b32 s28, exec_lo, -1
; %bb.3856:                             ;   in Loop: Header=BB6_3357 Depth=2
	s_or_b32 exec_lo, exec_lo, s29
	s_and_b32 s28, s28, exec_lo
	s_or_saveexec_b32 s13, s13
	v_mov_b32_e32 v60, 0x7f800001
	s_xor_b32 exec_lo, exec_lo, s13
	s_cbranch_execnz .LBB6_4524
.LBB6_3857:                             ;   in Loop: Header=BB6_3357 Depth=2
	s_or_b32 exec_lo, exec_lo, s13
	s_and_saveexec_b32 s13, s28
	s_cbranch_execz .LBB6_3859
.LBB6_3858:                             ;   in Loop: Header=BB6_3357 Depth=2
	v_and_b32_e32 v60, 7, v28
	v_lshrrev_b16 v62, 3, v28
	v_ffbh_u32_e32 v61, v60
	v_and_b32_e32 v62, 15, v62
	v_min_u32_e32 v61, 32, v61
	v_cmp_eq_u32_e32 vcc_lo, 0, v62
	v_subrev_nc_u32_e32 v63, 28, v61
	v_sub_nc_u32_e32 v61, 29, v61
	v_lshlrev_b32_e32 v63, v63, v28
	v_lshlrev_b32_e32 v28, 24, v28
	v_cndmask_b32_e32 v61, v62, v61, vcc_lo
	v_and_b32_e32 v63, 7, v63
	v_and_b32_e32 v28, 0x80000000, v28
	v_lshl_add_u32 v61, v61, 23, 0x3b800000
	v_cndmask_b32_e32 v60, v60, v63, vcc_lo
	v_lshlrev_b32_e32 v60, 20, v60
	v_or3_b32 v60, v28, v61, v60
.LBB6_3859:                             ;   in Loop: Header=BB6_3357 Depth=2
	s_or_b32 exec_lo, exec_lo, s13
	s_waitcnt vmcnt(29) lgkmcnt(29)
	v_cmp_gt_i16_sdwa s28, v59, v113 src0_sel:BYTE_0 src1_sel:DWORD
	s_mov_b32 s13, 0
	s_and_saveexec_b32 s29, s28
	s_xor_b32 s28, exec_lo, s29
	s_cbranch_execz .LBB6_4525
; %bb.3860:                             ;   in Loop: Header=BB6_3357 Depth=2
	v_cmp_eq_u16_sdwa s40, v59, v114 src0_sel:BYTE_0 src1_sel:DWORD
	s_mov_b32 s13, -1
	s_and_saveexec_b32 s29, s40
; %bb.3861:                             ;   in Loop: Header=BB6_3357 Depth=2
	s_xor_b32 s13, exec_lo, -1
; %bb.3862:                             ;   in Loop: Header=BB6_3357 Depth=2
	s_or_b32 exec_lo, exec_lo, s29
	s_and_b32 s13, s13, exec_lo
	s_or_saveexec_b32 s28, s28
	v_mov_b32_e32 v28, 0x7f800001
	s_xor_b32 exec_lo, exec_lo, s28
	s_cbranch_execnz .LBB6_4526
.LBB6_3863:                             ;   in Loop: Header=BB6_3357 Depth=2
	s_or_b32 exec_lo, exec_lo, s28
	s_and_saveexec_b32 s28, s13
	s_cbranch_execz .LBB6_3865
.LBB6_3864:                             ;   in Loop: Header=BB6_3357 Depth=2
	v_and_b32_e32 v28, 7, v59
	v_lshrrev_b16 v62, 3, v59
	v_ffbh_u32_e32 v61, v28
	v_and_b32_e32 v62, 15, v62
	v_min_u32_e32 v61, 32, v61
	v_cmp_eq_u32_e32 vcc_lo, 0, v62
	v_subrev_nc_u32_e32 v63, 28, v61
	v_sub_nc_u32_e32 v61, 29, v61
	v_lshlrev_b32_e32 v63, v63, v59
	v_lshlrev_b32_e32 v59, 24, v59
	v_cndmask_b32_e32 v61, v62, v61, vcc_lo
	v_and_b32_e32 v63, 7, v63
	v_and_b32_e32 v59, 0x80000000, v59
	v_lshl_add_u32 v61, v61, 23, 0x3b800000
	v_cndmask_b32_e32 v28, v28, v63, vcc_lo
	v_lshlrev_b32_e32 v28, 20, v28
	v_or3_b32 v28, v59, v61, v28
.LBB6_3865:                             ;   in Loop: Header=BB6_3357 Depth=2
	s_or_b32 exec_lo, exec_lo, s28
	v_add_f32_e32 v59, v60, v28
	v_and_b32_e32 v28, 0x7f800000, v59
	v_cmp_ne_u32_e32 vcc_lo, 0x7f800000, v28
	v_mov_b32_e32 v28, 0x80
	s_and_saveexec_b32 s28, vcc_lo
	s_cbranch_execz .LBB6_3873
; %bb.3866:                             ;   in Loop: Header=BB6_3357 Depth=2
	v_mov_b32_e32 v28, 0
	s_mov_b32 s29, exec_lo
	v_cmpx_ne_u32_e32 0, v59
	s_cbranch_execz .LBB6_3872
; %bb.3867:                             ;   in Loop: Header=BB6_3357 Depth=2
	v_bfe_u32 v60, v59, 23, 8
	v_and_b32_e32 v28, 0x7fffff, v59
	v_cmp_gt_u32_e64 s13, 0x79, v60
	v_sub_nc_u32_e32 v61, 0x78, v60
	v_cmp_eq_u32_e32 vcc_lo, 0, v60
	v_or_b32_e32 v62, 0x800000, v28
	v_cndmask_b32_e64 v61, 0, v61, s13
	v_cndmask_b32_e32 v28, v62, v28, vcc_lo
	v_cndmask_b32_e64 v61, v61, 0x77, vcc_lo
	v_lshl_add_u32 v62, 0x100000, v61, -1
	v_lshlrev_b32_e64 v63, v61, 0x80000
	v_and_b32_e32 v62, v62, v28
	v_cmp_eq_u32_e64 s13, v62, v63
	v_lshrrev_b32_e32 v62, v61, v28
	v_add_nc_u32_e32 v28, 0xffffff89, v60
	v_lshrrev_b32_e32 v60, 23, v62
	v_cndmask_b32_e64 v28, v28, 0xffffff8a, vcc_lo
	v_xor_b32_e32 v60, 1, v60
	v_add_nc_u32_e32 v28, v61, v28
	v_bfe_u32 v61, v62, 20, 1
	v_add_nc_u32_e32 v61, -1, v61
	v_cndmask_b32_e64 v61, 0, v61, s13
	s_mov_b32 s13, exec_lo
	v_add_nc_u32_e32 v61, v61, v62
	v_and_b32_e32 v61, 0xfffff, v61
	v_add_nc_u32_e32 v61, v61, v62
                                        ; implicit-def: $vgpr62
	v_cmpx_ne_u32_e64 v28, v60
	s_xor_b32 s13, exec_lo, s13
; %bb.3868:                             ;   in Loop: Header=BB6_3357 Depth=2
	v_cmp_lt_u32_e32 vcc_lo, 0xffffff, v61
	v_sub_nc_u32_e32 v28, v28, v60
	v_cndmask_b32_e64 v60, 0, 1, vcc_lo
	v_add_co_ci_u32_e64 v62, null, 0, v28, vcc_lo
	v_lshrrev_b32_e32 v61, v60, v61
; %bb.3869:                             ;   in Loop: Header=BB6_3357 Depth=2
	s_andn2_saveexec_b32 s13, s13
; %bb.3870:                             ;   in Loop: Header=BB6_3357 Depth=2
	v_bfe_u32 v62, v61, 23, 1
; %bb.3871:                             ;   in Loop: Header=BB6_3357 Depth=2
	s_or_b32 exec_lo, exec_lo, s13
	v_and_b32_sdwa v28, v59, v114 dst_sel:DWORD dst_unused:UNUSED_PAD src0_sel:BYTE_3 src1_sel:DWORD
	v_lshrrev_b32_e32 v59, 20, v61
	v_cmp_gt_i32_e32 vcc_lo, 16, v62
	v_min_i32_e32 v60, 15, v62
	v_cndmask_b32_e32 v59, 7, v59, vcc_lo
	v_lshlrev_b32_e32 v60, 3, v60
	v_or_b32_e32 v61, v62, v59
	v_and_b32_e32 v59, 7, v59
	v_cmp_ne_u32_e32 vcc_lo, 0, v61
	v_or3_b32 v28, v60, v28, v59
	v_cndmask_b32_e32 v28, 0, v28, vcc_lo
.LBB6_3872:                             ;   in Loop: Header=BB6_3357 Depth=2
	s_or_b32 exec_lo, exec_lo, s29
.LBB6_3873:                             ;   in Loop: Header=BB6_3357 Depth=2
	s_or_b32 exec_lo, exec_lo, s28
	v_cmp_gt_i16_sdwa s13, v34, v113 src0_sel:BYTE_0 src1_sel:DWORD
	s_mov_b32 s28, 0
	s_and_saveexec_b32 s29, s13
	s_xor_b32 s13, exec_lo, s29
	s_cbranch_execz .LBB6_4527
; %bb.3874:                             ;   in Loop: Header=BB6_3357 Depth=2
	v_cmp_eq_u16_sdwa s40, v34, v114 src0_sel:BYTE_0 src1_sel:DWORD
	s_mov_b32 s28, -1
	s_and_saveexec_b32 s29, s40
; %bb.3875:                             ;   in Loop: Header=BB6_3357 Depth=2
	s_xor_b32 s28, exec_lo, -1
; %bb.3876:                             ;   in Loop: Header=BB6_3357 Depth=2
	s_or_b32 exec_lo, exec_lo, s29
	s_and_b32 s28, s28, exec_lo
	s_or_saveexec_b32 s13, s13
	v_mov_b32_e32 v59, 0x7f800001
	s_xor_b32 exec_lo, exec_lo, s13
	s_cbranch_execnz .LBB6_4528
.LBB6_3877:                             ;   in Loop: Header=BB6_3357 Depth=2
	s_or_b32 exec_lo, exec_lo, s13
	s_and_saveexec_b32 s13, s28
	s_cbranch_execz .LBB6_3879
.LBB6_3878:                             ;   in Loop: Header=BB6_3357 Depth=2
	v_and_b32_e32 v59, 7, v34
	v_lshrrev_b16 v61, 3, v34
	v_ffbh_u32_e32 v60, v59
	v_and_b32_e32 v61, 15, v61
	v_min_u32_e32 v60, 32, v60
	v_cmp_eq_u32_e32 vcc_lo, 0, v61
	v_subrev_nc_u32_e32 v62, 28, v60
	v_sub_nc_u32_e32 v60, 29, v60
	v_lshlrev_b32_e32 v62, v62, v34
	v_lshlrev_b32_e32 v34, 24, v34
	v_cndmask_b32_e32 v60, v61, v60, vcc_lo
	v_and_b32_e32 v62, 7, v62
	v_and_b32_e32 v34, 0x80000000, v34
	v_lshl_add_u32 v60, v60, 23, 0x3b800000
	v_cndmask_b32_e32 v59, v59, v62, vcc_lo
	v_lshlrev_b32_e32 v59, 20, v59
	v_or3_b32 v59, v34, v60, v59
.LBB6_3879:                             ;   in Loop: Header=BB6_3357 Depth=2
	s_or_b32 exec_lo, exec_lo, s13
	s_waitcnt vmcnt(28) lgkmcnt(28)
	v_cmp_gt_i16_sdwa s28, v58, v113 src0_sel:BYTE_0 src1_sel:DWORD
	s_mov_b32 s13, 0
	s_and_saveexec_b32 s29, s28
	s_xor_b32 s28, exec_lo, s29
	s_cbranch_execz .LBB6_4529
; %bb.3880:                             ;   in Loop: Header=BB6_3357 Depth=2
	v_cmp_eq_u16_sdwa s40, v58, v114 src0_sel:BYTE_0 src1_sel:DWORD
	s_mov_b32 s13, -1
	s_and_saveexec_b32 s29, s40
; %bb.3881:                             ;   in Loop: Header=BB6_3357 Depth=2
	s_xor_b32 s13, exec_lo, -1
; %bb.3882:                             ;   in Loop: Header=BB6_3357 Depth=2
	s_or_b32 exec_lo, exec_lo, s29
	s_and_b32 s13, s13, exec_lo
	s_or_saveexec_b32 s28, s28
	v_mov_b32_e32 v34, 0x7f800001
	s_xor_b32 exec_lo, exec_lo, s28
	s_cbranch_execnz .LBB6_4530
.LBB6_3883:                             ;   in Loop: Header=BB6_3357 Depth=2
	s_or_b32 exec_lo, exec_lo, s28
	s_and_saveexec_b32 s28, s13
	s_cbranch_execz .LBB6_3885
.LBB6_3884:                             ;   in Loop: Header=BB6_3357 Depth=2
	v_and_b32_e32 v34, 7, v58
	v_lshrrev_b16 v61, 3, v58
	v_ffbh_u32_e32 v60, v34
	v_and_b32_e32 v61, 15, v61
	v_min_u32_e32 v60, 32, v60
	v_cmp_eq_u32_e32 vcc_lo, 0, v61
	v_subrev_nc_u32_e32 v62, 28, v60
	v_sub_nc_u32_e32 v60, 29, v60
	v_lshlrev_b32_e32 v62, v62, v58
	v_lshlrev_b32_e32 v58, 24, v58
	v_cndmask_b32_e32 v60, v61, v60, vcc_lo
	v_and_b32_e32 v62, 7, v62
	v_and_b32_e32 v58, 0x80000000, v58
	v_lshl_add_u32 v60, v60, 23, 0x3b800000
	v_cndmask_b32_e32 v34, v34, v62, vcc_lo
	v_lshlrev_b32_e32 v34, 20, v34
	v_or3_b32 v34, v58, v60, v34
.LBB6_3885:                             ;   in Loop: Header=BB6_3357 Depth=2
	s_or_b32 exec_lo, exec_lo, s28
	v_add_f32_e32 v58, v59, v34
	v_and_b32_e32 v34, 0x7f800000, v58
	v_cmp_ne_u32_e32 vcc_lo, 0x7f800000, v34
	v_mov_b32_e32 v34, 0x80
	s_and_saveexec_b32 s28, vcc_lo
	s_cbranch_execz .LBB6_3893
; %bb.3886:                             ;   in Loop: Header=BB6_3357 Depth=2
	v_mov_b32_e32 v34, 0
	s_mov_b32 s29, exec_lo
	v_cmpx_ne_u32_e32 0, v58
	s_cbranch_execz .LBB6_3892
; %bb.3887:                             ;   in Loop: Header=BB6_3357 Depth=2
	v_bfe_u32 v59, v58, 23, 8
	v_and_b32_e32 v34, 0x7fffff, v58
	v_cmp_gt_u32_e64 s13, 0x79, v59
	v_sub_nc_u32_e32 v60, 0x78, v59
	v_cmp_eq_u32_e32 vcc_lo, 0, v59
	v_or_b32_e32 v61, 0x800000, v34
	v_cndmask_b32_e64 v60, 0, v60, s13
	v_cndmask_b32_e32 v34, v61, v34, vcc_lo
	v_cndmask_b32_e64 v60, v60, 0x77, vcc_lo
	v_lshl_add_u32 v61, 0x100000, v60, -1
	v_lshlrev_b32_e64 v62, v60, 0x80000
	v_and_b32_e32 v61, v61, v34
	v_cmp_eq_u32_e64 s13, v61, v62
	v_lshrrev_b32_e32 v61, v60, v34
	v_add_nc_u32_e32 v34, 0xffffff89, v59
	v_lshrrev_b32_e32 v59, 23, v61
	v_cndmask_b32_e64 v34, v34, 0xffffff8a, vcc_lo
	v_xor_b32_e32 v59, 1, v59
	v_add_nc_u32_e32 v34, v60, v34
	v_bfe_u32 v60, v61, 20, 1
	v_add_nc_u32_e32 v60, -1, v60
	v_cndmask_b32_e64 v60, 0, v60, s13
	s_mov_b32 s13, exec_lo
	v_add_nc_u32_e32 v60, v60, v61
	v_and_b32_e32 v60, 0xfffff, v60
	v_add_nc_u32_e32 v60, v60, v61
                                        ; implicit-def: $vgpr61
	v_cmpx_ne_u32_e64 v34, v59
	s_xor_b32 s13, exec_lo, s13
; %bb.3888:                             ;   in Loop: Header=BB6_3357 Depth=2
	v_cmp_lt_u32_e32 vcc_lo, 0xffffff, v60
	v_sub_nc_u32_e32 v34, v34, v59
	v_cndmask_b32_e64 v59, 0, 1, vcc_lo
	v_add_co_ci_u32_e64 v61, null, 0, v34, vcc_lo
	v_lshrrev_b32_e32 v60, v59, v60
; %bb.3889:                             ;   in Loop: Header=BB6_3357 Depth=2
	s_andn2_saveexec_b32 s13, s13
; %bb.3890:                             ;   in Loop: Header=BB6_3357 Depth=2
	v_bfe_u32 v61, v60, 23, 1
; %bb.3891:                             ;   in Loop: Header=BB6_3357 Depth=2
	s_or_b32 exec_lo, exec_lo, s13
	v_and_b32_sdwa v34, v58, v114 dst_sel:DWORD dst_unused:UNUSED_PAD src0_sel:BYTE_3 src1_sel:DWORD
	v_lshrrev_b32_e32 v58, 20, v60
	v_cmp_gt_i32_e32 vcc_lo, 16, v61
	v_min_i32_e32 v59, 15, v61
	v_cndmask_b32_e32 v58, 7, v58, vcc_lo
	v_lshlrev_b32_e32 v59, 3, v59
	v_or_b32_e32 v60, v61, v58
	v_and_b32_e32 v58, 7, v58
	v_cmp_ne_u32_e32 vcc_lo, 0, v60
	v_or3_b32 v34, v59, v34, v58
	v_cndmask_b32_e32 v34, 0, v34, vcc_lo
.LBB6_3892:                             ;   in Loop: Header=BB6_3357 Depth=2
	s_or_b32 exec_lo, exec_lo, s29
.LBB6_3893:                             ;   in Loop: Header=BB6_3357 Depth=2
	s_or_b32 exec_lo, exec_lo, s28
	v_cmp_gt_i16_sdwa s13, v51, v113 src0_sel:BYTE_0 src1_sel:DWORD
	s_mov_b32 s28, 0
	s_and_saveexec_b32 s29, s13
	s_xor_b32 s13, exec_lo, s29
	s_cbranch_execz .LBB6_4531
; %bb.3894:                             ;   in Loop: Header=BB6_3357 Depth=2
	v_cmp_eq_u16_sdwa s40, v51, v114 src0_sel:BYTE_0 src1_sel:DWORD
	s_mov_b32 s28, -1
	s_and_saveexec_b32 s29, s40
; %bb.3895:                             ;   in Loop: Header=BB6_3357 Depth=2
	s_xor_b32 s28, exec_lo, -1
; %bb.3896:                             ;   in Loop: Header=BB6_3357 Depth=2
	s_or_b32 exec_lo, exec_lo, s29
	s_and_b32 s28, s28, exec_lo
	s_or_saveexec_b32 s13, s13
	v_mov_b32_e32 v58, 0x7f800001
	s_xor_b32 exec_lo, exec_lo, s13
	s_cbranch_execnz .LBB6_4532
.LBB6_3897:                             ;   in Loop: Header=BB6_3357 Depth=2
	s_or_b32 exec_lo, exec_lo, s13
	s_and_saveexec_b32 s13, s28
	s_cbranch_execz .LBB6_3899
.LBB6_3898:                             ;   in Loop: Header=BB6_3357 Depth=2
	v_and_b32_e32 v58, 7, v51
	v_lshrrev_b16 v60, 3, v51
	v_ffbh_u32_e32 v59, v58
	v_and_b32_e32 v60, 15, v60
	v_min_u32_e32 v59, 32, v59
	v_cmp_eq_u32_e32 vcc_lo, 0, v60
	v_subrev_nc_u32_e32 v61, 28, v59
	v_sub_nc_u32_e32 v59, 29, v59
	v_lshlrev_b32_e32 v61, v61, v51
	v_lshlrev_b32_e32 v51, 24, v51
	v_cndmask_b32_e32 v59, v60, v59, vcc_lo
	v_and_b32_e32 v61, 7, v61
	v_and_b32_e32 v51, 0x80000000, v51
	v_lshl_add_u32 v59, v59, 23, 0x3b800000
	v_cndmask_b32_e32 v58, v58, v61, vcc_lo
	v_lshlrev_b32_e32 v58, 20, v58
	v_or3_b32 v58, v51, v59, v58
.LBB6_3899:                             ;   in Loop: Header=BB6_3357 Depth=2
	s_or_b32 exec_lo, exec_lo, s13
	s_waitcnt vmcnt(27) lgkmcnt(27)
	v_cmp_gt_i16_sdwa s28, v57, v113 src0_sel:BYTE_0 src1_sel:DWORD
	s_mov_b32 s13, 0
	s_and_saveexec_b32 s29, s28
	s_xor_b32 s28, exec_lo, s29
	s_cbranch_execz .LBB6_4533
; %bb.3900:                             ;   in Loop: Header=BB6_3357 Depth=2
	v_cmp_eq_u16_sdwa s40, v57, v114 src0_sel:BYTE_0 src1_sel:DWORD
	s_mov_b32 s13, -1
	s_and_saveexec_b32 s29, s40
; %bb.3901:                             ;   in Loop: Header=BB6_3357 Depth=2
	s_xor_b32 s13, exec_lo, -1
; %bb.3902:                             ;   in Loop: Header=BB6_3357 Depth=2
	s_or_b32 exec_lo, exec_lo, s29
	s_and_b32 s13, s13, exec_lo
	s_or_saveexec_b32 s28, s28
	v_mov_b32_e32 v51, 0x7f800001
	s_xor_b32 exec_lo, exec_lo, s28
	s_cbranch_execnz .LBB6_4534
.LBB6_3903:                             ;   in Loop: Header=BB6_3357 Depth=2
	s_or_b32 exec_lo, exec_lo, s28
	s_and_saveexec_b32 s28, s13
	s_cbranch_execz .LBB6_3905
.LBB6_3904:                             ;   in Loop: Header=BB6_3357 Depth=2
	v_and_b32_e32 v51, 7, v57
	v_lshrrev_b16 v60, 3, v57
	v_ffbh_u32_e32 v59, v51
	v_and_b32_e32 v60, 15, v60
	v_min_u32_e32 v59, 32, v59
	v_cmp_eq_u32_e32 vcc_lo, 0, v60
	v_subrev_nc_u32_e32 v61, 28, v59
	v_sub_nc_u32_e32 v59, 29, v59
	v_lshlrev_b32_e32 v61, v61, v57
	v_lshlrev_b32_e32 v57, 24, v57
	v_cndmask_b32_e32 v59, v60, v59, vcc_lo
	v_and_b32_e32 v61, 7, v61
	v_and_b32_e32 v57, 0x80000000, v57
	v_lshl_add_u32 v59, v59, 23, 0x3b800000
	v_cndmask_b32_e32 v51, v51, v61, vcc_lo
	v_lshlrev_b32_e32 v51, 20, v51
	v_or3_b32 v51, v57, v59, v51
.LBB6_3905:                             ;   in Loop: Header=BB6_3357 Depth=2
	s_or_b32 exec_lo, exec_lo, s28
	v_add_f32_e32 v57, v58, v51
	v_and_b32_e32 v51, 0x7f800000, v57
	v_cmp_ne_u32_e32 vcc_lo, 0x7f800000, v51
	v_mov_b32_e32 v51, 0x80
	s_and_saveexec_b32 s28, vcc_lo
	s_cbranch_execz .LBB6_3913
; %bb.3906:                             ;   in Loop: Header=BB6_3357 Depth=2
	v_mov_b32_e32 v51, 0
	s_mov_b32 s29, exec_lo
	v_cmpx_ne_u32_e32 0, v57
	s_cbranch_execz .LBB6_3912
; %bb.3907:                             ;   in Loop: Header=BB6_3357 Depth=2
	v_bfe_u32 v58, v57, 23, 8
	v_and_b32_e32 v51, 0x7fffff, v57
	v_cmp_gt_u32_e64 s13, 0x79, v58
	v_sub_nc_u32_e32 v59, 0x78, v58
	v_cmp_eq_u32_e32 vcc_lo, 0, v58
	v_or_b32_e32 v60, 0x800000, v51
	v_cndmask_b32_e64 v59, 0, v59, s13
	v_cndmask_b32_e32 v51, v60, v51, vcc_lo
	v_cndmask_b32_e64 v59, v59, 0x77, vcc_lo
	v_lshl_add_u32 v60, 0x100000, v59, -1
	v_lshlrev_b32_e64 v61, v59, 0x80000
	v_and_b32_e32 v60, v60, v51
	v_cmp_eq_u32_e64 s13, v60, v61
	v_lshrrev_b32_e32 v60, v59, v51
	v_add_nc_u32_e32 v51, 0xffffff89, v58
	v_lshrrev_b32_e32 v58, 23, v60
	v_cndmask_b32_e64 v51, v51, 0xffffff8a, vcc_lo
	v_xor_b32_e32 v58, 1, v58
	v_add_nc_u32_e32 v51, v59, v51
	v_bfe_u32 v59, v60, 20, 1
	v_add_nc_u32_e32 v59, -1, v59
	v_cndmask_b32_e64 v59, 0, v59, s13
	s_mov_b32 s13, exec_lo
	v_add_nc_u32_e32 v59, v59, v60
	v_and_b32_e32 v59, 0xfffff, v59
	v_add_nc_u32_e32 v60, v59, v60
                                        ; implicit-def: $vgpr59
	v_cmpx_ne_u32_e64 v51, v58
	s_xor_b32 s13, exec_lo, s13
; %bb.3908:                             ;   in Loop: Header=BB6_3357 Depth=2
	v_cmp_lt_u32_e32 vcc_lo, 0xffffff, v60
	v_sub_nc_u32_e32 v51, v51, v58
	v_cndmask_b32_e64 v58, 0, 1, vcc_lo
	v_add_co_ci_u32_e64 v59, null, 0, v51, vcc_lo
	v_lshrrev_b32_e32 v60, v58, v60
; %bb.3909:                             ;   in Loop: Header=BB6_3357 Depth=2
	s_andn2_saveexec_b32 s13, s13
; %bb.3910:                             ;   in Loop: Header=BB6_3357 Depth=2
	v_bfe_u32 v59, v60, 23, 1
; %bb.3911:                             ;   in Loop: Header=BB6_3357 Depth=2
	s_or_b32 exec_lo, exec_lo, s13
	v_lshrrev_b32_e32 v51, 20, v60
	v_cmp_gt_i32_e32 vcc_lo, 16, v59
	v_min_i32_e32 v58, 15, v59
	v_and_b32_sdwa v57, v57, v114 dst_sel:DWORD dst_unused:UNUSED_PAD src0_sel:BYTE_3 src1_sel:DWORD
	v_cndmask_b32_e32 v51, 7, v51, vcc_lo
	v_lshlrev_b32_e32 v58, 3, v58
	v_and_b32_e32 v60, 7, v51
	v_or_b32_e32 v51, v59, v51
	v_or3_b32 v57, v58, v57, v60
	v_cmp_ne_u32_e32 vcc_lo, 0, v51
	v_cndmask_b32_e32 v51, 0, v57, vcc_lo
.LBB6_3912:                             ;   in Loop: Header=BB6_3357 Depth=2
	s_or_b32 exec_lo, exec_lo, s29
.LBB6_3913:                             ;   in Loop: Header=BB6_3357 Depth=2
	s_or_b32 exec_lo, exec_lo, s28
	v_cmp_gt_i16_sdwa s28, v71, v113 src0_sel:BYTE_0 src1_sel:DWORD
	s_mov_b32 s13, 0
	s_and_saveexec_b32 s29, s28
	s_xor_b32 s28, exec_lo, s29
	s_cbranch_execz .LBB6_4535
; %bb.3914:                             ;   in Loop: Header=BB6_3357 Depth=2
	v_cmp_eq_u16_sdwa s40, v71, v114 src0_sel:BYTE_0 src1_sel:DWORD
	s_mov_b32 s13, -1
	s_and_saveexec_b32 s29, s40
; %bb.3915:                             ;   in Loop: Header=BB6_3357 Depth=2
	s_xor_b32 s13, exec_lo, -1
; %bb.3916:                             ;   in Loop: Header=BB6_3357 Depth=2
	s_or_b32 exec_lo, exec_lo, s29
	s_and_b32 s13, s13, exec_lo
	s_or_saveexec_b32 s28, s28
	v_mov_b32_e32 v57, 0x7f800001
	s_xor_b32 exec_lo, exec_lo, s28
	s_cbranch_execnz .LBB6_4536
.LBB6_3917:                             ;   in Loop: Header=BB6_3357 Depth=2
	s_or_b32 exec_lo, exec_lo, s28
	s_and_saveexec_b32 s28, s13
	s_cbranch_execz .LBB6_3919
.LBB6_3918:                             ;   in Loop: Header=BB6_3357 Depth=2
	v_and_b32_e32 v57, 7, v71
	v_lshrrev_b16 v59, 3, v71
	v_ffbh_u32_e32 v58, v57
	v_and_b32_e32 v59, 15, v59
	v_min_u32_e32 v58, 32, v58
	v_cmp_eq_u32_e32 vcc_lo, 0, v59
	v_subrev_nc_u32_e32 v60, 28, v58
	v_sub_nc_u32_e32 v58, 29, v58
	v_lshlrev_b32_e32 v60, v60, v71
	v_lshlrev_b32_e32 v71, 24, v71
	v_cndmask_b32_e32 v58, v59, v58, vcc_lo
	v_and_b32_e32 v60, 7, v60
	v_and_b32_e32 v71, 0x80000000, v71
	v_lshl_add_u32 v58, v58, 23, 0x3b800000
	v_cndmask_b32_e32 v57, v57, v60, vcc_lo
	v_lshlrev_b32_e32 v57, 20, v57
	v_or3_b32 v57, v71, v58, v57
.LBB6_3919:                             ;   in Loop: Header=BB6_3357 Depth=2
	s_or_b32 exec_lo, exec_lo, s28
	s_waitcnt vmcnt(26) lgkmcnt(26)
	v_cmp_gt_i16_sdwa s28, v56, v113 src0_sel:BYTE_0 src1_sel:DWORD
	s_mov_b32 s13, 0
	s_and_saveexec_b32 s29, s28
	s_xor_b32 s28, exec_lo, s29
	s_cbranch_execz .LBB6_4537
; %bb.3920:                             ;   in Loop: Header=BB6_3357 Depth=2
	v_cmp_eq_u16_sdwa s40, v56, v114 src0_sel:BYTE_0 src1_sel:DWORD
	s_mov_b32 s13, -1
	s_and_saveexec_b32 s29, s40
; %bb.3921:                             ;   in Loop: Header=BB6_3357 Depth=2
	s_xor_b32 s13, exec_lo, -1
; %bb.3922:                             ;   in Loop: Header=BB6_3357 Depth=2
	s_or_b32 exec_lo, exec_lo, s29
	s_and_b32 s13, s13, exec_lo
	s_or_saveexec_b32 s28, s28
	v_mov_b32_e32 v71, 0x7f800001
	s_xor_b32 exec_lo, exec_lo, s28
	s_cbranch_execnz .LBB6_4538
.LBB6_3923:                             ;   in Loop: Header=BB6_3357 Depth=2
	s_or_b32 exec_lo, exec_lo, s28
	s_and_saveexec_b32 s28, s13
	s_cbranch_execz .LBB6_3925
.LBB6_3924:                             ;   in Loop: Header=BB6_3357 Depth=2
	v_and_b32_e32 v71, 7, v56
	v_lshrrev_b16 v59, 3, v56
	v_ffbh_u32_e32 v58, v71
	v_and_b32_e32 v59, 15, v59
	v_min_u32_e32 v58, 32, v58
	v_cmp_eq_u32_e32 vcc_lo, 0, v59
	v_subrev_nc_u32_e32 v60, 28, v58
	v_sub_nc_u32_e32 v58, 29, v58
	v_lshlrev_b32_e32 v60, v60, v56
	v_lshlrev_b32_e32 v56, 24, v56
	v_cndmask_b32_e32 v58, v59, v58, vcc_lo
	v_and_b32_e32 v60, 7, v60
	v_and_b32_e32 v56, 0x80000000, v56
	v_lshl_add_u32 v58, v58, 23, 0x3b800000
	v_cndmask_b32_e32 v71, v71, v60, vcc_lo
	v_lshlrev_b32_e32 v71, 20, v71
	v_or3_b32 v71, v56, v58, v71
.LBB6_3925:                             ;   in Loop: Header=BB6_3357 Depth=2
	s_or_b32 exec_lo, exec_lo, s28
	v_add_f32_e32 v56, v57, v71
	v_and_b32_e32 v71, 0x7f800000, v56
	v_cmp_ne_u32_e32 vcc_lo, 0x7f800000, v71
	v_mov_b32_e32 v71, 0x80
	s_and_saveexec_b32 s28, vcc_lo
	s_cbranch_execz .LBB6_3933
; %bb.3926:                             ;   in Loop: Header=BB6_3357 Depth=2
	v_mov_b32_e32 v71, 0
	s_mov_b32 s29, exec_lo
	v_cmpx_ne_u32_e32 0, v56
	s_cbranch_execz .LBB6_3932
; %bb.3927:                             ;   in Loop: Header=BB6_3357 Depth=2
	v_bfe_u32 v57, v56, 23, 8
	v_and_b32_e32 v71, 0x7fffff, v56
	v_cmp_gt_u32_e64 s13, 0x79, v57
	v_sub_nc_u32_e32 v58, 0x78, v57
	v_cmp_eq_u32_e32 vcc_lo, 0, v57
	v_or_b32_e32 v59, 0x800000, v71
	v_cndmask_b32_e64 v58, 0, v58, s13
	v_cndmask_b32_e32 v71, v59, v71, vcc_lo
	v_cndmask_b32_e64 v58, v58, 0x77, vcc_lo
	v_lshl_add_u32 v59, 0x100000, v58, -1
	v_lshlrev_b32_e64 v60, v58, 0x80000
	v_and_b32_e32 v59, v59, v71
	v_cmp_eq_u32_e64 s13, v59, v60
	v_lshrrev_b32_e32 v59, v58, v71
	v_add_nc_u32_e32 v71, 0xffffff89, v57
	v_lshrrev_b32_e32 v57, 23, v59
	v_cndmask_b32_e64 v71, v71, 0xffffff8a, vcc_lo
	v_xor_b32_e32 v57, 1, v57
	v_add_nc_u32_e32 v71, v58, v71
	v_bfe_u32 v58, v59, 20, 1
	v_add_nc_u32_e32 v58, -1, v58
	v_cndmask_b32_e64 v58, 0, v58, s13
	s_mov_b32 s13, exec_lo
	v_add_nc_u32_e32 v58, v58, v59
	v_and_b32_e32 v58, 0xfffff, v58
	v_add_nc_u32_e32 v59, v58, v59
                                        ; implicit-def: $vgpr58
	v_cmpx_ne_u32_e64 v71, v57
	s_xor_b32 s13, exec_lo, s13
; %bb.3928:                             ;   in Loop: Header=BB6_3357 Depth=2
	v_cmp_lt_u32_e32 vcc_lo, 0xffffff, v59
	v_sub_nc_u32_e32 v71, v71, v57
	v_cndmask_b32_e64 v57, 0, 1, vcc_lo
	v_add_co_ci_u32_e64 v58, null, 0, v71, vcc_lo
	v_lshrrev_b32_e32 v59, v57, v59
; %bb.3929:                             ;   in Loop: Header=BB6_3357 Depth=2
	s_andn2_saveexec_b32 s13, s13
; %bb.3930:                             ;   in Loop: Header=BB6_3357 Depth=2
	v_bfe_u32 v58, v59, 23, 1
; %bb.3931:                             ;   in Loop: Header=BB6_3357 Depth=2
	s_or_b32 exec_lo, exec_lo, s13
	v_lshrrev_b32_e32 v71, 20, v59
	v_cmp_gt_i32_e32 vcc_lo, 16, v58
	v_min_i32_e32 v57, 15, v58
	v_and_b32_sdwa v56, v56, v114 dst_sel:DWORD dst_unused:UNUSED_PAD src0_sel:BYTE_3 src1_sel:DWORD
	v_cndmask_b32_e32 v71, 7, v71, vcc_lo
	v_lshlrev_b32_e32 v57, 3, v57
	v_and_b32_e32 v59, 7, v71
	v_or_b32_e32 v71, v58, v71
	v_or3_b32 v56, v57, v56, v59
	v_cmp_ne_u32_e32 vcc_lo, 0, v71
	v_cndmask_b32_e32 v71, 0, v56, vcc_lo
.LBB6_3932:                             ;   in Loop: Header=BB6_3357 Depth=2
	s_or_b32 exec_lo, exec_lo, s29
.LBB6_3933:                             ;   in Loop: Header=BB6_3357 Depth=2
	s_or_b32 exec_lo, exec_lo, s28
	v_cmp_gt_i16_sdwa s28, v82, v113 src0_sel:BYTE_0 src1_sel:DWORD
	s_mov_b32 s13, 0
	s_and_saveexec_b32 s29, s28
	s_xor_b32 s28, exec_lo, s29
	s_cbranch_execz .LBB6_4539
; %bb.3934:                             ;   in Loop: Header=BB6_3357 Depth=2
	v_cmp_eq_u16_sdwa s40, v82, v114 src0_sel:BYTE_0 src1_sel:DWORD
	s_mov_b32 s13, -1
	s_and_saveexec_b32 s29, s40
; %bb.3935:                             ;   in Loop: Header=BB6_3357 Depth=2
	s_xor_b32 s13, exec_lo, -1
; %bb.3936:                             ;   in Loop: Header=BB6_3357 Depth=2
	s_or_b32 exec_lo, exec_lo, s29
	s_and_b32 s13, s13, exec_lo
	s_or_saveexec_b32 s28, s28
	v_mov_b32_e32 v56, 0x7f800001
	s_xor_b32 exec_lo, exec_lo, s28
	s_cbranch_execnz .LBB6_4540
.LBB6_3937:                             ;   in Loop: Header=BB6_3357 Depth=2
	s_or_b32 exec_lo, exec_lo, s28
	s_and_saveexec_b32 s28, s13
	s_cbranch_execz .LBB6_3939
.LBB6_3938:                             ;   in Loop: Header=BB6_3357 Depth=2
	v_and_b32_e32 v56, 7, v82
	v_lshrrev_b16 v58, 3, v82
	v_ffbh_u32_e32 v57, v56
	v_and_b32_e32 v58, 15, v58
	v_min_u32_e32 v57, 32, v57
	v_cmp_eq_u32_e32 vcc_lo, 0, v58
	v_subrev_nc_u32_e32 v59, 28, v57
	v_sub_nc_u32_e32 v57, 29, v57
	v_lshlrev_b32_e32 v59, v59, v82
	v_lshlrev_b32_e32 v82, 24, v82
	v_cndmask_b32_e32 v57, v58, v57, vcc_lo
	v_and_b32_e32 v59, 7, v59
	v_and_b32_e32 v82, 0x80000000, v82
	v_lshl_add_u32 v57, v57, 23, 0x3b800000
	v_cndmask_b32_e32 v56, v56, v59, vcc_lo
	v_lshlrev_b32_e32 v56, 20, v56
	v_or3_b32 v56, v82, v57, v56
.LBB6_3939:                             ;   in Loop: Header=BB6_3357 Depth=2
	s_or_b32 exec_lo, exec_lo, s28
	s_waitcnt vmcnt(25) lgkmcnt(25)
	v_cmp_gt_i16_sdwa s28, v47, v113 src0_sel:BYTE_0 src1_sel:DWORD
	s_mov_b32 s13, 0
	s_and_saveexec_b32 s29, s28
	s_xor_b32 s28, exec_lo, s29
	s_cbranch_execz .LBB6_4541
; %bb.3940:                             ;   in Loop: Header=BB6_3357 Depth=2
	v_cmp_eq_u16_sdwa s40, v47, v114 src0_sel:BYTE_0 src1_sel:DWORD
	s_mov_b32 s13, -1
	s_and_saveexec_b32 s29, s40
; %bb.3941:                             ;   in Loop: Header=BB6_3357 Depth=2
	s_xor_b32 s13, exec_lo, -1
; %bb.3942:                             ;   in Loop: Header=BB6_3357 Depth=2
	s_or_b32 exec_lo, exec_lo, s29
	s_and_b32 s13, s13, exec_lo
	s_or_saveexec_b32 s28, s28
	v_mov_b32_e32 v82, 0x7f800001
	s_xor_b32 exec_lo, exec_lo, s28
	s_cbranch_execnz .LBB6_4542
.LBB6_3943:                             ;   in Loop: Header=BB6_3357 Depth=2
	s_or_b32 exec_lo, exec_lo, s28
	s_and_saveexec_b32 s28, s13
	s_cbranch_execz .LBB6_3945
.LBB6_3944:                             ;   in Loop: Header=BB6_3357 Depth=2
	v_and_b32_e32 v82, 7, v47
	v_lshrrev_b16 v58, 3, v47
	v_ffbh_u32_e32 v57, v82
	v_and_b32_e32 v58, 15, v58
	v_min_u32_e32 v57, 32, v57
	v_cmp_eq_u32_e32 vcc_lo, 0, v58
	v_subrev_nc_u32_e32 v59, 28, v57
	v_sub_nc_u32_e32 v57, 29, v57
	v_lshlrev_b32_e32 v59, v59, v47
	v_lshlrev_b32_e32 v47, 24, v47
	v_cndmask_b32_e32 v57, v58, v57, vcc_lo
	v_and_b32_e32 v59, 7, v59
	v_and_b32_e32 v47, 0x80000000, v47
	v_lshl_add_u32 v57, v57, 23, 0x3b800000
	v_cndmask_b32_e32 v82, v82, v59, vcc_lo
	v_lshlrev_b32_e32 v82, 20, v82
	v_or3_b32 v82, v47, v57, v82
.LBB6_3945:                             ;   in Loop: Header=BB6_3357 Depth=2
	s_or_b32 exec_lo, exec_lo, s28
	v_add_f32_e32 v47, v56, v82
	v_and_b32_e32 v82, 0x7f800000, v47
	v_cmp_ne_u32_e32 vcc_lo, 0x7f800000, v82
	v_mov_b32_e32 v82, 0x80
	s_and_saveexec_b32 s28, vcc_lo
	s_cbranch_execz .LBB6_3953
; %bb.3946:                             ;   in Loop: Header=BB6_3357 Depth=2
	v_mov_b32_e32 v82, 0
	s_mov_b32 s29, exec_lo
	v_cmpx_ne_u32_e32 0, v47
	s_cbranch_execz .LBB6_3952
; %bb.3947:                             ;   in Loop: Header=BB6_3357 Depth=2
	v_bfe_u32 v56, v47, 23, 8
	v_and_b32_e32 v82, 0x7fffff, v47
	v_cmp_gt_u32_e64 s13, 0x79, v56
	v_sub_nc_u32_e32 v57, 0x78, v56
	v_cmp_eq_u32_e32 vcc_lo, 0, v56
	v_or_b32_e32 v58, 0x800000, v82
	v_cndmask_b32_e64 v57, 0, v57, s13
	v_cndmask_b32_e32 v82, v58, v82, vcc_lo
	v_cndmask_b32_e64 v57, v57, 0x77, vcc_lo
	v_lshl_add_u32 v58, 0x100000, v57, -1
	v_lshlrev_b32_e64 v59, v57, 0x80000
	v_and_b32_e32 v58, v58, v82
	v_cmp_eq_u32_e64 s13, v58, v59
	v_lshrrev_b32_e32 v58, v57, v82
	v_add_nc_u32_e32 v82, 0xffffff89, v56
	v_lshrrev_b32_e32 v56, 23, v58
	v_cndmask_b32_e64 v82, v82, 0xffffff8a, vcc_lo
	v_xor_b32_e32 v56, 1, v56
	v_add_nc_u32_e32 v82, v57, v82
	v_bfe_u32 v57, v58, 20, 1
	v_add_nc_u32_e32 v57, -1, v57
	v_cndmask_b32_e64 v57, 0, v57, s13
	s_mov_b32 s13, exec_lo
	v_add_nc_u32_e32 v57, v57, v58
	v_and_b32_e32 v57, 0xfffff, v57
	v_add_nc_u32_e32 v58, v57, v58
                                        ; implicit-def: $vgpr57
	v_cmpx_ne_u32_e64 v82, v56
	s_xor_b32 s13, exec_lo, s13
; %bb.3948:                             ;   in Loop: Header=BB6_3357 Depth=2
	v_cmp_lt_u32_e32 vcc_lo, 0xffffff, v58
	v_sub_nc_u32_e32 v82, v82, v56
	v_cndmask_b32_e64 v56, 0, 1, vcc_lo
	v_add_co_ci_u32_e64 v57, null, 0, v82, vcc_lo
	v_lshrrev_b32_e32 v58, v56, v58
; %bb.3949:                             ;   in Loop: Header=BB6_3357 Depth=2
	s_andn2_saveexec_b32 s13, s13
; %bb.3950:                             ;   in Loop: Header=BB6_3357 Depth=2
	v_bfe_u32 v57, v58, 23, 1
; %bb.3951:                             ;   in Loop: Header=BB6_3357 Depth=2
	s_or_b32 exec_lo, exec_lo, s13
	v_lshrrev_b32_e32 v82, 20, v58
	v_cmp_gt_i32_e32 vcc_lo, 16, v57
	v_min_i32_e32 v56, 15, v57
	v_and_b32_sdwa v47, v47, v114 dst_sel:DWORD dst_unused:UNUSED_PAD src0_sel:BYTE_3 src1_sel:DWORD
	v_cndmask_b32_e32 v82, 7, v82, vcc_lo
	v_lshlrev_b32_e32 v56, 3, v56
	v_and_b32_e32 v58, 7, v82
	v_or_b32_e32 v82, v57, v82
	v_or3_b32 v47, v56, v47, v58
	v_cmp_ne_u32_e32 vcc_lo, 0, v82
	v_cndmask_b32_e32 v82, 0, v47, vcc_lo
.LBB6_3952:                             ;   in Loop: Header=BB6_3357 Depth=2
	s_or_b32 exec_lo, exec_lo, s29
.LBB6_3953:                             ;   in Loop: Header=BB6_3357 Depth=2
	s_or_b32 exec_lo, exec_lo, s28
	v_cmp_gt_i16_sdwa s28, v81, v113 src0_sel:BYTE_0 src1_sel:DWORD
	s_mov_b32 s13, 0
	s_and_saveexec_b32 s29, s28
	s_xor_b32 s28, exec_lo, s29
	s_cbranch_execz .LBB6_4543
; %bb.3954:                             ;   in Loop: Header=BB6_3357 Depth=2
	v_cmp_eq_u16_sdwa s40, v81, v114 src0_sel:BYTE_0 src1_sel:DWORD
	s_mov_b32 s13, -1
	s_and_saveexec_b32 s29, s40
; %bb.3955:                             ;   in Loop: Header=BB6_3357 Depth=2
	s_xor_b32 s13, exec_lo, -1
; %bb.3956:                             ;   in Loop: Header=BB6_3357 Depth=2
	s_or_b32 exec_lo, exec_lo, s29
	s_and_b32 s13, s13, exec_lo
	s_or_saveexec_b32 s28, s28
	v_mov_b32_e32 v47, 0x7f800001
	s_xor_b32 exec_lo, exec_lo, s28
	s_cbranch_execnz .LBB6_4544
.LBB6_3957:                             ;   in Loop: Header=BB6_3357 Depth=2
	s_or_b32 exec_lo, exec_lo, s28
	s_and_saveexec_b32 s28, s13
	s_cbranch_execz .LBB6_3959
.LBB6_3958:                             ;   in Loop: Header=BB6_3357 Depth=2
	v_and_b32_e32 v47, 7, v81
	v_lshrrev_b16 v57, 3, v81
	v_ffbh_u32_e32 v56, v47
	v_and_b32_e32 v57, 15, v57
	v_min_u32_e32 v56, 32, v56
	v_cmp_eq_u32_e32 vcc_lo, 0, v57
	v_subrev_nc_u32_e32 v58, 28, v56
	v_sub_nc_u32_e32 v56, 29, v56
	v_lshlrev_b32_e32 v58, v58, v81
	v_lshlrev_b32_e32 v81, 24, v81
	v_cndmask_b32_e32 v56, v57, v56, vcc_lo
	v_and_b32_e32 v58, 7, v58
	v_and_b32_e32 v81, 0x80000000, v81
	v_lshl_add_u32 v56, v56, 23, 0x3b800000
	v_cndmask_b32_e32 v47, v47, v58, vcc_lo
	v_lshlrev_b32_e32 v47, 20, v47
	v_or3_b32 v47, v81, v56, v47
.LBB6_3959:                             ;   in Loop: Header=BB6_3357 Depth=2
	s_or_b32 exec_lo, exec_lo, s28
	s_waitcnt vmcnt(24) lgkmcnt(24)
	v_cmp_gt_i16_sdwa s28, v46, v113 src0_sel:BYTE_0 src1_sel:DWORD
	s_mov_b32 s13, 0
	s_and_saveexec_b32 s29, s28
	s_xor_b32 s28, exec_lo, s29
	s_cbranch_execz .LBB6_4545
; %bb.3960:                             ;   in Loop: Header=BB6_3357 Depth=2
	v_cmp_eq_u16_sdwa s40, v46, v114 src0_sel:BYTE_0 src1_sel:DWORD
	s_mov_b32 s13, -1
	s_and_saveexec_b32 s29, s40
; %bb.3961:                             ;   in Loop: Header=BB6_3357 Depth=2
	s_xor_b32 s13, exec_lo, -1
; %bb.3962:                             ;   in Loop: Header=BB6_3357 Depth=2
	s_or_b32 exec_lo, exec_lo, s29
	s_and_b32 s13, s13, exec_lo
	s_or_saveexec_b32 s28, s28
	v_mov_b32_e32 v81, 0x7f800001
	s_xor_b32 exec_lo, exec_lo, s28
	s_cbranch_execnz .LBB6_4546
.LBB6_3963:                             ;   in Loop: Header=BB6_3357 Depth=2
	s_or_b32 exec_lo, exec_lo, s28
	s_and_saveexec_b32 s28, s13
	s_cbranch_execz .LBB6_3965
.LBB6_3964:                             ;   in Loop: Header=BB6_3357 Depth=2
	v_and_b32_e32 v81, 7, v46
	v_lshrrev_b16 v57, 3, v46
	v_ffbh_u32_e32 v56, v81
	v_and_b32_e32 v57, 15, v57
	v_min_u32_e32 v56, 32, v56
	v_cmp_eq_u32_e32 vcc_lo, 0, v57
	v_subrev_nc_u32_e32 v58, 28, v56
	v_sub_nc_u32_e32 v56, 29, v56
	v_lshlrev_b32_e32 v58, v58, v46
	v_lshlrev_b32_e32 v46, 24, v46
	v_cndmask_b32_e32 v56, v57, v56, vcc_lo
	v_and_b32_e32 v58, 7, v58
	v_and_b32_e32 v46, 0x80000000, v46
	v_lshl_add_u32 v56, v56, 23, 0x3b800000
	v_cndmask_b32_e32 v81, v81, v58, vcc_lo
	v_lshlrev_b32_e32 v81, 20, v81
	v_or3_b32 v81, v46, v56, v81
.LBB6_3965:                             ;   in Loop: Header=BB6_3357 Depth=2
	s_or_b32 exec_lo, exec_lo, s28
	v_add_f32_e32 v46, v47, v81
	v_and_b32_e32 v81, 0x7f800000, v46
	v_cmp_ne_u32_e32 vcc_lo, 0x7f800000, v81
	v_mov_b32_e32 v81, 0x80
	s_and_saveexec_b32 s28, vcc_lo
	s_cbranch_execz .LBB6_3973
; %bb.3966:                             ;   in Loop: Header=BB6_3357 Depth=2
	v_mov_b32_e32 v81, 0
	s_mov_b32 s29, exec_lo
	v_cmpx_ne_u32_e32 0, v46
	s_cbranch_execz .LBB6_3972
; %bb.3967:                             ;   in Loop: Header=BB6_3357 Depth=2
	v_bfe_u32 v81, v46, 23, 8
	v_and_b32_e32 v47, 0x7fffff, v46
	v_sub_nc_u32_e32 v56, 0x78, v81
	v_cmp_gt_u32_e32 vcc_lo, 0x79, v81
	v_or_b32_e32 v57, 0x800000, v47
	v_cndmask_b32_e32 v56, 0, v56, vcc_lo
	v_cmp_eq_u32_e32 vcc_lo, 0, v81
	v_add_nc_u32_e32 v81, 0xffffff89, v81
	v_cndmask_b32_e64 v56, v56, 0x77, vcc_lo
	v_cndmask_b32_e32 v47, v57, v47, vcc_lo
	v_cndmask_b32_e64 v81, v81, 0xffffff8a, vcc_lo
	v_lshl_add_u32 v57, 0x100000, v56, -1
	v_lshrrev_b32_e32 v58, v56, v47
	v_lshlrev_b32_e64 v60, v56, 0x80000
	v_add_nc_u32_e32 v56, v56, v81
	v_and_b32_e32 v47, v57, v47
	v_bfe_u32 v59, v58, 20, 1
	v_cmp_eq_u32_e64 s13, v47, v60
	v_add_nc_u32_e32 v57, -1, v59
	v_cndmask_b32_e64 v47, 0, v57, s13
	v_lshrrev_b32_e32 v57, 23, v58
	s_mov_b32 s13, exec_lo
	v_add_nc_u32_e32 v47, v47, v58
	v_xor_b32_e32 v57, 1, v57
	v_and_b32_e32 v81, 0xfffff, v47
	v_add_nc_u32_e32 v47, v81, v58
                                        ; implicit-def: $vgpr81
	v_cmpx_ne_u32_e64 v56, v57
	s_xor_b32 s13, exec_lo, s13
; %bb.3968:                             ;   in Loop: Header=BB6_3357 Depth=2
	v_cmp_lt_u32_e32 vcc_lo, 0xffffff, v47
	v_sub_nc_u32_e32 v81, v56, v57
	v_cndmask_b32_e64 v56, 0, 1, vcc_lo
	v_add_co_ci_u32_e64 v81, null, 0, v81, vcc_lo
	v_lshrrev_b32_e32 v47, v56, v47
; %bb.3969:                             ;   in Loop: Header=BB6_3357 Depth=2
	s_andn2_saveexec_b32 s13, s13
; %bb.3970:                             ;   in Loop: Header=BB6_3357 Depth=2
	v_bfe_u32 v81, v47, 23, 1
; %bb.3971:                             ;   in Loop: Header=BB6_3357 Depth=2
	s_or_b32 exec_lo, exec_lo, s13
	v_lshrrev_b32_e32 v47, 20, v47
	v_cmp_gt_i32_e32 vcc_lo, 16, v81
	v_min_i32_e32 v56, 15, v81
	v_and_b32_sdwa v46, v46, v114 dst_sel:DWORD dst_unused:UNUSED_PAD src0_sel:BYTE_3 src1_sel:DWORD
	v_cndmask_b32_e32 v47, 7, v47, vcc_lo
	v_lshlrev_b32_e32 v56, 3, v56
	v_and_b32_e32 v57, 7, v47
	v_or_b32_e32 v81, v81, v47
	v_or3_b32 v46, v56, v46, v57
	v_cmp_ne_u32_e32 vcc_lo, 0, v81
	v_cndmask_b32_e32 v81, 0, v46, vcc_lo
.LBB6_3972:                             ;   in Loop: Header=BB6_3357 Depth=2
	s_or_b32 exec_lo, exec_lo, s29
.LBB6_3973:                             ;   in Loop: Header=BB6_3357 Depth=2
	s_or_b32 exec_lo, exec_lo, s28
	v_cmp_gt_i16_sdwa s28, v70, v113 src0_sel:BYTE_0 src1_sel:DWORD
	s_mov_b32 s13, 0
	s_and_saveexec_b32 s29, s28
	s_xor_b32 s28, exec_lo, s29
	s_cbranch_execz .LBB6_4547
; %bb.3974:                             ;   in Loop: Header=BB6_3357 Depth=2
	v_cmp_eq_u16_sdwa s40, v70, v114 src0_sel:BYTE_0 src1_sel:DWORD
	s_mov_b32 s13, -1
	s_and_saveexec_b32 s29, s40
; %bb.3975:                             ;   in Loop: Header=BB6_3357 Depth=2
	s_xor_b32 s13, exec_lo, -1
; %bb.3976:                             ;   in Loop: Header=BB6_3357 Depth=2
	s_or_b32 exec_lo, exec_lo, s29
	s_and_b32 s13, s13, exec_lo
	s_or_saveexec_b32 s28, s28
	v_mov_b32_e32 v46, 0x7f800001
	s_xor_b32 exec_lo, exec_lo, s28
	s_cbranch_execnz .LBB6_4548
.LBB6_3977:                             ;   in Loop: Header=BB6_3357 Depth=2
	s_or_b32 exec_lo, exec_lo, s28
	s_and_saveexec_b32 s28, s13
	s_cbranch_execz .LBB6_3979
.LBB6_3978:                             ;   in Loop: Header=BB6_3357 Depth=2
	v_and_b32_e32 v46, 7, v70
	v_lshrrev_b16 v56, 3, v70
	v_ffbh_u32_e32 v47, v46
	v_and_b32_e32 v56, 15, v56
	v_min_u32_e32 v47, 32, v47
	v_cmp_eq_u32_e32 vcc_lo, 0, v56
	v_subrev_nc_u32_e32 v57, 28, v47
	v_sub_nc_u32_e32 v47, 29, v47
	v_lshlrev_b32_e32 v57, v57, v70
	v_lshlrev_b32_e32 v70, 24, v70
	v_cndmask_b32_e32 v47, v56, v47, vcc_lo
	v_and_b32_e32 v57, 7, v57
	v_and_b32_e32 v70, 0x80000000, v70
	v_lshl_add_u32 v47, v47, 23, 0x3b800000
	v_cndmask_b32_e32 v46, v46, v57, vcc_lo
	v_lshlrev_b32_e32 v46, 20, v46
	v_or3_b32 v46, v70, v47, v46
.LBB6_3979:                             ;   in Loop: Header=BB6_3357 Depth=2
	s_or_b32 exec_lo, exec_lo, s28
	s_waitcnt vmcnt(23) lgkmcnt(23)
	v_cmp_gt_i16_sdwa s28, v45, v113 src0_sel:BYTE_0 src1_sel:DWORD
	s_mov_b32 s13, 0
	s_and_saveexec_b32 s29, s28
	s_xor_b32 s28, exec_lo, s29
	s_cbranch_execz .LBB6_4549
; %bb.3980:                             ;   in Loop: Header=BB6_3357 Depth=2
	v_cmp_eq_u16_sdwa s40, v45, v114 src0_sel:BYTE_0 src1_sel:DWORD
	s_mov_b32 s13, -1
	s_and_saveexec_b32 s29, s40
; %bb.3981:                             ;   in Loop: Header=BB6_3357 Depth=2
	s_xor_b32 s13, exec_lo, -1
; %bb.3982:                             ;   in Loop: Header=BB6_3357 Depth=2
	s_or_b32 exec_lo, exec_lo, s29
	s_and_b32 s13, s13, exec_lo
	s_or_saveexec_b32 s28, s28
	v_mov_b32_e32 v70, 0x7f800001
	s_xor_b32 exec_lo, exec_lo, s28
	s_cbranch_execnz .LBB6_4550
.LBB6_3983:                             ;   in Loop: Header=BB6_3357 Depth=2
	s_or_b32 exec_lo, exec_lo, s28
	s_and_saveexec_b32 s28, s13
	s_cbranch_execz .LBB6_3985
.LBB6_3984:                             ;   in Loop: Header=BB6_3357 Depth=2
	v_and_b32_e32 v70, 7, v45
	v_lshrrev_b16 v56, 3, v45
	v_ffbh_u32_e32 v47, v70
	v_and_b32_e32 v56, 15, v56
	v_min_u32_e32 v47, 32, v47
	v_cmp_eq_u32_e32 vcc_lo, 0, v56
	v_subrev_nc_u32_e32 v57, 28, v47
	v_sub_nc_u32_e32 v47, 29, v47
	v_lshlrev_b32_e32 v57, v57, v45
	v_lshlrev_b32_e32 v45, 24, v45
	v_cndmask_b32_e32 v47, v56, v47, vcc_lo
	v_and_b32_e32 v57, 7, v57
	v_and_b32_e32 v45, 0x80000000, v45
	v_lshl_add_u32 v47, v47, 23, 0x3b800000
	v_cndmask_b32_e32 v70, v70, v57, vcc_lo
	v_lshlrev_b32_e32 v70, 20, v70
	v_or3_b32 v70, v45, v47, v70
.LBB6_3985:                             ;   in Loop: Header=BB6_3357 Depth=2
	s_or_b32 exec_lo, exec_lo, s28
	v_add_f32_e32 v45, v46, v70
	v_and_b32_e32 v70, 0x7f800000, v45
	v_cmp_ne_u32_e32 vcc_lo, 0x7f800000, v70
	v_mov_b32_e32 v70, 0x80
	s_and_saveexec_b32 s28, vcc_lo
	s_cbranch_execz .LBB6_3993
; %bb.3986:                             ;   in Loop: Header=BB6_3357 Depth=2
	v_mov_b32_e32 v70, 0
	s_mov_b32 s29, exec_lo
	v_cmpx_ne_u32_e32 0, v45
	s_cbranch_execz .LBB6_3992
; %bb.3987:                             ;   in Loop: Header=BB6_3357 Depth=2
	v_bfe_u32 v70, v45, 23, 8
	v_and_b32_e32 v46, 0x7fffff, v45
	v_sub_nc_u32_e32 v47, 0x78, v70
	v_cmp_gt_u32_e32 vcc_lo, 0x79, v70
	v_or_b32_e32 v56, 0x800000, v46
	v_cndmask_b32_e32 v47, 0, v47, vcc_lo
	v_cmp_eq_u32_e32 vcc_lo, 0, v70
	v_add_nc_u32_e32 v70, 0xffffff89, v70
	v_cndmask_b32_e64 v47, v47, 0x77, vcc_lo
	v_cndmask_b32_e32 v46, v56, v46, vcc_lo
	v_cndmask_b32_e64 v70, v70, 0xffffff8a, vcc_lo
	v_lshl_add_u32 v56, 0x100000, v47, -1
	v_lshrrev_b32_e32 v57, v47, v46
	v_lshlrev_b32_e64 v59, v47, 0x80000
	v_add_nc_u32_e32 v47, v47, v70
	v_and_b32_e32 v46, v56, v46
	v_bfe_u32 v58, v57, 20, 1
	v_cmp_eq_u32_e64 s13, v46, v59
	v_add_nc_u32_e32 v56, -1, v58
	v_cndmask_b32_e64 v46, 0, v56, s13
	v_lshrrev_b32_e32 v56, 23, v57
	s_mov_b32 s13, exec_lo
	v_add_nc_u32_e32 v46, v46, v57
	v_xor_b32_e32 v56, 1, v56
	v_and_b32_e32 v70, 0xfffff, v46
	v_add_nc_u32_e32 v46, v70, v57
                                        ; implicit-def: $vgpr70
	v_cmpx_ne_u32_e64 v47, v56
	s_xor_b32 s13, exec_lo, s13
; %bb.3988:                             ;   in Loop: Header=BB6_3357 Depth=2
	v_cmp_lt_u32_e32 vcc_lo, 0xffffff, v46
	v_sub_nc_u32_e32 v70, v47, v56
	v_cndmask_b32_e64 v47, 0, 1, vcc_lo
	v_add_co_ci_u32_e64 v70, null, 0, v70, vcc_lo
	v_lshrrev_b32_e32 v46, v47, v46
; %bb.3989:                             ;   in Loop: Header=BB6_3357 Depth=2
	s_andn2_saveexec_b32 s13, s13
; %bb.3990:                             ;   in Loop: Header=BB6_3357 Depth=2
	v_bfe_u32 v70, v46, 23, 1
; %bb.3991:                             ;   in Loop: Header=BB6_3357 Depth=2
	s_or_b32 exec_lo, exec_lo, s13
	v_lshrrev_b32_e32 v46, 20, v46
	v_cmp_gt_i32_e32 vcc_lo, 16, v70
	v_min_i32_e32 v47, 15, v70
	v_and_b32_sdwa v45, v45, v114 dst_sel:DWORD dst_unused:UNUSED_PAD src0_sel:BYTE_3 src1_sel:DWORD
	v_cndmask_b32_e32 v46, 7, v46, vcc_lo
	v_lshlrev_b32_e32 v47, 3, v47
	v_and_b32_e32 v56, 7, v46
	v_or_b32_e32 v70, v70, v46
	v_or3_b32 v45, v47, v45, v56
	v_cmp_ne_u32_e32 vcc_lo, 0, v70
	v_cndmask_b32_e32 v70, 0, v45, vcc_lo
.LBB6_3992:                             ;   in Loop: Header=BB6_3357 Depth=2
	s_or_b32 exec_lo, exec_lo, s29
.LBB6_3993:                             ;   in Loop: Header=BB6_3357 Depth=2
	s_or_b32 exec_lo, exec_lo, s28
	v_cmp_gt_i16_sdwa s28, v69, v113 src0_sel:BYTE_0 src1_sel:DWORD
	s_mov_b32 s13, 0
	s_and_saveexec_b32 s29, s28
	s_xor_b32 s28, exec_lo, s29
	s_cbranch_execz .LBB6_4551
; %bb.3994:                             ;   in Loop: Header=BB6_3357 Depth=2
	v_cmp_eq_u16_sdwa s40, v69, v114 src0_sel:BYTE_0 src1_sel:DWORD
	s_mov_b32 s13, -1
	s_and_saveexec_b32 s29, s40
; %bb.3995:                             ;   in Loop: Header=BB6_3357 Depth=2
	s_xor_b32 s13, exec_lo, -1
; %bb.3996:                             ;   in Loop: Header=BB6_3357 Depth=2
	s_or_b32 exec_lo, exec_lo, s29
	s_and_b32 s13, s13, exec_lo
	s_or_saveexec_b32 s28, s28
	v_mov_b32_e32 v45, 0x7f800001
	s_xor_b32 exec_lo, exec_lo, s28
	s_cbranch_execnz .LBB6_4552
.LBB6_3997:                             ;   in Loop: Header=BB6_3357 Depth=2
	s_or_b32 exec_lo, exec_lo, s28
	s_and_saveexec_b32 s28, s13
	s_cbranch_execz .LBB6_3999
.LBB6_3998:                             ;   in Loop: Header=BB6_3357 Depth=2
	v_and_b32_e32 v45, 7, v69
	v_lshrrev_b16 v47, 3, v69
	v_ffbh_u32_e32 v46, v45
	v_and_b32_e32 v47, 15, v47
	v_min_u32_e32 v46, 32, v46
	v_cmp_eq_u32_e32 vcc_lo, 0, v47
	v_subrev_nc_u32_e32 v56, 28, v46
	v_sub_nc_u32_e32 v46, 29, v46
	v_lshlrev_b32_e32 v56, v56, v69
	v_lshlrev_b32_e32 v69, 24, v69
	v_cndmask_b32_e32 v46, v47, v46, vcc_lo
	v_and_b32_e32 v56, 7, v56
	v_and_b32_e32 v69, 0x80000000, v69
	v_lshl_add_u32 v46, v46, 23, 0x3b800000
	v_cndmask_b32_e32 v45, v45, v56, vcc_lo
	v_lshlrev_b32_e32 v45, 20, v45
	v_or3_b32 v45, v69, v46, v45
.LBB6_3999:                             ;   in Loop: Header=BB6_3357 Depth=2
	s_or_b32 exec_lo, exec_lo, s28
	s_waitcnt vmcnt(22) lgkmcnt(22)
	v_cmp_gt_i16_sdwa s28, v44, v113 src0_sel:BYTE_0 src1_sel:DWORD
	s_mov_b32 s13, 0
	s_and_saveexec_b32 s29, s28
	s_xor_b32 s28, exec_lo, s29
	s_cbranch_execz .LBB6_4553
; %bb.4000:                             ;   in Loop: Header=BB6_3357 Depth=2
	v_cmp_eq_u16_sdwa s40, v44, v114 src0_sel:BYTE_0 src1_sel:DWORD
	s_mov_b32 s13, -1
	s_and_saveexec_b32 s29, s40
; %bb.4001:                             ;   in Loop: Header=BB6_3357 Depth=2
	s_xor_b32 s13, exec_lo, -1
; %bb.4002:                             ;   in Loop: Header=BB6_3357 Depth=2
	s_or_b32 exec_lo, exec_lo, s29
	s_and_b32 s13, s13, exec_lo
	s_or_saveexec_b32 s28, s28
	v_mov_b32_e32 v69, 0x7f800001
	s_xor_b32 exec_lo, exec_lo, s28
	s_cbranch_execnz .LBB6_4554
.LBB6_4003:                             ;   in Loop: Header=BB6_3357 Depth=2
	s_or_b32 exec_lo, exec_lo, s28
	s_and_saveexec_b32 s28, s13
	s_cbranch_execz .LBB6_4005
.LBB6_4004:                             ;   in Loop: Header=BB6_3357 Depth=2
	v_and_b32_e32 v69, 7, v44
	v_lshrrev_b16 v47, 3, v44
	v_ffbh_u32_e32 v46, v69
	v_and_b32_e32 v47, 15, v47
	v_min_u32_e32 v46, 32, v46
	v_cmp_eq_u32_e32 vcc_lo, 0, v47
	v_subrev_nc_u32_e32 v56, 28, v46
	v_sub_nc_u32_e32 v46, 29, v46
	v_lshlrev_b32_e32 v56, v56, v44
	v_lshlrev_b32_e32 v44, 24, v44
	v_cndmask_b32_e32 v46, v47, v46, vcc_lo
	v_and_b32_e32 v56, 7, v56
	v_and_b32_e32 v44, 0x80000000, v44
	v_lshl_add_u32 v46, v46, 23, 0x3b800000
	v_cndmask_b32_e32 v69, v69, v56, vcc_lo
	v_lshlrev_b32_e32 v69, 20, v69
	v_or3_b32 v69, v44, v46, v69
.LBB6_4005:                             ;   in Loop: Header=BB6_3357 Depth=2
	s_or_b32 exec_lo, exec_lo, s28
	v_add_f32_e32 v44, v45, v69
	v_and_b32_e32 v69, 0x7f800000, v44
	v_cmp_ne_u32_e32 vcc_lo, 0x7f800000, v69
	v_mov_b32_e32 v69, 0x80
	s_and_saveexec_b32 s28, vcc_lo
	s_cbranch_execz .LBB6_4013
; %bb.4006:                             ;   in Loop: Header=BB6_3357 Depth=2
	v_mov_b32_e32 v69, 0
	s_mov_b32 s29, exec_lo
	v_cmpx_ne_u32_e32 0, v44
	s_cbranch_execz .LBB6_4012
; %bb.4007:                             ;   in Loop: Header=BB6_3357 Depth=2
	v_bfe_u32 v69, v44, 23, 8
	v_and_b32_e32 v45, 0x7fffff, v44
	v_sub_nc_u32_e32 v46, 0x78, v69
	v_cmp_gt_u32_e32 vcc_lo, 0x79, v69
	v_or_b32_e32 v47, 0x800000, v45
	v_cndmask_b32_e32 v46, 0, v46, vcc_lo
	v_cmp_eq_u32_e32 vcc_lo, 0, v69
	v_add_nc_u32_e32 v69, 0xffffff89, v69
	v_cndmask_b32_e64 v46, v46, 0x77, vcc_lo
	v_cndmask_b32_e32 v45, v47, v45, vcc_lo
	v_cndmask_b32_e64 v69, v69, 0xffffff8a, vcc_lo
	v_lshl_add_u32 v47, 0x100000, v46, -1
	v_lshrrev_b32_e32 v56, v46, v45
	v_lshlrev_b32_e64 v58, v46, 0x80000
	v_add_nc_u32_e32 v46, v46, v69
	v_and_b32_e32 v45, v47, v45
	v_bfe_u32 v57, v56, 20, 1
	v_cmp_eq_u32_e64 s13, v45, v58
	v_add_nc_u32_e32 v47, -1, v57
	v_cndmask_b32_e64 v45, 0, v47, s13
	v_lshrrev_b32_e32 v47, 23, v56
	s_mov_b32 s13, exec_lo
	v_add_nc_u32_e32 v45, v45, v56
	v_xor_b32_e32 v47, 1, v47
	v_and_b32_e32 v69, 0xfffff, v45
	v_add_nc_u32_e32 v45, v69, v56
                                        ; implicit-def: $vgpr69
	v_cmpx_ne_u32_e64 v46, v47
	s_xor_b32 s13, exec_lo, s13
; %bb.4008:                             ;   in Loop: Header=BB6_3357 Depth=2
	v_cmp_lt_u32_e32 vcc_lo, 0xffffff, v45
	v_sub_nc_u32_e32 v69, v46, v47
	v_cndmask_b32_e64 v46, 0, 1, vcc_lo
	v_add_co_ci_u32_e64 v69, null, 0, v69, vcc_lo
	v_lshrrev_b32_e32 v45, v46, v45
; %bb.4009:                             ;   in Loop: Header=BB6_3357 Depth=2
	s_andn2_saveexec_b32 s13, s13
; %bb.4010:                             ;   in Loop: Header=BB6_3357 Depth=2
	v_bfe_u32 v69, v45, 23, 1
; %bb.4011:                             ;   in Loop: Header=BB6_3357 Depth=2
	s_or_b32 exec_lo, exec_lo, s13
	v_lshrrev_b32_e32 v45, 20, v45
	v_cmp_gt_i32_e32 vcc_lo, 16, v69
	v_min_i32_e32 v46, 15, v69
	v_and_b32_sdwa v44, v44, v114 dst_sel:DWORD dst_unused:UNUSED_PAD src0_sel:BYTE_3 src1_sel:DWORD
	v_cndmask_b32_e32 v45, 7, v45, vcc_lo
	v_lshlrev_b32_e32 v46, 3, v46
	v_and_b32_e32 v47, 7, v45
	v_or_b32_e32 v69, v69, v45
	v_or3_b32 v44, v46, v44, v47
	v_cmp_ne_u32_e32 vcc_lo, 0, v69
	v_cndmask_b32_e32 v69, 0, v44, vcc_lo
.LBB6_4012:                             ;   in Loop: Header=BB6_3357 Depth=2
	s_or_b32 exec_lo, exec_lo, s29
.LBB6_4013:                             ;   in Loop: Header=BB6_3357 Depth=2
	s_or_b32 exec_lo, exec_lo, s28
	v_cmp_gt_i16_sdwa s28, v68, v113 src0_sel:BYTE_0 src1_sel:DWORD
	s_mov_b32 s13, 0
	s_and_saveexec_b32 s29, s28
	s_xor_b32 s28, exec_lo, s29
	s_cbranch_execz .LBB6_4555
; %bb.4014:                             ;   in Loop: Header=BB6_3357 Depth=2
	v_cmp_eq_u16_sdwa s40, v68, v114 src0_sel:BYTE_0 src1_sel:DWORD
	s_mov_b32 s13, -1
	s_and_saveexec_b32 s29, s40
; %bb.4015:                             ;   in Loop: Header=BB6_3357 Depth=2
	s_xor_b32 s13, exec_lo, -1
; %bb.4016:                             ;   in Loop: Header=BB6_3357 Depth=2
	s_or_b32 exec_lo, exec_lo, s29
	s_and_b32 s13, s13, exec_lo
	s_or_saveexec_b32 s28, s28
	v_mov_b32_e32 v44, 0x7f800001
	s_xor_b32 exec_lo, exec_lo, s28
	s_cbranch_execnz .LBB6_4556
.LBB6_4017:                             ;   in Loop: Header=BB6_3357 Depth=2
	s_or_b32 exec_lo, exec_lo, s28
	s_and_saveexec_b32 s28, s13
	s_cbranch_execz .LBB6_4019
.LBB6_4018:                             ;   in Loop: Header=BB6_3357 Depth=2
	v_and_b32_e32 v44, 7, v68
	v_lshrrev_b16 v46, 3, v68
	v_ffbh_u32_e32 v45, v44
	v_and_b32_e32 v46, 15, v46
	v_min_u32_e32 v45, 32, v45
	v_cmp_eq_u32_e32 vcc_lo, 0, v46
	v_subrev_nc_u32_e32 v47, 28, v45
	v_sub_nc_u32_e32 v45, 29, v45
	v_lshlrev_b32_e32 v47, v47, v68
	v_lshlrev_b32_e32 v68, 24, v68
	v_cndmask_b32_e32 v45, v46, v45, vcc_lo
	v_and_b32_e32 v47, 7, v47
	v_and_b32_e32 v68, 0x80000000, v68
	v_lshl_add_u32 v45, v45, 23, 0x3b800000
	v_cndmask_b32_e32 v44, v44, v47, vcc_lo
	v_lshlrev_b32_e32 v44, 20, v44
	v_or3_b32 v44, v68, v45, v44
.LBB6_4019:                             ;   in Loop: Header=BB6_3357 Depth=2
	s_or_b32 exec_lo, exec_lo, s28
	s_waitcnt vmcnt(21) lgkmcnt(21)
	v_cmp_gt_i16_sdwa s28, v43, v113 src0_sel:BYTE_0 src1_sel:DWORD
	s_mov_b32 s13, 0
	s_and_saveexec_b32 s29, s28
	s_xor_b32 s28, exec_lo, s29
	s_cbranch_execz .LBB6_4557
; %bb.4020:                             ;   in Loop: Header=BB6_3357 Depth=2
	v_cmp_eq_u16_sdwa s40, v43, v114 src0_sel:BYTE_0 src1_sel:DWORD
	s_mov_b32 s13, -1
	s_and_saveexec_b32 s29, s40
; %bb.4021:                             ;   in Loop: Header=BB6_3357 Depth=2
	s_xor_b32 s13, exec_lo, -1
; %bb.4022:                             ;   in Loop: Header=BB6_3357 Depth=2
	s_or_b32 exec_lo, exec_lo, s29
	s_and_b32 s13, s13, exec_lo
	s_or_saveexec_b32 s28, s28
	v_mov_b32_e32 v68, 0x7f800001
	s_xor_b32 exec_lo, exec_lo, s28
	s_cbranch_execnz .LBB6_4558
.LBB6_4023:                             ;   in Loop: Header=BB6_3357 Depth=2
	s_or_b32 exec_lo, exec_lo, s28
	s_and_saveexec_b32 s28, s13
	s_cbranch_execz .LBB6_4025
.LBB6_4024:                             ;   in Loop: Header=BB6_3357 Depth=2
	v_and_b32_e32 v68, 7, v43
	v_lshrrev_b16 v46, 3, v43
	v_ffbh_u32_e32 v45, v68
	v_and_b32_e32 v46, 15, v46
	v_min_u32_e32 v45, 32, v45
	v_cmp_eq_u32_e32 vcc_lo, 0, v46
	v_subrev_nc_u32_e32 v47, 28, v45
	v_sub_nc_u32_e32 v45, 29, v45
	v_lshlrev_b32_e32 v47, v47, v43
	v_lshlrev_b32_e32 v43, 24, v43
	v_cndmask_b32_e32 v45, v46, v45, vcc_lo
	v_and_b32_e32 v47, 7, v47
	v_and_b32_e32 v43, 0x80000000, v43
	v_lshl_add_u32 v45, v45, 23, 0x3b800000
	v_cndmask_b32_e32 v68, v68, v47, vcc_lo
	v_lshlrev_b32_e32 v68, 20, v68
	v_or3_b32 v68, v43, v45, v68
.LBB6_4025:                             ;   in Loop: Header=BB6_3357 Depth=2
	s_or_b32 exec_lo, exec_lo, s28
	v_add_f32_e32 v43, v44, v68
	v_and_b32_e32 v68, 0x7f800000, v43
	v_cmp_ne_u32_e32 vcc_lo, 0x7f800000, v68
	v_mov_b32_e32 v68, 0x80
	s_and_saveexec_b32 s28, vcc_lo
	s_cbranch_execz .LBB6_4033
; %bb.4026:                             ;   in Loop: Header=BB6_3357 Depth=2
	v_mov_b32_e32 v68, 0
	s_mov_b32 s29, exec_lo
	v_cmpx_ne_u32_e32 0, v43
	s_cbranch_execz .LBB6_4032
; %bb.4027:                             ;   in Loop: Header=BB6_3357 Depth=2
	v_bfe_u32 v68, v43, 23, 8
	v_and_b32_e32 v44, 0x7fffff, v43
	v_sub_nc_u32_e32 v45, 0x78, v68
	v_cmp_gt_u32_e32 vcc_lo, 0x79, v68
	v_or_b32_e32 v46, 0x800000, v44
	v_cndmask_b32_e32 v45, 0, v45, vcc_lo
	v_cmp_eq_u32_e32 vcc_lo, 0, v68
	v_add_nc_u32_e32 v68, 0xffffff89, v68
	v_cndmask_b32_e64 v45, v45, 0x77, vcc_lo
	v_cndmask_b32_e32 v44, v46, v44, vcc_lo
	v_cndmask_b32_e64 v68, v68, 0xffffff8a, vcc_lo
	v_lshl_add_u32 v46, 0x100000, v45, -1
	v_lshrrev_b32_e32 v47, v45, v44
	v_lshlrev_b32_e64 v57, v45, 0x80000
	v_add_nc_u32_e32 v45, v45, v68
	v_and_b32_e32 v44, v46, v44
	v_bfe_u32 v56, v47, 20, 1
	v_cmp_eq_u32_e64 s13, v44, v57
	v_add_nc_u32_e32 v46, -1, v56
	v_cndmask_b32_e64 v44, 0, v46, s13
	v_lshrrev_b32_e32 v46, 23, v47
	s_mov_b32 s13, exec_lo
	v_add_nc_u32_e32 v44, v44, v47
	v_xor_b32_e32 v46, 1, v46
	v_and_b32_e32 v68, 0xfffff, v44
	v_add_nc_u32_e32 v44, v68, v47
                                        ; implicit-def: $vgpr68
	v_cmpx_ne_u32_e64 v45, v46
	s_xor_b32 s13, exec_lo, s13
; %bb.4028:                             ;   in Loop: Header=BB6_3357 Depth=2
	v_cmp_lt_u32_e32 vcc_lo, 0xffffff, v44
	v_sub_nc_u32_e32 v68, v45, v46
	v_cndmask_b32_e64 v45, 0, 1, vcc_lo
	v_add_co_ci_u32_e64 v68, null, 0, v68, vcc_lo
	v_lshrrev_b32_e32 v44, v45, v44
; %bb.4029:                             ;   in Loop: Header=BB6_3357 Depth=2
	s_andn2_saveexec_b32 s13, s13
; %bb.4030:                             ;   in Loop: Header=BB6_3357 Depth=2
	v_bfe_u32 v68, v44, 23, 1
; %bb.4031:                             ;   in Loop: Header=BB6_3357 Depth=2
	s_or_b32 exec_lo, exec_lo, s13
	v_lshrrev_b32_e32 v44, 20, v44
	v_cmp_gt_i32_e32 vcc_lo, 16, v68
	v_min_i32_e32 v45, 15, v68
	v_and_b32_sdwa v43, v43, v114 dst_sel:DWORD dst_unused:UNUSED_PAD src0_sel:BYTE_3 src1_sel:DWORD
	v_cndmask_b32_e32 v44, 7, v44, vcc_lo
	v_lshlrev_b32_e32 v45, 3, v45
	v_and_b32_e32 v46, 7, v44
	v_or_b32_e32 v68, v68, v44
	v_or3_b32 v43, v45, v43, v46
	v_cmp_ne_u32_e32 vcc_lo, 0, v68
	v_cndmask_b32_e32 v68, 0, v43, vcc_lo
.LBB6_4032:                             ;   in Loop: Header=BB6_3357 Depth=2
	s_or_b32 exec_lo, exec_lo, s29
.LBB6_4033:                             ;   in Loop: Header=BB6_3357 Depth=2
	s_or_b32 exec_lo, exec_lo, s28
	v_cmp_gt_i16_sdwa s28, v67, v113 src0_sel:BYTE_0 src1_sel:DWORD
	s_mov_b32 s13, 0
	s_and_saveexec_b32 s29, s28
	s_xor_b32 s28, exec_lo, s29
	s_cbranch_execz .LBB6_4559
; %bb.4034:                             ;   in Loop: Header=BB6_3357 Depth=2
	v_cmp_eq_u16_sdwa s40, v67, v114 src0_sel:BYTE_0 src1_sel:DWORD
	s_mov_b32 s13, -1
	s_and_saveexec_b32 s29, s40
; %bb.4035:                             ;   in Loop: Header=BB6_3357 Depth=2
	s_xor_b32 s13, exec_lo, -1
; %bb.4036:                             ;   in Loop: Header=BB6_3357 Depth=2
	s_or_b32 exec_lo, exec_lo, s29
	s_and_b32 s13, s13, exec_lo
	s_or_saveexec_b32 s28, s28
	v_mov_b32_e32 v43, 0x7f800001
	s_xor_b32 exec_lo, exec_lo, s28
	s_cbranch_execnz .LBB6_4560
.LBB6_4037:                             ;   in Loop: Header=BB6_3357 Depth=2
	s_or_b32 exec_lo, exec_lo, s28
	s_and_saveexec_b32 s28, s13
	s_cbranch_execz .LBB6_4039
.LBB6_4038:                             ;   in Loop: Header=BB6_3357 Depth=2
	v_and_b32_e32 v43, 7, v67
	v_lshrrev_b16 v45, 3, v67
	v_ffbh_u32_e32 v44, v43
	v_and_b32_e32 v45, 15, v45
	v_min_u32_e32 v44, 32, v44
	v_cmp_eq_u32_e32 vcc_lo, 0, v45
	v_subrev_nc_u32_e32 v46, 28, v44
	v_sub_nc_u32_e32 v44, 29, v44
	v_lshlrev_b32_e32 v46, v46, v67
	v_lshlrev_b32_e32 v67, 24, v67
	v_cndmask_b32_e32 v44, v45, v44, vcc_lo
	v_and_b32_e32 v46, 7, v46
	v_and_b32_e32 v67, 0x80000000, v67
	v_lshl_add_u32 v44, v44, 23, 0x3b800000
	v_cndmask_b32_e32 v43, v43, v46, vcc_lo
	v_lshlrev_b32_e32 v43, 20, v43
	v_or3_b32 v43, v67, v44, v43
.LBB6_4039:                             ;   in Loop: Header=BB6_3357 Depth=2
	s_or_b32 exec_lo, exec_lo, s28
	s_waitcnt vmcnt(20) lgkmcnt(20)
	v_cmp_gt_i16_sdwa s28, v42, v113 src0_sel:BYTE_0 src1_sel:DWORD
	s_mov_b32 s13, 0
	s_and_saveexec_b32 s29, s28
	s_xor_b32 s28, exec_lo, s29
	s_cbranch_execz .LBB6_4561
; %bb.4040:                             ;   in Loop: Header=BB6_3357 Depth=2
	v_cmp_eq_u16_sdwa s40, v42, v114 src0_sel:BYTE_0 src1_sel:DWORD
	s_mov_b32 s13, -1
	s_and_saveexec_b32 s29, s40
; %bb.4041:                             ;   in Loop: Header=BB6_3357 Depth=2
	s_xor_b32 s13, exec_lo, -1
; %bb.4042:                             ;   in Loop: Header=BB6_3357 Depth=2
	s_or_b32 exec_lo, exec_lo, s29
	s_and_b32 s13, s13, exec_lo
	s_or_saveexec_b32 s28, s28
	v_mov_b32_e32 v67, 0x7f800001
	s_xor_b32 exec_lo, exec_lo, s28
	s_cbranch_execnz .LBB6_4562
.LBB6_4043:                             ;   in Loop: Header=BB6_3357 Depth=2
	s_or_b32 exec_lo, exec_lo, s28
	s_and_saveexec_b32 s28, s13
	s_cbranch_execz .LBB6_4045
.LBB6_4044:                             ;   in Loop: Header=BB6_3357 Depth=2
	v_and_b32_e32 v67, 7, v42
	v_lshrrev_b16 v45, 3, v42
	v_ffbh_u32_e32 v44, v67
	v_and_b32_e32 v45, 15, v45
	v_min_u32_e32 v44, 32, v44
	v_cmp_eq_u32_e32 vcc_lo, 0, v45
	v_subrev_nc_u32_e32 v46, 28, v44
	v_sub_nc_u32_e32 v44, 29, v44
	v_lshlrev_b32_e32 v46, v46, v42
	v_lshlrev_b32_e32 v42, 24, v42
	v_cndmask_b32_e32 v44, v45, v44, vcc_lo
	v_and_b32_e32 v46, 7, v46
	v_and_b32_e32 v42, 0x80000000, v42
	v_lshl_add_u32 v44, v44, 23, 0x3b800000
	v_cndmask_b32_e32 v67, v67, v46, vcc_lo
	v_lshlrev_b32_e32 v67, 20, v67
	v_or3_b32 v67, v42, v44, v67
.LBB6_4045:                             ;   in Loop: Header=BB6_3357 Depth=2
	s_or_b32 exec_lo, exec_lo, s28
	v_add_f32_e32 v42, v43, v67
	v_and_b32_e32 v67, 0x7f800000, v42
	v_cmp_ne_u32_e32 vcc_lo, 0x7f800000, v67
	v_mov_b32_e32 v67, 0x80
	s_and_saveexec_b32 s28, vcc_lo
	s_cbranch_execz .LBB6_4053
; %bb.4046:                             ;   in Loop: Header=BB6_3357 Depth=2
	v_mov_b32_e32 v67, 0
	s_mov_b32 s29, exec_lo
	v_cmpx_ne_u32_e32 0, v42
	s_cbranch_execz .LBB6_4052
; %bb.4047:                             ;   in Loop: Header=BB6_3357 Depth=2
	v_bfe_u32 v67, v42, 23, 8
	v_and_b32_e32 v43, 0x7fffff, v42
	v_sub_nc_u32_e32 v44, 0x78, v67
	v_cmp_gt_u32_e32 vcc_lo, 0x79, v67
	v_or_b32_e32 v45, 0x800000, v43
	v_cndmask_b32_e32 v44, 0, v44, vcc_lo
	v_cmp_eq_u32_e32 vcc_lo, 0, v67
	v_add_nc_u32_e32 v67, 0xffffff89, v67
	v_cndmask_b32_e64 v44, v44, 0x77, vcc_lo
	v_cndmask_b32_e32 v43, v45, v43, vcc_lo
	v_cndmask_b32_e64 v67, v67, 0xffffff8a, vcc_lo
	v_lshl_add_u32 v45, 0x100000, v44, -1
	v_lshrrev_b32_e32 v46, v44, v43
	v_lshlrev_b32_e64 v56, v44, 0x80000
	v_add_nc_u32_e32 v44, v44, v67
	v_and_b32_e32 v43, v45, v43
	v_bfe_u32 v47, v46, 20, 1
	v_cmp_eq_u32_e64 s13, v43, v56
	v_add_nc_u32_e32 v45, -1, v47
	v_cndmask_b32_e64 v43, 0, v45, s13
	v_lshrrev_b32_e32 v45, 23, v46
	s_mov_b32 s13, exec_lo
	v_add_nc_u32_e32 v43, v43, v46
	v_xor_b32_e32 v45, 1, v45
	v_and_b32_e32 v67, 0xfffff, v43
	v_add_nc_u32_e32 v43, v67, v46
                                        ; implicit-def: $vgpr67
	v_cmpx_ne_u32_e64 v44, v45
	s_xor_b32 s13, exec_lo, s13
; %bb.4048:                             ;   in Loop: Header=BB6_3357 Depth=2
	v_cmp_lt_u32_e32 vcc_lo, 0xffffff, v43
	v_sub_nc_u32_e32 v67, v44, v45
	v_cndmask_b32_e64 v44, 0, 1, vcc_lo
	v_add_co_ci_u32_e64 v67, null, 0, v67, vcc_lo
	v_lshrrev_b32_e32 v43, v44, v43
; %bb.4049:                             ;   in Loop: Header=BB6_3357 Depth=2
	s_andn2_saveexec_b32 s13, s13
; %bb.4050:                             ;   in Loop: Header=BB6_3357 Depth=2
	v_bfe_u32 v67, v43, 23, 1
; %bb.4051:                             ;   in Loop: Header=BB6_3357 Depth=2
	s_or_b32 exec_lo, exec_lo, s13
	v_lshrrev_b32_e32 v43, 20, v43
	v_cmp_gt_i32_e32 vcc_lo, 16, v67
	v_min_i32_e32 v44, 15, v67
	v_and_b32_sdwa v42, v42, v114 dst_sel:DWORD dst_unused:UNUSED_PAD src0_sel:BYTE_3 src1_sel:DWORD
	v_cndmask_b32_e32 v43, 7, v43, vcc_lo
	v_lshlrev_b32_e32 v44, 3, v44
	v_and_b32_e32 v45, 7, v43
	v_or_b32_e32 v67, v67, v43
	v_or3_b32 v42, v44, v42, v45
	v_cmp_ne_u32_e32 vcc_lo, 0, v67
	v_cndmask_b32_e32 v67, 0, v42, vcc_lo
.LBB6_4052:                             ;   in Loop: Header=BB6_3357 Depth=2
	s_or_b32 exec_lo, exec_lo, s29
.LBB6_4053:                             ;   in Loop: Header=BB6_3357 Depth=2
	s_or_b32 exec_lo, exec_lo, s28
	v_cmp_gt_i16_sdwa s28, v50, v113 src0_sel:BYTE_0 src1_sel:DWORD
	s_mov_b32 s13, 0
	s_and_saveexec_b32 s29, s28
	s_xor_b32 s28, exec_lo, s29
	s_cbranch_execz .LBB6_4563
; %bb.4054:                             ;   in Loop: Header=BB6_3357 Depth=2
	v_cmp_eq_u16_sdwa s40, v50, v114 src0_sel:BYTE_0 src1_sel:DWORD
	s_mov_b32 s13, -1
	s_and_saveexec_b32 s29, s40
; %bb.4055:                             ;   in Loop: Header=BB6_3357 Depth=2
	s_xor_b32 s13, exec_lo, -1
; %bb.4056:                             ;   in Loop: Header=BB6_3357 Depth=2
	s_or_b32 exec_lo, exec_lo, s29
	s_and_b32 s13, s13, exec_lo
	s_or_saveexec_b32 s28, s28
	v_mov_b32_e32 v42, 0x7f800001
	s_xor_b32 exec_lo, exec_lo, s28
	s_cbranch_execnz .LBB6_4564
.LBB6_4057:                             ;   in Loop: Header=BB6_3357 Depth=2
	s_or_b32 exec_lo, exec_lo, s28
	s_and_saveexec_b32 s28, s13
	s_cbranch_execz .LBB6_4059
.LBB6_4058:                             ;   in Loop: Header=BB6_3357 Depth=2
	v_and_b32_e32 v42, 7, v50
	v_lshrrev_b16 v44, 3, v50
	v_ffbh_u32_e32 v43, v42
	v_and_b32_e32 v44, 15, v44
	v_min_u32_e32 v43, 32, v43
	v_cmp_eq_u32_e32 vcc_lo, 0, v44
	v_subrev_nc_u32_e32 v45, 28, v43
	v_sub_nc_u32_e32 v43, 29, v43
	v_lshlrev_b32_e32 v45, v45, v50
	v_lshlrev_b32_e32 v50, 24, v50
	v_cndmask_b32_e32 v43, v44, v43, vcc_lo
	v_and_b32_e32 v45, 7, v45
	v_and_b32_e32 v50, 0x80000000, v50
	v_lshl_add_u32 v43, v43, 23, 0x3b800000
	v_cndmask_b32_e32 v42, v42, v45, vcc_lo
	v_lshlrev_b32_e32 v42, 20, v42
	v_or3_b32 v42, v50, v43, v42
.LBB6_4059:                             ;   in Loop: Header=BB6_3357 Depth=2
	s_or_b32 exec_lo, exec_lo, s28
	s_waitcnt vmcnt(19) lgkmcnt(19)
	v_cmp_gt_i16_sdwa s28, v41, v113 src0_sel:BYTE_0 src1_sel:DWORD
	s_mov_b32 s13, 0
	s_and_saveexec_b32 s29, s28
	s_xor_b32 s28, exec_lo, s29
	s_cbranch_execz .LBB6_4565
; %bb.4060:                             ;   in Loop: Header=BB6_3357 Depth=2
	v_cmp_eq_u16_sdwa s40, v41, v114 src0_sel:BYTE_0 src1_sel:DWORD
	s_mov_b32 s13, -1
	s_and_saveexec_b32 s29, s40
; %bb.4061:                             ;   in Loop: Header=BB6_3357 Depth=2
	s_xor_b32 s13, exec_lo, -1
; %bb.4062:                             ;   in Loop: Header=BB6_3357 Depth=2
	s_or_b32 exec_lo, exec_lo, s29
	s_and_b32 s13, s13, exec_lo
	s_or_saveexec_b32 s28, s28
	v_mov_b32_e32 v50, 0x7f800001
	s_xor_b32 exec_lo, exec_lo, s28
	s_cbranch_execnz .LBB6_4566
.LBB6_4063:                             ;   in Loop: Header=BB6_3357 Depth=2
	s_or_b32 exec_lo, exec_lo, s28
	s_and_saveexec_b32 s28, s13
	s_cbranch_execz .LBB6_4065
.LBB6_4064:                             ;   in Loop: Header=BB6_3357 Depth=2
	v_and_b32_e32 v50, 7, v41
	v_lshrrev_b16 v44, 3, v41
	v_ffbh_u32_e32 v43, v50
	v_and_b32_e32 v44, 15, v44
	v_min_u32_e32 v43, 32, v43
	v_cmp_eq_u32_e32 vcc_lo, 0, v44
	v_subrev_nc_u32_e32 v45, 28, v43
	v_sub_nc_u32_e32 v43, 29, v43
	v_lshlrev_b32_e32 v45, v45, v41
	v_lshlrev_b32_e32 v41, 24, v41
	v_cndmask_b32_e32 v43, v44, v43, vcc_lo
	v_and_b32_e32 v45, 7, v45
	v_and_b32_e32 v41, 0x80000000, v41
	v_lshl_add_u32 v43, v43, 23, 0x3b800000
	v_cndmask_b32_e32 v50, v50, v45, vcc_lo
	v_lshlrev_b32_e32 v50, 20, v50
	v_or3_b32 v50, v41, v43, v50
.LBB6_4065:                             ;   in Loop: Header=BB6_3357 Depth=2
	s_or_b32 exec_lo, exec_lo, s28
	v_add_f32_e32 v41, v42, v50
	v_and_b32_e32 v50, 0x7f800000, v41
	v_cmp_ne_u32_e32 vcc_lo, 0x7f800000, v50
	v_mov_b32_e32 v50, 0x80
	s_and_saveexec_b32 s28, vcc_lo
	s_cbranch_execz .LBB6_4073
; %bb.4066:                             ;   in Loop: Header=BB6_3357 Depth=2
	v_mov_b32_e32 v50, 0
	s_mov_b32 s29, exec_lo
	v_cmpx_ne_u32_e32 0, v41
	s_cbranch_execz .LBB6_4072
; %bb.4067:                             ;   in Loop: Header=BB6_3357 Depth=2
	v_bfe_u32 v50, v41, 23, 8
	v_and_b32_e32 v42, 0x7fffff, v41
	v_sub_nc_u32_e32 v43, 0x78, v50
	v_cmp_gt_u32_e32 vcc_lo, 0x79, v50
	v_or_b32_e32 v44, 0x800000, v42
	v_cndmask_b32_e32 v43, 0, v43, vcc_lo
	v_cmp_eq_u32_e32 vcc_lo, 0, v50
	v_add_nc_u32_e32 v50, 0xffffff89, v50
	v_cndmask_b32_e64 v43, v43, 0x77, vcc_lo
	v_cndmask_b32_e32 v42, v44, v42, vcc_lo
	v_cndmask_b32_e64 v50, v50, 0xffffff8a, vcc_lo
	v_lshl_add_u32 v44, 0x100000, v43, -1
	v_lshrrev_b32_e32 v45, v43, v42
	v_lshlrev_b32_e64 v47, v43, 0x80000
	v_add_nc_u32_e32 v43, v43, v50
	v_and_b32_e32 v42, v44, v42
	v_bfe_u32 v46, v45, 20, 1
	v_cmp_eq_u32_e64 s13, v42, v47
	v_add_nc_u32_e32 v44, -1, v46
	v_cndmask_b32_e64 v42, 0, v44, s13
	v_lshrrev_b32_e32 v44, 23, v45
	s_mov_b32 s13, exec_lo
	v_add_nc_u32_e32 v42, v42, v45
	v_xor_b32_e32 v44, 1, v44
	v_and_b32_e32 v50, 0xfffff, v42
	v_add_nc_u32_e32 v42, v50, v45
                                        ; implicit-def: $vgpr50
	v_cmpx_ne_u32_e64 v43, v44
	s_xor_b32 s13, exec_lo, s13
; %bb.4068:                             ;   in Loop: Header=BB6_3357 Depth=2
	v_cmp_lt_u32_e32 vcc_lo, 0xffffff, v42
	v_sub_nc_u32_e32 v50, v43, v44
	v_cndmask_b32_e64 v43, 0, 1, vcc_lo
	v_add_co_ci_u32_e64 v50, null, 0, v50, vcc_lo
	v_lshrrev_b32_e32 v42, v43, v42
; %bb.4069:                             ;   in Loop: Header=BB6_3357 Depth=2
	s_andn2_saveexec_b32 s13, s13
; %bb.4070:                             ;   in Loop: Header=BB6_3357 Depth=2
	v_bfe_u32 v50, v42, 23, 1
; %bb.4071:                             ;   in Loop: Header=BB6_3357 Depth=2
	s_or_b32 exec_lo, exec_lo, s13
	v_lshrrev_b32_e32 v42, 20, v42
	v_cmp_gt_i32_e32 vcc_lo, 16, v50
	v_min_i32_e32 v43, 15, v50
	v_and_b32_sdwa v41, v41, v114 dst_sel:DWORD dst_unused:UNUSED_PAD src0_sel:BYTE_3 src1_sel:DWORD
	v_cndmask_b32_e32 v42, 7, v42, vcc_lo
	v_lshlrev_b32_e32 v43, 3, v43
	v_and_b32_e32 v44, 7, v42
	v_or_b32_e32 v50, v50, v42
	v_or3_b32 v41, v43, v41, v44
	v_cmp_ne_u32_e32 vcc_lo, 0, v50
	v_cndmask_b32_e32 v50, 0, v41, vcc_lo
.LBB6_4072:                             ;   in Loop: Header=BB6_3357 Depth=2
	s_or_b32 exec_lo, exec_lo, s29
.LBB6_4073:                             ;   in Loop: Header=BB6_3357 Depth=2
	s_or_b32 exec_lo, exec_lo, s28
	v_cmp_gt_i16_sdwa s28, v49, v113 src0_sel:BYTE_0 src1_sel:DWORD
	s_mov_b32 s13, 0
	s_and_saveexec_b32 s29, s28
	s_xor_b32 s28, exec_lo, s29
	s_cbranch_execz .LBB6_4567
; %bb.4074:                             ;   in Loop: Header=BB6_3357 Depth=2
	v_cmp_eq_u16_sdwa s40, v49, v114 src0_sel:BYTE_0 src1_sel:DWORD
	s_mov_b32 s13, -1
	s_and_saveexec_b32 s29, s40
; %bb.4075:                             ;   in Loop: Header=BB6_3357 Depth=2
	s_xor_b32 s13, exec_lo, -1
; %bb.4076:                             ;   in Loop: Header=BB6_3357 Depth=2
	s_or_b32 exec_lo, exec_lo, s29
	s_and_b32 s13, s13, exec_lo
	s_or_saveexec_b32 s28, s28
	v_mov_b32_e32 v41, 0x7f800001
	s_xor_b32 exec_lo, exec_lo, s28
	s_cbranch_execnz .LBB6_4568
.LBB6_4077:                             ;   in Loop: Header=BB6_3357 Depth=2
	s_or_b32 exec_lo, exec_lo, s28
	s_and_saveexec_b32 s28, s13
	s_cbranch_execz .LBB6_4079
.LBB6_4078:                             ;   in Loop: Header=BB6_3357 Depth=2
	v_and_b32_e32 v41, 7, v49
	v_lshrrev_b16 v43, 3, v49
	v_ffbh_u32_e32 v42, v41
	v_and_b32_e32 v43, 15, v43
	v_min_u32_e32 v42, 32, v42
	v_cmp_eq_u32_e32 vcc_lo, 0, v43
	v_subrev_nc_u32_e32 v44, 28, v42
	v_sub_nc_u32_e32 v42, 29, v42
	v_lshlrev_b32_e32 v44, v44, v49
	v_lshlrev_b32_e32 v49, 24, v49
	v_cndmask_b32_e32 v42, v43, v42, vcc_lo
	v_and_b32_e32 v44, 7, v44
	v_and_b32_e32 v49, 0x80000000, v49
	v_lshl_add_u32 v42, v42, 23, 0x3b800000
	v_cndmask_b32_e32 v41, v41, v44, vcc_lo
	v_lshlrev_b32_e32 v41, 20, v41
	v_or3_b32 v41, v49, v42, v41
.LBB6_4079:                             ;   in Loop: Header=BB6_3357 Depth=2
	s_or_b32 exec_lo, exec_lo, s28
	s_waitcnt vmcnt(18) lgkmcnt(18)
	v_cmp_gt_i16_sdwa s28, v40, v113 src0_sel:BYTE_0 src1_sel:DWORD
	s_mov_b32 s13, 0
	s_and_saveexec_b32 s29, s28
	s_xor_b32 s28, exec_lo, s29
	s_cbranch_execz .LBB6_4569
; %bb.4080:                             ;   in Loop: Header=BB6_3357 Depth=2
	v_cmp_eq_u16_sdwa s40, v40, v114 src0_sel:BYTE_0 src1_sel:DWORD
	s_mov_b32 s13, -1
	s_and_saveexec_b32 s29, s40
; %bb.4081:                             ;   in Loop: Header=BB6_3357 Depth=2
	s_xor_b32 s13, exec_lo, -1
; %bb.4082:                             ;   in Loop: Header=BB6_3357 Depth=2
	s_or_b32 exec_lo, exec_lo, s29
	s_and_b32 s13, s13, exec_lo
	s_or_saveexec_b32 s28, s28
	v_mov_b32_e32 v49, 0x7f800001
	s_xor_b32 exec_lo, exec_lo, s28
	s_cbranch_execnz .LBB6_4570
.LBB6_4083:                             ;   in Loop: Header=BB6_3357 Depth=2
	s_or_b32 exec_lo, exec_lo, s28
	s_and_saveexec_b32 s28, s13
	s_cbranch_execz .LBB6_4085
.LBB6_4084:                             ;   in Loop: Header=BB6_3357 Depth=2
	v_and_b32_e32 v49, 7, v40
	v_lshrrev_b16 v43, 3, v40
	v_ffbh_u32_e32 v42, v49
	v_and_b32_e32 v43, 15, v43
	v_min_u32_e32 v42, 32, v42
	v_cmp_eq_u32_e32 vcc_lo, 0, v43
	v_subrev_nc_u32_e32 v44, 28, v42
	v_sub_nc_u32_e32 v42, 29, v42
	v_lshlrev_b32_e32 v44, v44, v40
	v_lshlrev_b32_e32 v40, 24, v40
	v_cndmask_b32_e32 v42, v43, v42, vcc_lo
	v_and_b32_e32 v44, 7, v44
	v_and_b32_e32 v40, 0x80000000, v40
	v_lshl_add_u32 v42, v42, 23, 0x3b800000
	v_cndmask_b32_e32 v49, v49, v44, vcc_lo
	v_lshlrev_b32_e32 v49, 20, v49
	v_or3_b32 v49, v40, v42, v49
.LBB6_4085:                             ;   in Loop: Header=BB6_3357 Depth=2
	s_or_b32 exec_lo, exec_lo, s28
	v_add_f32_e32 v40, v41, v49
	v_and_b32_e32 v49, 0x7f800000, v40
	v_cmp_ne_u32_e32 vcc_lo, 0x7f800000, v49
	v_mov_b32_e32 v49, 0x80
	s_and_saveexec_b32 s28, vcc_lo
	s_cbranch_execz .LBB6_4093
; %bb.4086:                             ;   in Loop: Header=BB6_3357 Depth=2
	v_mov_b32_e32 v49, 0
	s_mov_b32 s29, exec_lo
	v_cmpx_ne_u32_e32 0, v40
	s_cbranch_execz .LBB6_4092
; %bb.4087:                             ;   in Loop: Header=BB6_3357 Depth=2
	v_bfe_u32 v49, v40, 23, 8
	v_and_b32_e32 v41, 0x7fffff, v40
	v_sub_nc_u32_e32 v42, 0x78, v49
	v_cmp_gt_u32_e32 vcc_lo, 0x79, v49
	v_or_b32_e32 v43, 0x800000, v41
	v_cndmask_b32_e32 v42, 0, v42, vcc_lo
	v_cmp_eq_u32_e32 vcc_lo, 0, v49
	v_add_nc_u32_e32 v49, 0xffffff89, v49
	v_cndmask_b32_e64 v42, v42, 0x77, vcc_lo
	v_cndmask_b32_e32 v41, v43, v41, vcc_lo
	v_cndmask_b32_e64 v49, v49, 0xffffff8a, vcc_lo
	v_lshl_add_u32 v43, 0x100000, v42, -1
	v_lshrrev_b32_e32 v44, v42, v41
	v_lshlrev_b32_e64 v46, v42, 0x80000
	v_add_nc_u32_e32 v42, v42, v49
	v_and_b32_e32 v41, v43, v41
	v_bfe_u32 v45, v44, 20, 1
	v_cmp_eq_u32_e64 s13, v41, v46
	v_add_nc_u32_e32 v43, -1, v45
	v_cndmask_b32_e64 v41, 0, v43, s13
	v_lshrrev_b32_e32 v43, 23, v44
	s_mov_b32 s13, exec_lo
	v_add_nc_u32_e32 v41, v41, v44
	v_xor_b32_e32 v43, 1, v43
	v_and_b32_e32 v49, 0xfffff, v41
	v_add_nc_u32_e32 v41, v49, v44
                                        ; implicit-def: $vgpr49
	v_cmpx_ne_u32_e64 v42, v43
	s_xor_b32 s13, exec_lo, s13
; %bb.4088:                             ;   in Loop: Header=BB6_3357 Depth=2
	v_cmp_lt_u32_e32 vcc_lo, 0xffffff, v41
	v_sub_nc_u32_e32 v49, v42, v43
	v_cndmask_b32_e64 v42, 0, 1, vcc_lo
	v_add_co_ci_u32_e64 v49, null, 0, v49, vcc_lo
	v_lshrrev_b32_e32 v41, v42, v41
; %bb.4089:                             ;   in Loop: Header=BB6_3357 Depth=2
	s_andn2_saveexec_b32 s13, s13
; %bb.4090:                             ;   in Loop: Header=BB6_3357 Depth=2
	v_bfe_u32 v49, v41, 23, 1
; %bb.4091:                             ;   in Loop: Header=BB6_3357 Depth=2
	s_or_b32 exec_lo, exec_lo, s13
	v_lshrrev_b32_e32 v41, 20, v41
	v_cmp_gt_i32_e32 vcc_lo, 16, v49
	v_min_i32_e32 v42, 15, v49
	v_and_b32_sdwa v40, v40, v114 dst_sel:DWORD dst_unused:UNUSED_PAD src0_sel:BYTE_3 src1_sel:DWORD
	v_cndmask_b32_e32 v41, 7, v41, vcc_lo
	v_lshlrev_b32_e32 v42, 3, v42
	v_and_b32_e32 v43, 7, v41
	v_or_b32_e32 v49, v49, v41
	v_or3_b32 v40, v42, v40, v43
	v_cmp_ne_u32_e32 vcc_lo, 0, v49
	v_cndmask_b32_e32 v49, 0, v40, vcc_lo
.LBB6_4092:                             ;   in Loop: Header=BB6_3357 Depth=2
	s_or_b32 exec_lo, exec_lo, s29
.LBB6_4093:                             ;   in Loop: Header=BB6_3357 Depth=2
	s_or_b32 exec_lo, exec_lo, s28
	v_cmp_gt_i16_sdwa s28, v48, v113 src0_sel:BYTE_0 src1_sel:DWORD
	s_mov_b32 s13, 0
	s_and_saveexec_b32 s29, s28
	s_xor_b32 s28, exec_lo, s29
	s_cbranch_execz .LBB6_4571
; %bb.4094:                             ;   in Loop: Header=BB6_3357 Depth=2
	v_cmp_eq_u16_sdwa s40, v48, v114 src0_sel:BYTE_0 src1_sel:DWORD
	s_mov_b32 s13, -1
	s_and_saveexec_b32 s29, s40
; %bb.4095:                             ;   in Loop: Header=BB6_3357 Depth=2
	s_xor_b32 s13, exec_lo, -1
; %bb.4096:                             ;   in Loop: Header=BB6_3357 Depth=2
	s_or_b32 exec_lo, exec_lo, s29
	s_and_b32 s13, s13, exec_lo
	s_or_saveexec_b32 s28, s28
	v_mov_b32_e32 v40, 0x7f800001
	s_xor_b32 exec_lo, exec_lo, s28
	s_cbranch_execnz .LBB6_4572
.LBB6_4097:                             ;   in Loop: Header=BB6_3357 Depth=2
	s_or_b32 exec_lo, exec_lo, s28
	s_and_saveexec_b32 s28, s13
	s_cbranch_execz .LBB6_4099
.LBB6_4098:                             ;   in Loop: Header=BB6_3357 Depth=2
	v_and_b32_e32 v40, 7, v48
	v_lshrrev_b16 v42, 3, v48
	v_ffbh_u32_e32 v41, v40
	v_and_b32_e32 v42, 15, v42
	v_min_u32_e32 v41, 32, v41
	v_cmp_eq_u32_e32 vcc_lo, 0, v42
	v_subrev_nc_u32_e32 v43, 28, v41
	v_sub_nc_u32_e32 v41, 29, v41
	v_lshlrev_b32_e32 v43, v43, v48
	v_lshlrev_b32_e32 v48, 24, v48
	v_cndmask_b32_e32 v41, v42, v41, vcc_lo
	v_and_b32_e32 v43, 7, v43
	v_and_b32_e32 v48, 0x80000000, v48
	v_lshl_add_u32 v41, v41, 23, 0x3b800000
	v_cndmask_b32_e32 v40, v40, v43, vcc_lo
	v_lshlrev_b32_e32 v40, 20, v40
	v_or3_b32 v40, v48, v41, v40
.LBB6_4099:                             ;   in Loop: Header=BB6_3357 Depth=2
	s_or_b32 exec_lo, exec_lo, s28
	s_waitcnt vmcnt(17) lgkmcnt(17)
	v_cmp_gt_i16_sdwa s28, v119, v113 src0_sel:BYTE_0 src1_sel:DWORD
	s_mov_b32 s13, 0
	s_and_saveexec_b32 s29, s28
	s_xor_b32 s28, exec_lo, s29
	s_cbranch_execz .LBB6_4573
; %bb.4100:                             ;   in Loop: Header=BB6_3357 Depth=2
	v_cmp_eq_u16_sdwa s40, v119, v114 src0_sel:BYTE_0 src1_sel:DWORD
	s_mov_b32 s13, -1
	s_and_saveexec_b32 s29, s40
; %bb.4101:                             ;   in Loop: Header=BB6_3357 Depth=2
	s_xor_b32 s13, exec_lo, -1
; %bb.4102:                             ;   in Loop: Header=BB6_3357 Depth=2
	s_or_b32 exec_lo, exec_lo, s29
	s_and_b32 s13, s13, exec_lo
	s_or_saveexec_b32 s28, s28
	v_mov_b32_e32 v48, 0x7f800001
	s_xor_b32 exec_lo, exec_lo, s28
	s_cbranch_execnz .LBB6_4574
.LBB6_4103:                             ;   in Loop: Header=BB6_3357 Depth=2
	s_or_b32 exec_lo, exec_lo, s28
	s_and_saveexec_b32 s28, s13
	s_cbranch_execz .LBB6_4105
.LBB6_4104:                             ;   in Loop: Header=BB6_3357 Depth=2
	v_and_b32_e32 v48, 7, v119
	v_lshrrev_b16 v42, 3, v119
	v_ffbh_u32_e32 v41, v48
	v_and_b32_e32 v42, 15, v42
	v_min_u32_e32 v41, 32, v41
	v_cmp_eq_u32_e32 vcc_lo, 0, v42
	v_subrev_nc_u32_e32 v43, 28, v41
	v_sub_nc_u32_e32 v41, 29, v41
	v_lshlrev_b32_e32 v43, v43, v119
	v_lshlrev_b32_e32 v119, 24, v119
	v_cndmask_b32_e32 v41, v42, v41, vcc_lo
	v_and_b32_e32 v43, 7, v43
	v_and_b32_e32 v119, 0x80000000, v119
	v_lshl_add_u32 v41, v41, 23, 0x3b800000
	v_cndmask_b32_e32 v48, v48, v43, vcc_lo
	v_lshlrev_b32_e32 v48, 20, v48
	v_or3_b32 v48, v119, v41, v48
.LBB6_4105:                             ;   in Loop: Header=BB6_3357 Depth=2
	s_or_b32 exec_lo, exec_lo, s28
	v_add_f32_e32 v119, v40, v48
	v_and_b32_e32 v48, 0x7f800000, v119
	v_cmp_ne_u32_e32 vcc_lo, 0x7f800000, v48
	v_mov_b32_e32 v48, 0x80
	s_and_saveexec_b32 s28, vcc_lo
	s_cbranch_execz .LBB6_4113
; %bb.4106:                             ;   in Loop: Header=BB6_3357 Depth=2
	v_mov_b32_e32 v48, 0
	s_mov_b32 s29, exec_lo
	v_cmpx_ne_u32_e32 0, v119
	s_cbranch_execz .LBB6_4112
; %bb.4107:                             ;   in Loop: Header=BB6_3357 Depth=2
	v_bfe_u32 v48, v119, 23, 8
	v_and_b32_e32 v40, 0x7fffff, v119
	v_sub_nc_u32_e32 v41, 0x78, v48
	v_cmp_gt_u32_e32 vcc_lo, 0x79, v48
	v_or_b32_e32 v42, 0x800000, v40
	v_cndmask_b32_e32 v41, 0, v41, vcc_lo
	v_cmp_eq_u32_e32 vcc_lo, 0, v48
	v_add_nc_u32_e32 v48, 0xffffff89, v48
	v_cndmask_b32_e64 v41, v41, 0x77, vcc_lo
	v_cndmask_b32_e32 v40, v42, v40, vcc_lo
	v_cndmask_b32_e64 v48, v48, 0xffffff8a, vcc_lo
	v_lshl_add_u32 v42, 0x100000, v41, -1
	v_lshrrev_b32_e32 v43, v41, v40
	v_lshlrev_b32_e64 v45, v41, 0x80000
	v_add_nc_u32_e32 v41, v41, v48
	v_and_b32_e32 v40, v42, v40
	v_bfe_u32 v44, v43, 20, 1
	v_cmp_eq_u32_e64 s13, v40, v45
	v_add_nc_u32_e32 v42, -1, v44
	v_cndmask_b32_e64 v40, 0, v42, s13
	v_lshrrev_b32_e32 v42, 23, v43
	s_mov_b32 s13, exec_lo
	v_add_nc_u32_e32 v40, v40, v43
	v_xor_b32_e32 v42, 1, v42
	v_and_b32_e32 v48, 0xfffff, v40
	v_add_nc_u32_e32 v40, v48, v43
                                        ; implicit-def: $vgpr48
	v_cmpx_ne_u32_e64 v41, v42
	s_xor_b32 s13, exec_lo, s13
; %bb.4108:                             ;   in Loop: Header=BB6_3357 Depth=2
	v_cmp_lt_u32_e32 vcc_lo, 0xffffff, v40
	v_sub_nc_u32_e32 v48, v41, v42
	v_cndmask_b32_e64 v41, 0, 1, vcc_lo
	v_add_co_ci_u32_e64 v48, null, 0, v48, vcc_lo
	v_lshrrev_b32_e32 v40, v41, v40
; %bb.4109:                             ;   in Loop: Header=BB6_3357 Depth=2
	s_andn2_saveexec_b32 s13, s13
; %bb.4110:                             ;   in Loop: Header=BB6_3357 Depth=2
	v_bfe_u32 v48, v40, 23, 1
; %bb.4111:                             ;   in Loop: Header=BB6_3357 Depth=2
	s_or_b32 exec_lo, exec_lo, s13
	v_lshrrev_b32_e32 v40, 20, v40
	v_cmp_gt_i32_e32 vcc_lo, 16, v48
	v_min_i32_e32 v41, 15, v48
	v_and_b32_sdwa v119, v119, v114 dst_sel:DWORD dst_unused:UNUSED_PAD src0_sel:BYTE_3 src1_sel:DWORD
	v_cndmask_b32_e32 v40, 7, v40, vcc_lo
	v_lshlrev_b32_e32 v41, 3, v41
	v_and_b32_e32 v42, 7, v40
	v_or_b32_e32 v48, v48, v40
	v_or3_b32 v119, v41, v119, v42
	v_cmp_ne_u32_e32 vcc_lo, 0, v48
	v_cndmask_b32_e32 v48, 0, v119, vcc_lo
.LBB6_4112:                             ;   in Loop: Header=BB6_3357 Depth=2
	s_or_b32 exec_lo, exec_lo, s29
.LBB6_4113:                             ;   in Loop: Header=BB6_3357 Depth=2
	s_or_b32 exec_lo, exec_lo, s28
	v_cmp_gt_i16_sdwa s28, v36, v113 src0_sel:BYTE_0 src1_sel:DWORD
	s_mov_b32 s13, 0
	s_and_saveexec_b32 s29, s28
	s_xor_b32 s28, exec_lo, s29
	s_cbranch_execz .LBB6_4575
; %bb.4114:                             ;   in Loop: Header=BB6_3357 Depth=2
	v_cmp_eq_u16_sdwa s40, v36, v114 src0_sel:BYTE_0 src1_sel:DWORD
	s_mov_b32 s13, -1
	s_and_saveexec_b32 s29, s40
; %bb.4115:                             ;   in Loop: Header=BB6_3357 Depth=2
	s_xor_b32 s13, exec_lo, -1
; %bb.4116:                             ;   in Loop: Header=BB6_3357 Depth=2
	s_or_b32 exec_lo, exec_lo, s29
	s_and_b32 s13, s13, exec_lo
	s_or_saveexec_b32 s28, s28
	v_mov_b32_e32 v119, 0x7f800001
	s_xor_b32 exec_lo, exec_lo, s28
	s_cbranch_execnz .LBB6_4576
.LBB6_4117:                             ;   in Loop: Header=BB6_3357 Depth=2
	s_or_b32 exec_lo, exec_lo, s28
	s_and_saveexec_b32 s28, s13
	s_cbranch_execz .LBB6_4119
.LBB6_4118:                             ;   in Loop: Header=BB6_3357 Depth=2
	v_and_b32_e32 v119, 7, v36
	v_lshrrev_b16 v41, 3, v36
	v_ffbh_u32_e32 v40, v119
	v_and_b32_e32 v41, 15, v41
	v_min_u32_e32 v40, 32, v40
	v_cmp_eq_u32_e32 vcc_lo, 0, v41
	v_subrev_nc_u32_e32 v42, 28, v40
	v_sub_nc_u32_e32 v40, 29, v40
	v_lshlrev_b32_e32 v42, v42, v36
	v_lshlrev_b32_e32 v36, 24, v36
	v_cndmask_b32_e32 v40, v41, v40, vcc_lo
	v_and_b32_e32 v42, 7, v42
	v_and_b32_e32 v36, 0x80000000, v36
	v_lshl_add_u32 v40, v40, 23, 0x3b800000
	v_cndmask_b32_e32 v119, v119, v42, vcc_lo
	v_lshlrev_b32_e32 v119, 20, v119
	v_or3_b32 v119, v36, v40, v119
.LBB6_4119:                             ;   in Loop: Header=BB6_3357 Depth=2
	s_or_b32 exec_lo, exec_lo, s28
	s_waitcnt vmcnt(16) lgkmcnt(16)
	v_cmp_gt_i16_sdwa s28, v112, v113 src0_sel:BYTE_0 src1_sel:DWORD
	s_mov_b32 s13, 0
	s_and_saveexec_b32 s29, s28
	s_xor_b32 s28, exec_lo, s29
	s_cbranch_execz .LBB6_4577
; %bb.4120:                             ;   in Loop: Header=BB6_3357 Depth=2
	v_cmp_eq_u16_sdwa s40, v112, v114 src0_sel:BYTE_0 src1_sel:DWORD
	s_mov_b32 s13, -1
	s_and_saveexec_b32 s29, s40
; %bb.4121:                             ;   in Loop: Header=BB6_3357 Depth=2
	s_xor_b32 s13, exec_lo, -1
; %bb.4122:                             ;   in Loop: Header=BB6_3357 Depth=2
	s_or_b32 exec_lo, exec_lo, s29
	s_and_b32 s13, s13, exec_lo
	s_or_saveexec_b32 s28, s28
	v_mov_b32_e32 v36, 0x7f800001
	s_xor_b32 exec_lo, exec_lo, s28
	s_cbranch_execnz .LBB6_4578
.LBB6_4123:                             ;   in Loop: Header=BB6_3357 Depth=2
	s_or_b32 exec_lo, exec_lo, s28
	s_and_saveexec_b32 s28, s13
	s_cbranch_execz .LBB6_4125
.LBB6_4124:                             ;   in Loop: Header=BB6_3357 Depth=2
	v_and_b32_e32 v36, 7, v112
	v_lshrrev_b16 v41, 3, v112
	v_ffbh_u32_e32 v40, v36
	v_and_b32_e32 v41, 15, v41
	v_min_u32_e32 v40, 32, v40
	v_cmp_eq_u32_e32 vcc_lo, 0, v41
	v_subrev_nc_u32_e32 v42, 28, v40
	v_sub_nc_u32_e32 v40, 29, v40
	v_lshlrev_b32_e32 v42, v42, v112
	v_lshlrev_b32_e32 v112, 24, v112
	v_cndmask_b32_e32 v40, v41, v40, vcc_lo
	v_and_b32_e32 v42, 7, v42
	v_and_b32_e32 v112, 0x80000000, v112
	v_lshl_add_u32 v40, v40, 23, 0x3b800000
	v_cndmask_b32_e32 v36, v36, v42, vcc_lo
	v_lshlrev_b32_e32 v36, 20, v36
	v_or3_b32 v36, v112, v40, v36
.LBB6_4125:                             ;   in Loop: Header=BB6_3357 Depth=2
	s_or_b32 exec_lo, exec_lo, s28
	v_add_f32_e32 v112, v119, v36
	v_and_b32_e32 v36, 0x7f800000, v112
	v_cmp_ne_u32_e32 vcc_lo, 0x7f800000, v36
	v_mov_b32_e32 v36, 0x80
	s_and_saveexec_b32 s28, vcc_lo
	s_cbranch_execz .LBB6_4133
; %bb.4126:                             ;   in Loop: Header=BB6_3357 Depth=2
	v_mov_b32_e32 v36, 0
	s_mov_b32 s29, exec_lo
	v_cmpx_ne_u32_e32 0, v112
	s_cbranch_execz .LBB6_4132
; %bb.4127:                             ;   in Loop: Header=BB6_3357 Depth=2
	v_bfe_u32 v36, v112, 23, 8
	v_and_b32_e32 v119, 0x7fffff, v112
	v_sub_nc_u32_e32 v40, 0x78, v36
	v_cmp_gt_u32_e32 vcc_lo, 0x79, v36
	v_or_b32_e32 v41, 0x800000, v119
	v_cndmask_b32_e32 v40, 0, v40, vcc_lo
	v_cmp_eq_u32_e32 vcc_lo, 0, v36
	v_add_nc_u32_e32 v36, 0xffffff89, v36
	v_cndmask_b32_e64 v40, v40, 0x77, vcc_lo
	v_cndmask_b32_e32 v119, v41, v119, vcc_lo
	v_cndmask_b32_e64 v36, v36, 0xffffff8a, vcc_lo
	v_lshl_add_u32 v41, 0x100000, v40, -1
	v_lshrrev_b32_e32 v42, v40, v119
	v_lshlrev_b32_e64 v44, v40, 0x80000
	v_add_nc_u32_e32 v40, v40, v36
	v_and_b32_e32 v119, v41, v119
	v_bfe_u32 v43, v42, 20, 1
	v_cmp_eq_u32_e64 s13, v119, v44
	v_add_nc_u32_e32 v41, -1, v43
	v_cndmask_b32_e64 v119, 0, v41, s13
	v_lshrrev_b32_e32 v41, 23, v42
	s_mov_b32 s13, exec_lo
	v_add_nc_u32_e32 v119, v119, v42
	v_xor_b32_e32 v41, 1, v41
	v_and_b32_e32 v36, 0xfffff, v119
	v_add_nc_u32_e32 v119, v36, v42
                                        ; implicit-def: $vgpr36
	v_cmpx_ne_u32_e64 v40, v41
	s_xor_b32 s13, exec_lo, s13
; %bb.4128:                             ;   in Loop: Header=BB6_3357 Depth=2
	v_cmp_lt_u32_e32 vcc_lo, 0xffffff, v119
	v_sub_nc_u32_e32 v36, v40, v41
	v_cndmask_b32_e64 v40, 0, 1, vcc_lo
	v_add_co_ci_u32_e64 v36, null, 0, v36, vcc_lo
	v_lshrrev_b32_e32 v119, v40, v119
; %bb.4129:                             ;   in Loop: Header=BB6_3357 Depth=2
	s_andn2_saveexec_b32 s13, s13
; %bb.4130:                             ;   in Loop: Header=BB6_3357 Depth=2
	v_bfe_u32 v36, v119, 23, 1
; %bb.4131:                             ;   in Loop: Header=BB6_3357 Depth=2
	s_or_b32 exec_lo, exec_lo, s13
	v_lshrrev_b32_e32 v119, 20, v119
	v_cmp_gt_i32_e32 vcc_lo, 16, v36
	v_min_i32_e32 v40, 15, v36
	v_and_b32_sdwa v112, v112, v114 dst_sel:DWORD dst_unused:UNUSED_PAD src0_sel:BYTE_3 src1_sel:DWORD
	v_cndmask_b32_e32 v119, 7, v119, vcc_lo
	v_lshlrev_b32_e32 v40, 3, v40
	v_and_b32_e32 v41, 7, v119
	v_or_b32_e32 v36, v36, v119
	v_or3_b32 v112, v40, v112, v41
	v_cmp_ne_u32_e32 vcc_lo, 0, v36
	v_cndmask_b32_e32 v36, 0, v112, vcc_lo
.LBB6_4132:                             ;   in Loop: Header=BB6_3357 Depth=2
	s_or_b32 exec_lo, exec_lo, s29
.LBB6_4133:                             ;   in Loop: Header=BB6_3357 Depth=2
	s_or_b32 exec_lo, exec_lo, s28
	v_cmp_gt_i16_sdwa s28, v35, v113 src0_sel:BYTE_0 src1_sel:DWORD
	s_mov_b32 s13, 0
	s_and_saveexec_b32 s29, s28
	s_xor_b32 s28, exec_lo, s29
	s_cbranch_execz .LBB6_4579
; %bb.4134:                             ;   in Loop: Header=BB6_3357 Depth=2
	v_cmp_eq_u16_sdwa s40, v35, v114 src0_sel:BYTE_0 src1_sel:DWORD
	s_mov_b32 s13, -1
	s_and_saveexec_b32 s29, s40
; %bb.4135:                             ;   in Loop: Header=BB6_3357 Depth=2
	s_xor_b32 s13, exec_lo, -1
; %bb.4136:                             ;   in Loop: Header=BB6_3357 Depth=2
	s_or_b32 exec_lo, exec_lo, s29
	s_and_b32 s13, s13, exec_lo
	s_or_saveexec_b32 s28, s28
	v_mov_b32_e32 v112, 0x7f800001
	s_xor_b32 exec_lo, exec_lo, s28
	s_cbranch_execnz .LBB6_4580
.LBB6_4137:                             ;   in Loop: Header=BB6_3357 Depth=2
	s_or_b32 exec_lo, exec_lo, s28
	s_and_saveexec_b32 s28, s13
	s_cbranch_execz .LBB6_4139
.LBB6_4138:                             ;   in Loop: Header=BB6_3357 Depth=2
	v_and_b32_e32 v112, 7, v35
	v_lshrrev_b16 v40, 3, v35
	v_ffbh_u32_e32 v119, v112
	v_and_b32_e32 v40, 15, v40
	v_min_u32_e32 v119, 32, v119
	v_cmp_eq_u32_e32 vcc_lo, 0, v40
	v_subrev_nc_u32_e32 v41, 28, v119
	v_sub_nc_u32_e32 v119, 29, v119
	v_lshlrev_b32_e32 v41, v41, v35
	v_lshlrev_b32_e32 v35, 24, v35
	v_cndmask_b32_e32 v119, v40, v119, vcc_lo
	v_and_b32_e32 v41, 7, v41
	v_and_b32_e32 v35, 0x80000000, v35
	v_lshl_add_u32 v119, v119, 23, 0x3b800000
	v_cndmask_b32_e32 v112, v112, v41, vcc_lo
	v_lshlrev_b32_e32 v112, 20, v112
	v_or3_b32 v112, v35, v119, v112
.LBB6_4139:                             ;   in Loop: Header=BB6_3357 Depth=2
	s_or_b32 exec_lo, exec_lo, s28
	s_waitcnt vmcnt(15) lgkmcnt(15)
	v_cmp_gt_i16_sdwa s28, v103, v113 src0_sel:BYTE_0 src1_sel:DWORD
	s_mov_b32 s13, 0
	s_and_saveexec_b32 s29, s28
	s_xor_b32 s28, exec_lo, s29
	s_cbranch_execz .LBB6_4581
; %bb.4140:                             ;   in Loop: Header=BB6_3357 Depth=2
	v_cmp_eq_u16_sdwa s40, v103, v114 src0_sel:BYTE_0 src1_sel:DWORD
	s_mov_b32 s13, -1
	s_and_saveexec_b32 s29, s40
; %bb.4141:                             ;   in Loop: Header=BB6_3357 Depth=2
	s_xor_b32 s13, exec_lo, -1
; %bb.4142:                             ;   in Loop: Header=BB6_3357 Depth=2
	s_or_b32 exec_lo, exec_lo, s29
	s_and_b32 s13, s13, exec_lo
	s_or_saveexec_b32 s28, s28
	v_mov_b32_e32 v35, 0x7f800001
	s_xor_b32 exec_lo, exec_lo, s28
	s_cbranch_execnz .LBB6_4582
.LBB6_4143:                             ;   in Loop: Header=BB6_3357 Depth=2
	s_or_b32 exec_lo, exec_lo, s28
	s_and_saveexec_b32 s28, s13
	s_cbranch_execz .LBB6_4145
.LBB6_4144:                             ;   in Loop: Header=BB6_3357 Depth=2
	v_and_b32_e32 v35, 7, v103
	v_lshrrev_b16 v40, 3, v103
	v_ffbh_u32_e32 v119, v35
	v_and_b32_e32 v40, 15, v40
	v_min_u32_e32 v119, 32, v119
	v_cmp_eq_u32_e32 vcc_lo, 0, v40
	v_subrev_nc_u32_e32 v41, 28, v119
	v_sub_nc_u32_e32 v119, 29, v119
	v_lshlrev_b32_e32 v41, v41, v103
	v_lshlrev_b32_e32 v103, 24, v103
	v_cndmask_b32_e32 v119, v40, v119, vcc_lo
	v_and_b32_e32 v41, 7, v41
	v_and_b32_e32 v103, 0x80000000, v103
	v_lshl_add_u32 v119, v119, 23, 0x3b800000
	v_cndmask_b32_e32 v35, v35, v41, vcc_lo
	v_lshlrev_b32_e32 v35, 20, v35
	v_or3_b32 v35, v103, v119, v35
.LBB6_4145:                             ;   in Loop: Header=BB6_3357 Depth=2
	s_or_b32 exec_lo, exec_lo, s28
	v_add_f32_e32 v103, v112, v35
	v_and_b32_e32 v35, 0x7f800000, v103
	v_cmp_ne_u32_e32 vcc_lo, 0x7f800000, v35
	v_mov_b32_e32 v35, 0x80
	s_and_saveexec_b32 s28, vcc_lo
	s_cbranch_execz .LBB6_4153
; %bb.4146:                             ;   in Loop: Header=BB6_3357 Depth=2
	v_mov_b32_e32 v35, 0
	s_mov_b32 s29, exec_lo
	v_cmpx_ne_u32_e32 0, v103
	s_cbranch_execz .LBB6_4152
; %bb.4147:                             ;   in Loop: Header=BB6_3357 Depth=2
	v_bfe_u32 v35, v103, 23, 8
	v_and_b32_e32 v112, 0x7fffff, v103
	v_sub_nc_u32_e32 v119, 0x78, v35
	v_cmp_gt_u32_e32 vcc_lo, 0x79, v35
	v_or_b32_e32 v40, 0x800000, v112
	v_cndmask_b32_e32 v119, 0, v119, vcc_lo
	v_cmp_eq_u32_e32 vcc_lo, 0, v35
	v_add_nc_u32_e32 v35, 0xffffff89, v35
	v_cndmask_b32_e64 v119, v119, 0x77, vcc_lo
	v_cndmask_b32_e32 v112, v40, v112, vcc_lo
	v_cndmask_b32_e64 v35, v35, 0xffffff8a, vcc_lo
	v_lshl_add_u32 v40, 0x100000, v119, -1
	v_lshrrev_b32_e32 v41, v119, v112
	v_lshlrev_b32_e64 v43, v119, 0x80000
	v_add_nc_u32_e32 v119, v119, v35
	v_and_b32_e32 v112, v40, v112
	v_bfe_u32 v42, v41, 20, 1
	v_cmp_eq_u32_e64 s13, v112, v43
	v_add_nc_u32_e32 v40, -1, v42
	v_cndmask_b32_e64 v112, 0, v40, s13
	v_lshrrev_b32_e32 v40, 23, v41
	s_mov_b32 s13, exec_lo
	v_add_nc_u32_e32 v112, v112, v41
	v_xor_b32_e32 v40, 1, v40
	v_and_b32_e32 v35, 0xfffff, v112
	v_add_nc_u32_e32 v112, v35, v41
                                        ; implicit-def: $vgpr35
	v_cmpx_ne_u32_e64 v119, v40
	s_xor_b32 s13, exec_lo, s13
; %bb.4148:                             ;   in Loop: Header=BB6_3357 Depth=2
	v_cmp_lt_u32_e32 vcc_lo, 0xffffff, v112
	v_sub_nc_u32_e32 v35, v119, v40
	v_cndmask_b32_e64 v119, 0, 1, vcc_lo
	v_add_co_ci_u32_e64 v35, null, 0, v35, vcc_lo
	v_lshrrev_b32_e32 v112, v119, v112
; %bb.4149:                             ;   in Loop: Header=BB6_3357 Depth=2
	s_andn2_saveexec_b32 s13, s13
; %bb.4150:                             ;   in Loop: Header=BB6_3357 Depth=2
	v_bfe_u32 v35, v112, 23, 1
; %bb.4151:                             ;   in Loop: Header=BB6_3357 Depth=2
	s_or_b32 exec_lo, exec_lo, s13
	v_lshrrev_b32_e32 v112, 20, v112
	v_cmp_gt_i32_e32 vcc_lo, 16, v35
	v_min_i32_e32 v119, 15, v35
	v_and_b32_sdwa v103, v103, v114 dst_sel:DWORD dst_unused:UNUSED_PAD src0_sel:BYTE_3 src1_sel:DWORD
	v_cndmask_b32_e32 v112, 7, v112, vcc_lo
	v_lshlrev_b32_e32 v119, 3, v119
	v_and_b32_e32 v40, 7, v112
	v_or_b32_e32 v35, v35, v112
	v_or3_b32 v103, v119, v103, v40
	v_cmp_ne_u32_e32 vcc_lo, 0, v35
	v_cndmask_b32_e32 v35, 0, v103, vcc_lo
.LBB6_4152:                             ;   in Loop: Header=BB6_3357 Depth=2
	s_or_b32 exec_lo, exec_lo, s29
.LBB6_4153:                             ;   in Loop: Header=BB6_3357 Depth=2
	s_or_b32 exec_lo, exec_lo, s28
	v_cmp_gt_i16_sdwa s28, v33, v113 src0_sel:BYTE_0 src1_sel:DWORD
	s_mov_b32 s13, 0
	s_and_saveexec_b32 s29, s28
	s_xor_b32 s28, exec_lo, s29
	s_cbranch_execz .LBB6_4583
; %bb.4154:                             ;   in Loop: Header=BB6_3357 Depth=2
	v_cmp_eq_u16_sdwa s40, v33, v114 src0_sel:BYTE_0 src1_sel:DWORD
	s_mov_b32 s13, -1
	s_and_saveexec_b32 s29, s40
; %bb.4155:                             ;   in Loop: Header=BB6_3357 Depth=2
	s_xor_b32 s13, exec_lo, -1
; %bb.4156:                             ;   in Loop: Header=BB6_3357 Depth=2
	s_or_b32 exec_lo, exec_lo, s29
	s_and_b32 s13, s13, exec_lo
	s_or_saveexec_b32 s28, s28
	v_mov_b32_e32 v103, 0x7f800001
	s_xor_b32 exec_lo, exec_lo, s28
	s_cbranch_execnz .LBB6_4584
.LBB6_4157:                             ;   in Loop: Header=BB6_3357 Depth=2
	s_or_b32 exec_lo, exec_lo, s28
	s_and_saveexec_b32 s28, s13
	s_cbranch_execz .LBB6_4159
.LBB6_4158:                             ;   in Loop: Header=BB6_3357 Depth=2
	v_and_b32_e32 v103, 7, v33
	v_lshrrev_b16 v119, 3, v33
	v_ffbh_u32_e32 v112, v103
	v_and_b32_e32 v119, 15, v119
	v_min_u32_e32 v112, 32, v112
	v_cmp_eq_u32_e32 vcc_lo, 0, v119
	v_subrev_nc_u32_e32 v40, 28, v112
	v_sub_nc_u32_e32 v112, 29, v112
	v_lshlrev_b32_e32 v40, v40, v33
	v_lshlrev_b32_e32 v33, 24, v33
	v_cndmask_b32_e32 v112, v119, v112, vcc_lo
	v_and_b32_e32 v40, 7, v40
	v_and_b32_e32 v33, 0x80000000, v33
	v_lshl_add_u32 v112, v112, 23, 0x3b800000
	v_cndmask_b32_e32 v103, v103, v40, vcc_lo
	v_lshlrev_b32_e32 v103, 20, v103
	v_or3_b32 v103, v33, v112, v103
.LBB6_4159:                             ;   in Loop: Header=BB6_3357 Depth=2
	s_or_b32 exec_lo, exec_lo, s28
	s_waitcnt vmcnt(14) lgkmcnt(14)
	v_cmp_gt_i16_sdwa s28, v98, v113 src0_sel:BYTE_0 src1_sel:DWORD
	s_mov_b32 s13, 0
	s_and_saveexec_b32 s29, s28
	s_xor_b32 s28, exec_lo, s29
	s_cbranch_execz .LBB6_4585
; %bb.4160:                             ;   in Loop: Header=BB6_3357 Depth=2
	v_cmp_eq_u16_sdwa s40, v98, v114 src0_sel:BYTE_0 src1_sel:DWORD
	s_mov_b32 s13, -1
	s_and_saveexec_b32 s29, s40
; %bb.4161:                             ;   in Loop: Header=BB6_3357 Depth=2
	s_xor_b32 s13, exec_lo, -1
; %bb.4162:                             ;   in Loop: Header=BB6_3357 Depth=2
	s_or_b32 exec_lo, exec_lo, s29
	s_and_b32 s13, s13, exec_lo
	s_or_saveexec_b32 s28, s28
	v_mov_b32_e32 v33, 0x7f800001
	s_xor_b32 exec_lo, exec_lo, s28
	s_cbranch_execnz .LBB6_4586
.LBB6_4163:                             ;   in Loop: Header=BB6_3357 Depth=2
	s_or_b32 exec_lo, exec_lo, s28
	s_and_saveexec_b32 s28, s13
	s_cbranch_execz .LBB6_4165
.LBB6_4164:                             ;   in Loop: Header=BB6_3357 Depth=2
	v_and_b32_e32 v33, 7, v98
	v_lshrrev_b16 v119, 3, v98
	v_ffbh_u32_e32 v112, v33
	v_and_b32_e32 v119, 15, v119
	v_min_u32_e32 v112, 32, v112
	v_cmp_eq_u32_e32 vcc_lo, 0, v119
	v_subrev_nc_u32_e32 v40, 28, v112
	v_sub_nc_u32_e32 v112, 29, v112
	v_lshlrev_b32_e32 v40, v40, v98
	v_lshlrev_b32_e32 v98, 24, v98
	v_cndmask_b32_e32 v112, v119, v112, vcc_lo
	v_and_b32_e32 v40, 7, v40
	v_and_b32_e32 v98, 0x80000000, v98
	v_lshl_add_u32 v112, v112, 23, 0x3b800000
	v_cndmask_b32_e32 v33, v33, v40, vcc_lo
	v_lshlrev_b32_e32 v33, 20, v33
	v_or3_b32 v33, v98, v112, v33
.LBB6_4165:                             ;   in Loop: Header=BB6_3357 Depth=2
	s_or_b32 exec_lo, exec_lo, s28
	v_add_f32_e32 v98, v103, v33
	v_and_b32_e32 v33, 0x7f800000, v98
	v_cmp_ne_u32_e32 vcc_lo, 0x7f800000, v33
	v_mov_b32_e32 v33, 0x80
	s_and_saveexec_b32 s28, vcc_lo
	s_cbranch_execz .LBB6_4173
; %bb.4166:                             ;   in Loop: Header=BB6_3357 Depth=2
	v_mov_b32_e32 v33, 0
	s_mov_b32 s29, exec_lo
	v_cmpx_ne_u32_e32 0, v98
	s_cbranch_execz .LBB6_4172
; %bb.4167:                             ;   in Loop: Header=BB6_3357 Depth=2
	v_bfe_u32 v33, v98, 23, 8
	v_and_b32_e32 v103, 0x7fffff, v98
	v_sub_nc_u32_e32 v112, 0x78, v33
	v_cmp_gt_u32_e32 vcc_lo, 0x79, v33
	v_or_b32_e32 v119, 0x800000, v103
	v_cndmask_b32_e32 v112, 0, v112, vcc_lo
	v_cmp_eq_u32_e32 vcc_lo, 0, v33
	v_add_nc_u32_e32 v33, 0xffffff89, v33
	v_cndmask_b32_e64 v112, v112, 0x77, vcc_lo
	v_cndmask_b32_e32 v103, v119, v103, vcc_lo
	v_cndmask_b32_e64 v33, v33, 0xffffff8a, vcc_lo
	v_lshl_add_u32 v119, 0x100000, v112, -1
	v_lshrrev_b32_e32 v40, v112, v103
	v_lshlrev_b32_e64 v42, v112, 0x80000
	v_add_nc_u32_e32 v112, v112, v33
	v_and_b32_e32 v103, v119, v103
	v_bfe_u32 v41, v40, 20, 1
	v_cmp_eq_u32_e64 s13, v103, v42
	v_add_nc_u32_e32 v119, -1, v41
	v_cndmask_b32_e64 v103, 0, v119, s13
	v_lshrrev_b32_e32 v119, 23, v40
	s_mov_b32 s13, exec_lo
	v_add_nc_u32_e32 v103, v103, v40
	v_xor_b32_e32 v119, 1, v119
	v_and_b32_e32 v33, 0xfffff, v103
	v_add_nc_u32_e32 v103, v33, v40
                                        ; implicit-def: $vgpr33
	v_cmpx_ne_u32_e64 v112, v119
	s_xor_b32 s13, exec_lo, s13
; %bb.4168:                             ;   in Loop: Header=BB6_3357 Depth=2
	v_cmp_lt_u32_e32 vcc_lo, 0xffffff, v103
	v_sub_nc_u32_e32 v33, v112, v119
	v_cndmask_b32_e64 v112, 0, 1, vcc_lo
	v_add_co_ci_u32_e64 v33, null, 0, v33, vcc_lo
	v_lshrrev_b32_e32 v103, v112, v103
; %bb.4169:                             ;   in Loop: Header=BB6_3357 Depth=2
	s_andn2_saveexec_b32 s13, s13
; %bb.4170:                             ;   in Loop: Header=BB6_3357 Depth=2
	v_bfe_u32 v33, v103, 23, 1
; %bb.4171:                             ;   in Loop: Header=BB6_3357 Depth=2
	s_or_b32 exec_lo, exec_lo, s13
	v_lshrrev_b32_e32 v103, 20, v103
	v_cmp_gt_i32_e32 vcc_lo, 16, v33
	v_min_i32_e32 v112, 15, v33
	v_and_b32_sdwa v98, v98, v114 dst_sel:DWORD dst_unused:UNUSED_PAD src0_sel:BYTE_3 src1_sel:DWORD
	v_cndmask_b32_e32 v103, 7, v103, vcc_lo
	v_lshlrev_b32_e32 v112, 3, v112
	v_and_b32_e32 v119, 7, v103
	v_or_b32_e32 v33, v33, v103
	v_or3_b32 v98, v112, v98, v119
	v_cmp_ne_u32_e32 vcc_lo, 0, v33
	v_cndmask_b32_e32 v33, 0, v98, vcc_lo
.LBB6_4172:                             ;   in Loop: Header=BB6_3357 Depth=2
	s_or_b32 exec_lo, exec_lo, s29
.LBB6_4173:                             ;   in Loop: Header=BB6_3357 Depth=2
	s_or_b32 exec_lo, exec_lo, s28
	v_cmp_gt_i16_sdwa s28, v31, v113 src0_sel:BYTE_0 src1_sel:DWORD
	s_mov_b32 s13, 0
	s_and_saveexec_b32 s29, s28
	s_xor_b32 s28, exec_lo, s29
	s_cbranch_execz .LBB6_4587
; %bb.4174:                             ;   in Loop: Header=BB6_3357 Depth=2
	v_cmp_eq_u16_sdwa s40, v31, v114 src0_sel:BYTE_0 src1_sel:DWORD
	s_mov_b32 s13, -1
	s_and_saveexec_b32 s29, s40
; %bb.4175:                             ;   in Loop: Header=BB6_3357 Depth=2
	s_xor_b32 s13, exec_lo, -1
; %bb.4176:                             ;   in Loop: Header=BB6_3357 Depth=2
	s_or_b32 exec_lo, exec_lo, s29
	s_and_b32 s13, s13, exec_lo
	s_or_saveexec_b32 s28, s28
	v_mov_b32_e32 v98, 0x7f800001
	s_xor_b32 exec_lo, exec_lo, s28
	s_cbranch_execnz .LBB6_4588
.LBB6_4177:                             ;   in Loop: Header=BB6_3357 Depth=2
	s_or_b32 exec_lo, exec_lo, s28
	s_and_saveexec_b32 s28, s13
	s_cbranch_execz .LBB6_4179
.LBB6_4178:                             ;   in Loop: Header=BB6_3357 Depth=2
	v_and_b32_e32 v98, 7, v31
	v_lshrrev_b16 v112, 3, v31
	v_ffbh_u32_e32 v103, v98
	v_and_b32_e32 v112, 15, v112
	v_min_u32_e32 v103, 32, v103
	v_cmp_eq_u32_e32 vcc_lo, 0, v112
	v_subrev_nc_u32_e32 v119, 28, v103
	v_sub_nc_u32_e32 v103, 29, v103
	v_lshlrev_b32_e32 v119, v119, v31
	v_lshlrev_b32_e32 v31, 24, v31
	v_cndmask_b32_e32 v103, v112, v103, vcc_lo
	v_and_b32_e32 v119, 7, v119
	v_and_b32_e32 v31, 0x80000000, v31
	v_lshl_add_u32 v103, v103, 23, 0x3b800000
	v_cndmask_b32_e32 v98, v98, v119, vcc_lo
	v_lshlrev_b32_e32 v98, 20, v98
	v_or3_b32 v98, v31, v103, v98
.LBB6_4179:                             ;   in Loop: Header=BB6_3357 Depth=2
	s_or_b32 exec_lo, exec_lo, s28
	s_waitcnt vmcnt(13) lgkmcnt(13)
	v_cmp_gt_i16_sdwa s28, v96, v113 src0_sel:BYTE_0 src1_sel:DWORD
	s_mov_b32 s13, 0
	s_and_saveexec_b32 s29, s28
	s_xor_b32 s28, exec_lo, s29
	s_cbranch_execz .LBB6_4589
; %bb.4180:                             ;   in Loop: Header=BB6_3357 Depth=2
	v_cmp_eq_u16_sdwa s40, v96, v114 src0_sel:BYTE_0 src1_sel:DWORD
	s_mov_b32 s13, -1
	s_and_saveexec_b32 s29, s40
; %bb.4181:                             ;   in Loop: Header=BB6_3357 Depth=2
	s_xor_b32 s13, exec_lo, -1
; %bb.4182:                             ;   in Loop: Header=BB6_3357 Depth=2
	s_or_b32 exec_lo, exec_lo, s29
	s_and_b32 s13, s13, exec_lo
	s_or_saveexec_b32 s28, s28
	v_mov_b32_e32 v31, 0x7f800001
	s_xor_b32 exec_lo, exec_lo, s28
	s_cbranch_execnz .LBB6_4590
.LBB6_4183:                             ;   in Loop: Header=BB6_3357 Depth=2
	s_or_b32 exec_lo, exec_lo, s28
	s_and_saveexec_b32 s28, s13
	s_cbranch_execz .LBB6_4185
.LBB6_4184:                             ;   in Loop: Header=BB6_3357 Depth=2
	v_and_b32_e32 v31, 7, v96
	v_lshrrev_b16 v112, 3, v96
	v_ffbh_u32_e32 v103, v31
	v_and_b32_e32 v112, 15, v112
	v_min_u32_e32 v103, 32, v103
	v_cmp_eq_u32_e32 vcc_lo, 0, v112
	v_subrev_nc_u32_e32 v119, 28, v103
	v_sub_nc_u32_e32 v103, 29, v103
	v_lshlrev_b32_e32 v119, v119, v96
	v_lshlrev_b32_e32 v96, 24, v96
	v_cndmask_b32_e32 v103, v112, v103, vcc_lo
	v_and_b32_e32 v119, 7, v119
	v_and_b32_e32 v96, 0x80000000, v96
	v_lshl_add_u32 v103, v103, 23, 0x3b800000
	v_cndmask_b32_e32 v31, v31, v119, vcc_lo
	v_lshlrev_b32_e32 v31, 20, v31
	v_or3_b32 v31, v96, v103, v31
.LBB6_4185:                             ;   in Loop: Header=BB6_3357 Depth=2
	s_or_b32 exec_lo, exec_lo, s28
	v_add_f32_e32 v96, v98, v31
	v_and_b32_e32 v31, 0x7f800000, v96
	v_cmp_ne_u32_e32 vcc_lo, 0x7f800000, v31
	v_mov_b32_e32 v31, 0x80
	s_and_saveexec_b32 s28, vcc_lo
	s_cbranch_execz .LBB6_4193
; %bb.4186:                             ;   in Loop: Header=BB6_3357 Depth=2
	v_mov_b32_e32 v31, 0
	s_mov_b32 s29, exec_lo
	v_cmpx_ne_u32_e32 0, v96
	s_cbranch_execz .LBB6_4192
; %bb.4187:                             ;   in Loop: Header=BB6_3357 Depth=2
	v_bfe_u32 v31, v96, 23, 8
	v_and_b32_e32 v98, 0x7fffff, v96
	v_sub_nc_u32_e32 v103, 0x78, v31
	v_cmp_gt_u32_e32 vcc_lo, 0x79, v31
	v_or_b32_e32 v112, 0x800000, v98
	v_cndmask_b32_e32 v103, 0, v103, vcc_lo
	v_cmp_eq_u32_e32 vcc_lo, 0, v31
	v_add_nc_u32_e32 v31, 0xffffff89, v31
	v_cndmask_b32_e64 v103, v103, 0x77, vcc_lo
	v_cndmask_b32_e32 v98, v112, v98, vcc_lo
	v_cndmask_b32_e64 v31, v31, 0xffffff8a, vcc_lo
	v_lshl_add_u32 v112, 0x100000, v103, -1
	v_lshrrev_b32_e32 v119, v103, v98
	v_lshlrev_b32_e64 v41, v103, 0x80000
	v_add_nc_u32_e32 v103, v103, v31
	v_and_b32_e32 v98, v112, v98
	v_bfe_u32 v40, v119, 20, 1
	v_cmp_eq_u32_e64 s13, v98, v41
	v_add_nc_u32_e32 v112, -1, v40
	v_cndmask_b32_e64 v98, 0, v112, s13
	v_lshrrev_b32_e32 v112, 23, v119
	s_mov_b32 s13, exec_lo
	v_add_nc_u32_e32 v98, v98, v119
	v_xor_b32_e32 v112, 1, v112
	v_and_b32_e32 v31, 0xfffff, v98
	v_add_nc_u32_e32 v98, v31, v119
                                        ; implicit-def: $vgpr31
	v_cmpx_ne_u32_e64 v103, v112
	s_xor_b32 s13, exec_lo, s13
; %bb.4188:                             ;   in Loop: Header=BB6_3357 Depth=2
	v_cmp_lt_u32_e32 vcc_lo, 0xffffff, v98
	v_sub_nc_u32_e32 v31, v103, v112
	v_cndmask_b32_e64 v103, 0, 1, vcc_lo
	v_add_co_ci_u32_e64 v31, null, 0, v31, vcc_lo
	v_lshrrev_b32_e32 v98, v103, v98
; %bb.4189:                             ;   in Loop: Header=BB6_3357 Depth=2
	s_andn2_saveexec_b32 s13, s13
; %bb.4190:                             ;   in Loop: Header=BB6_3357 Depth=2
	v_bfe_u32 v31, v98, 23, 1
; %bb.4191:                             ;   in Loop: Header=BB6_3357 Depth=2
	s_or_b32 exec_lo, exec_lo, s13
	v_lshrrev_b32_e32 v98, 20, v98
	v_cmp_gt_i32_e32 vcc_lo, 16, v31
	v_min_i32_e32 v103, 15, v31
	v_and_b32_sdwa v96, v96, v114 dst_sel:DWORD dst_unused:UNUSED_PAD src0_sel:BYTE_3 src1_sel:DWORD
	v_cndmask_b32_e32 v98, 7, v98, vcc_lo
	v_lshlrev_b32_e32 v103, 3, v103
	v_and_b32_e32 v112, 7, v98
	v_or_b32_e32 v31, v31, v98
	v_or3_b32 v96, v103, v96, v112
	v_cmp_ne_u32_e32 vcc_lo, 0, v31
	v_cndmask_b32_e32 v31, 0, v96, vcc_lo
.LBB6_4192:                             ;   in Loop: Header=BB6_3357 Depth=2
	s_or_b32 exec_lo, exec_lo, s29
.LBB6_4193:                             ;   in Loop: Header=BB6_3357 Depth=2
	s_or_b32 exec_lo, exec_lo, s28
	v_cmp_gt_i16_sdwa s28, v30, v113 src0_sel:BYTE_0 src1_sel:DWORD
	s_mov_b32 s13, 0
	s_and_saveexec_b32 s29, s28
	s_xor_b32 s28, exec_lo, s29
	s_cbranch_execz .LBB6_4591
; %bb.4194:                             ;   in Loop: Header=BB6_3357 Depth=2
	v_cmp_eq_u16_sdwa s40, v30, v114 src0_sel:BYTE_0 src1_sel:DWORD
	s_mov_b32 s13, -1
	s_and_saveexec_b32 s29, s40
; %bb.4195:                             ;   in Loop: Header=BB6_3357 Depth=2
	s_xor_b32 s13, exec_lo, -1
; %bb.4196:                             ;   in Loop: Header=BB6_3357 Depth=2
	s_or_b32 exec_lo, exec_lo, s29
	s_and_b32 s13, s13, exec_lo
	s_or_saveexec_b32 s28, s28
	v_mov_b32_e32 v96, 0x7f800001
	s_xor_b32 exec_lo, exec_lo, s28
	s_cbranch_execnz .LBB6_4592
.LBB6_4197:                             ;   in Loop: Header=BB6_3357 Depth=2
	s_or_b32 exec_lo, exec_lo, s28
	s_and_saveexec_b32 s28, s13
	s_cbranch_execz .LBB6_4199
.LBB6_4198:                             ;   in Loop: Header=BB6_3357 Depth=2
	v_and_b32_e32 v96, 7, v30
	v_lshrrev_b16 v103, 3, v30
	v_ffbh_u32_e32 v98, v96
	v_and_b32_e32 v103, 15, v103
	v_min_u32_e32 v98, 32, v98
	v_cmp_eq_u32_e32 vcc_lo, 0, v103
	v_subrev_nc_u32_e32 v112, 28, v98
	v_sub_nc_u32_e32 v98, 29, v98
	v_lshlrev_b32_e32 v112, v112, v30
	v_lshlrev_b32_e32 v30, 24, v30
	v_cndmask_b32_e32 v98, v103, v98, vcc_lo
	v_and_b32_e32 v112, 7, v112
	v_and_b32_e32 v30, 0x80000000, v30
	v_lshl_add_u32 v98, v98, 23, 0x3b800000
	v_cndmask_b32_e32 v96, v96, v112, vcc_lo
	v_lshlrev_b32_e32 v96, 20, v96
	v_or3_b32 v96, v30, v98, v96
.LBB6_4199:                             ;   in Loop: Header=BB6_3357 Depth=2
	s_or_b32 exec_lo, exec_lo, s28
	s_waitcnt vmcnt(12) lgkmcnt(12)
	v_cmp_gt_i16_sdwa s28, v87, v113 src0_sel:BYTE_0 src1_sel:DWORD
	s_mov_b32 s13, 0
	s_and_saveexec_b32 s29, s28
	s_xor_b32 s28, exec_lo, s29
	s_cbranch_execz .LBB6_4593
; %bb.4200:                             ;   in Loop: Header=BB6_3357 Depth=2
	v_cmp_eq_u16_sdwa s40, v87, v114 src0_sel:BYTE_0 src1_sel:DWORD
	s_mov_b32 s13, -1
	s_and_saveexec_b32 s29, s40
; %bb.4201:                             ;   in Loop: Header=BB6_3357 Depth=2
	s_xor_b32 s13, exec_lo, -1
; %bb.4202:                             ;   in Loop: Header=BB6_3357 Depth=2
	s_or_b32 exec_lo, exec_lo, s29
	s_and_b32 s13, s13, exec_lo
	s_or_saveexec_b32 s28, s28
	v_mov_b32_e32 v30, 0x7f800001
	s_xor_b32 exec_lo, exec_lo, s28
	s_cbranch_execnz .LBB6_4594
.LBB6_4203:                             ;   in Loop: Header=BB6_3357 Depth=2
	s_or_b32 exec_lo, exec_lo, s28
	s_and_saveexec_b32 s28, s13
	s_cbranch_execz .LBB6_4205
.LBB6_4204:                             ;   in Loop: Header=BB6_3357 Depth=2
	v_and_b32_e32 v30, 7, v87
	v_lshrrev_b16 v103, 3, v87
	v_ffbh_u32_e32 v98, v30
	v_and_b32_e32 v103, 15, v103
	v_min_u32_e32 v98, 32, v98
	v_cmp_eq_u32_e32 vcc_lo, 0, v103
	v_subrev_nc_u32_e32 v112, 28, v98
	v_sub_nc_u32_e32 v98, 29, v98
	v_lshlrev_b32_e32 v112, v112, v87
	v_lshlrev_b32_e32 v87, 24, v87
	v_cndmask_b32_e32 v98, v103, v98, vcc_lo
	v_and_b32_e32 v112, 7, v112
	v_and_b32_e32 v87, 0x80000000, v87
	v_lshl_add_u32 v98, v98, 23, 0x3b800000
	v_cndmask_b32_e32 v30, v30, v112, vcc_lo
	v_lshlrev_b32_e32 v30, 20, v30
	v_or3_b32 v30, v87, v98, v30
.LBB6_4205:                             ;   in Loop: Header=BB6_3357 Depth=2
	s_or_b32 exec_lo, exec_lo, s28
	v_add_f32_e32 v87, v96, v30
	v_and_b32_e32 v30, 0x7f800000, v87
	v_cmp_ne_u32_e32 vcc_lo, 0x7f800000, v30
	v_mov_b32_e32 v30, 0x80
	s_and_saveexec_b32 s28, vcc_lo
	s_cbranch_execz .LBB6_4213
; %bb.4206:                             ;   in Loop: Header=BB6_3357 Depth=2
	v_mov_b32_e32 v30, 0
	s_mov_b32 s29, exec_lo
	v_cmpx_ne_u32_e32 0, v87
	s_cbranch_execz .LBB6_4212
; %bb.4207:                             ;   in Loop: Header=BB6_3357 Depth=2
	v_bfe_u32 v30, v87, 23, 8
	v_and_b32_e32 v96, 0x7fffff, v87
	v_sub_nc_u32_e32 v98, 0x78, v30
	v_cmp_gt_u32_e32 vcc_lo, 0x79, v30
	v_or_b32_e32 v103, 0x800000, v96
	v_cndmask_b32_e32 v98, 0, v98, vcc_lo
	v_cmp_eq_u32_e32 vcc_lo, 0, v30
	v_add_nc_u32_e32 v30, 0xffffff89, v30
	v_cndmask_b32_e64 v98, v98, 0x77, vcc_lo
	v_cndmask_b32_e32 v96, v103, v96, vcc_lo
	v_cndmask_b32_e64 v30, v30, 0xffffff8a, vcc_lo
	v_lshl_add_u32 v103, 0x100000, v98, -1
	v_lshrrev_b32_e32 v112, v98, v96
	v_lshlrev_b32_e64 v40, v98, 0x80000
	v_add_nc_u32_e32 v98, v98, v30
	v_and_b32_e32 v96, v103, v96
	v_bfe_u32 v119, v112, 20, 1
	v_cmp_eq_u32_e64 s13, v96, v40
	v_add_nc_u32_e32 v103, -1, v119
	v_cndmask_b32_e64 v96, 0, v103, s13
	v_lshrrev_b32_e32 v103, 23, v112
	s_mov_b32 s13, exec_lo
	v_add_nc_u32_e32 v96, v96, v112
	v_xor_b32_e32 v103, 1, v103
	v_and_b32_e32 v30, 0xfffff, v96
	v_add_nc_u32_e32 v96, v30, v112
                                        ; implicit-def: $vgpr30
	v_cmpx_ne_u32_e64 v98, v103
	s_xor_b32 s13, exec_lo, s13
; %bb.4208:                             ;   in Loop: Header=BB6_3357 Depth=2
	v_cmp_lt_u32_e32 vcc_lo, 0xffffff, v96
	v_sub_nc_u32_e32 v30, v98, v103
	v_cndmask_b32_e64 v98, 0, 1, vcc_lo
	v_add_co_ci_u32_e64 v30, null, 0, v30, vcc_lo
	v_lshrrev_b32_e32 v96, v98, v96
; %bb.4209:                             ;   in Loop: Header=BB6_3357 Depth=2
	s_andn2_saveexec_b32 s13, s13
; %bb.4210:                             ;   in Loop: Header=BB6_3357 Depth=2
	v_bfe_u32 v30, v96, 23, 1
; %bb.4211:                             ;   in Loop: Header=BB6_3357 Depth=2
	s_or_b32 exec_lo, exec_lo, s13
	v_lshrrev_b32_e32 v96, 20, v96
	v_cmp_gt_i32_e32 vcc_lo, 16, v30
	v_min_i32_e32 v98, 15, v30
	v_and_b32_sdwa v87, v87, v114 dst_sel:DWORD dst_unused:UNUSED_PAD src0_sel:BYTE_3 src1_sel:DWORD
	v_cndmask_b32_e32 v96, 7, v96, vcc_lo
	v_lshlrev_b32_e32 v98, 3, v98
	v_and_b32_e32 v103, 7, v96
	v_or_b32_e32 v30, v30, v96
	v_or3_b32 v87, v98, v87, v103
	v_cmp_ne_u32_e32 vcc_lo, 0, v30
	v_cndmask_b32_e32 v30, 0, v87, vcc_lo
.LBB6_4212:                             ;   in Loop: Header=BB6_3357 Depth=2
	s_or_b32 exec_lo, exec_lo, s29
.LBB6_4213:                             ;   in Loop: Header=BB6_3357 Depth=2
	s_or_b32 exec_lo, exec_lo, s28
	v_cmp_gt_i16_sdwa s28, v29, v113 src0_sel:BYTE_0 src1_sel:DWORD
	s_mov_b32 s13, 0
	s_and_saveexec_b32 s29, s28
	s_xor_b32 s28, exec_lo, s29
	s_cbranch_execz .LBB6_4595
; %bb.4214:                             ;   in Loop: Header=BB6_3357 Depth=2
	v_cmp_eq_u16_sdwa s40, v29, v114 src0_sel:BYTE_0 src1_sel:DWORD
	s_mov_b32 s13, -1
	s_and_saveexec_b32 s29, s40
; %bb.4215:                             ;   in Loop: Header=BB6_3357 Depth=2
	s_xor_b32 s13, exec_lo, -1
; %bb.4216:                             ;   in Loop: Header=BB6_3357 Depth=2
	s_or_b32 exec_lo, exec_lo, s29
	s_and_b32 s13, s13, exec_lo
	s_or_saveexec_b32 s28, s28
	v_mov_b32_e32 v87, 0x7f800001
	s_xor_b32 exec_lo, exec_lo, s28
	s_cbranch_execnz .LBB6_4596
.LBB6_4217:                             ;   in Loop: Header=BB6_3357 Depth=2
	s_or_b32 exec_lo, exec_lo, s28
	s_and_saveexec_b32 s28, s13
	s_cbranch_execz .LBB6_4219
.LBB6_4218:                             ;   in Loop: Header=BB6_3357 Depth=2
	v_and_b32_e32 v87, 7, v29
	v_lshrrev_b16 v98, 3, v29
	v_ffbh_u32_e32 v96, v87
	v_and_b32_e32 v98, 15, v98
	v_min_u32_e32 v96, 32, v96
	v_cmp_eq_u32_e32 vcc_lo, 0, v98
	v_subrev_nc_u32_e32 v103, 28, v96
	v_sub_nc_u32_e32 v96, 29, v96
	v_lshlrev_b32_e32 v103, v103, v29
	v_lshlrev_b32_e32 v29, 24, v29
	v_cndmask_b32_e32 v96, v98, v96, vcc_lo
	v_and_b32_e32 v103, 7, v103
	v_and_b32_e32 v29, 0x80000000, v29
	v_lshl_add_u32 v96, v96, 23, 0x3b800000
	v_cndmask_b32_e32 v87, v87, v103, vcc_lo
	v_lshlrev_b32_e32 v87, 20, v87
	v_or3_b32 v87, v29, v96, v87
.LBB6_4219:                             ;   in Loop: Header=BB6_3357 Depth=2
	s_or_b32 exec_lo, exec_lo, s28
	s_waitcnt vmcnt(11) lgkmcnt(11)
	v_cmp_gt_i16_sdwa s28, v86, v113 src0_sel:BYTE_0 src1_sel:DWORD
	s_mov_b32 s13, 0
	s_and_saveexec_b32 s29, s28
	s_xor_b32 s28, exec_lo, s29
	s_cbranch_execz .LBB6_4597
; %bb.4220:                             ;   in Loop: Header=BB6_3357 Depth=2
	v_cmp_eq_u16_sdwa s40, v86, v114 src0_sel:BYTE_0 src1_sel:DWORD
	s_mov_b32 s13, -1
	s_and_saveexec_b32 s29, s40
; %bb.4221:                             ;   in Loop: Header=BB6_3357 Depth=2
	s_xor_b32 s13, exec_lo, -1
; %bb.4222:                             ;   in Loop: Header=BB6_3357 Depth=2
	s_or_b32 exec_lo, exec_lo, s29
	s_and_b32 s13, s13, exec_lo
	s_or_saveexec_b32 s28, s28
	v_mov_b32_e32 v29, 0x7f800001
	s_xor_b32 exec_lo, exec_lo, s28
	s_cbranch_execnz .LBB6_4598
.LBB6_4223:                             ;   in Loop: Header=BB6_3357 Depth=2
	s_or_b32 exec_lo, exec_lo, s28
	s_and_saveexec_b32 s28, s13
	s_cbranch_execz .LBB6_4225
.LBB6_4224:                             ;   in Loop: Header=BB6_3357 Depth=2
	v_and_b32_e32 v29, 7, v86
	v_lshrrev_b16 v98, 3, v86
	v_ffbh_u32_e32 v96, v29
	v_and_b32_e32 v98, 15, v98
	v_min_u32_e32 v96, 32, v96
	v_cmp_eq_u32_e32 vcc_lo, 0, v98
	v_subrev_nc_u32_e32 v103, 28, v96
	v_sub_nc_u32_e32 v96, 29, v96
	v_lshlrev_b32_e32 v103, v103, v86
	v_lshlrev_b32_e32 v86, 24, v86
	v_cndmask_b32_e32 v96, v98, v96, vcc_lo
	v_and_b32_e32 v103, 7, v103
	v_and_b32_e32 v86, 0x80000000, v86
	v_lshl_add_u32 v96, v96, 23, 0x3b800000
	v_cndmask_b32_e32 v29, v29, v103, vcc_lo
	v_lshlrev_b32_e32 v29, 20, v29
	v_or3_b32 v29, v86, v96, v29
.LBB6_4225:                             ;   in Loop: Header=BB6_3357 Depth=2
	s_or_b32 exec_lo, exec_lo, s28
	v_add_f32_e32 v86, v87, v29
	v_and_b32_e32 v29, 0x7f800000, v86
	v_cmp_ne_u32_e32 vcc_lo, 0x7f800000, v29
	v_mov_b32_e32 v29, 0x80
	s_and_saveexec_b32 s28, vcc_lo
	s_cbranch_execz .LBB6_4233
; %bb.4226:                             ;   in Loop: Header=BB6_3357 Depth=2
	v_mov_b32_e32 v29, 0
	s_mov_b32 s29, exec_lo
	v_cmpx_ne_u32_e32 0, v86
	s_cbranch_execz .LBB6_4232
; %bb.4227:                             ;   in Loop: Header=BB6_3357 Depth=2
	v_bfe_u32 v29, v86, 23, 8
	v_and_b32_e32 v87, 0x7fffff, v86
	v_sub_nc_u32_e32 v96, 0x78, v29
	v_cmp_gt_u32_e32 vcc_lo, 0x79, v29
	v_or_b32_e32 v98, 0x800000, v87
	v_cndmask_b32_e32 v96, 0, v96, vcc_lo
	v_cmp_eq_u32_e32 vcc_lo, 0, v29
	v_add_nc_u32_e32 v29, 0xffffff89, v29
	v_cndmask_b32_e64 v96, v96, 0x77, vcc_lo
	v_cndmask_b32_e32 v87, v98, v87, vcc_lo
	v_cndmask_b32_e64 v29, v29, 0xffffff8a, vcc_lo
	v_lshl_add_u32 v98, 0x100000, v96, -1
	v_lshrrev_b32_e32 v103, v96, v87
	v_lshlrev_b32_e64 v119, v96, 0x80000
	v_add_nc_u32_e32 v96, v96, v29
	v_and_b32_e32 v87, v98, v87
	v_bfe_u32 v112, v103, 20, 1
	v_cmp_eq_u32_e64 s13, v87, v119
	v_add_nc_u32_e32 v98, -1, v112
	v_cndmask_b32_e64 v87, 0, v98, s13
	v_lshrrev_b32_e32 v98, 23, v103
	s_mov_b32 s13, exec_lo
	v_add_nc_u32_e32 v87, v87, v103
	v_xor_b32_e32 v98, 1, v98
	v_and_b32_e32 v29, 0xfffff, v87
	v_add_nc_u32_e32 v87, v29, v103
                                        ; implicit-def: $vgpr29
	v_cmpx_ne_u32_e64 v96, v98
	s_xor_b32 s13, exec_lo, s13
; %bb.4228:                             ;   in Loop: Header=BB6_3357 Depth=2
	v_cmp_lt_u32_e32 vcc_lo, 0xffffff, v87
	v_sub_nc_u32_e32 v29, v96, v98
	v_cndmask_b32_e64 v96, 0, 1, vcc_lo
	v_add_co_ci_u32_e64 v29, null, 0, v29, vcc_lo
	v_lshrrev_b32_e32 v87, v96, v87
; %bb.4229:                             ;   in Loop: Header=BB6_3357 Depth=2
	s_andn2_saveexec_b32 s13, s13
; %bb.4230:                             ;   in Loop: Header=BB6_3357 Depth=2
	v_bfe_u32 v29, v87, 23, 1
; %bb.4231:                             ;   in Loop: Header=BB6_3357 Depth=2
	s_or_b32 exec_lo, exec_lo, s13
	v_lshrrev_b32_e32 v87, 20, v87
	v_cmp_gt_i32_e32 vcc_lo, 16, v29
	v_min_i32_e32 v96, 15, v29
	v_and_b32_sdwa v86, v86, v114 dst_sel:DWORD dst_unused:UNUSED_PAD src0_sel:BYTE_3 src1_sel:DWORD
	v_cndmask_b32_e32 v87, 7, v87, vcc_lo
	v_lshlrev_b32_e32 v96, 3, v96
	v_and_b32_e32 v98, 7, v87
	v_or_b32_e32 v29, v29, v87
	v_or3_b32 v86, v96, v86, v98
	v_cmp_ne_u32_e32 vcc_lo, 0, v29
	v_cndmask_b32_e32 v29, 0, v86, vcc_lo
.LBB6_4232:                             ;   in Loop: Header=BB6_3357 Depth=2
	s_or_b32 exec_lo, exec_lo, s29
.LBB6_4233:                             ;   in Loop: Header=BB6_3357 Depth=2
	s_or_b32 exec_lo, exec_lo, s28
	v_cmp_gt_i16_sdwa s28, v27, v113 src0_sel:BYTE_0 src1_sel:DWORD
	s_mov_b32 s13, 0
	s_and_saveexec_b32 s29, s28
	s_xor_b32 s28, exec_lo, s29
	s_cbranch_execz .LBB6_4599
; %bb.4234:                             ;   in Loop: Header=BB6_3357 Depth=2
	v_cmp_eq_u16_sdwa s40, v27, v114 src0_sel:BYTE_0 src1_sel:DWORD
	s_mov_b32 s13, -1
	s_and_saveexec_b32 s29, s40
; %bb.4235:                             ;   in Loop: Header=BB6_3357 Depth=2
	s_xor_b32 s13, exec_lo, -1
; %bb.4236:                             ;   in Loop: Header=BB6_3357 Depth=2
	s_or_b32 exec_lo, exec_lo, s29
	s_and_b32 s13, s13, exec_lo
	s_or_saveexec_b32 s28, s28
	v_mov_b32_e32 v86, 0x7f800001
	s_xor_b32 exec_lo, exec_lo, s28
	s_cbranch_execnz .LBB6_4600
.LBB6_4237:                             ;   in Loop: Header=BB6_3357 Depth=2
	s_or_b32 exec_lo, exec_lo, s28
	s_and_saveexec_b32 s28, s13
	s_cbranch_execz .LBB6_4239
.LBB6_4238:                             ;   in Loop: Header=BB6_3357 Depth=2
	v_and_b32_e32 v86, 7, v27
	v_lshrrev_b16 v96, 3, v27
	v_ffbh_u32_e32 v87, v86
	v_and_b32_e32 v96, 15, v96
	v_min_u32_e32 v87, 32, v87
	v_cmp_eq_u32_e32 vcc_lo, 0, v96
	v_subrev_nc_u32_e32 v98, 28, v87
	v_sub_nc_u32_e32 v87, 29, v87
	v_lshlrev_b32_e32 v98, v98, v27
	v_lshlrev_b32_e32 v27, 24, v27
	v_cndmask_b32_e32 v87, v96, v87, vcc_lo
	v_and_b32_e32 v98, 7, v98
	v_and_b32_e32 v27, 0x80000000, v27
	v_lshl_add_u32 v87, v87, 23, 0x3b800000
	v_cndmask_b32_e32 v86, v86, v98, vcc_lo
	v_lshlrev_b32_e32 v86, 20, v86
	v_or3_b32 v86, v27, v87, v86
.LBB6_4239:                             ;   in Loop: Header=BB6_3357 Depth=2
	s_or_b32 exec_lo, exec_lo, s28
	s_waitcnt vmcnt(10) lgkmcnt(10)
	v_cmp_gt_i16_sdwa s28, v85, v113 src0_sel:BYTE_0 src1_sel:DWORD
	s_mov_b32 s13, 0
	s_and_saveexec_b32 s29, s28
	s_xor_b32 s28, exec_lo, s29
	s_cbranch_execz .LBB6_4601
; %bb.4240:                             ;   in Loop: Header=BB6_3357 Depth=2
	v_cmp_eq_u16_sdwa s40, v85, v114 src0_sel:BYTE_0 src1_sel:DWORD
	s_mov_b32 s13, -1
	s_and_saveexec_b32 s29, s40
; %bb.4241:                             ;   in Loop: Header=BB6_3357 Depth=2
	s_xor_b32 s13, exec_lo, -1
; %bb.4242:                             ;   in Loop: Header=BB6_3357 Depth=2
	s_or_b32 exec_lo, exec_lo, s29
	s_and_b32 s13, s13, exec_lo
	s_or_saveexec_b32 s28, s28
	v_mov_b32_e32 v27, 0x7f800001
	s_xor_b32 exec_lo, exec_lo, s28
	s_cbranch_execnz .LBB6_4602
.LBB6_4243:                             ;   in Loop: Header=BB6_3357 Depth=2
	s_or_b32 exec_lo, exec_lo, s28
	s_and_saveexec_b32 s28, s13
	s_cbranch_execz .LBB6_4245
.LBB6_4244:                             ;   in Loop: Header=BB6_3357 Depth=2
	v_and_b32_e32 v27, 7, v85
	v_lshrrev_b16 v96, 3, v85
	v_ffbh_u32_e32 v87, v27
	v_and_b32_e32 v96, 15, v96
	v_min_u32_e32 v87, 32, v87
	v_cmp_eq_u32_e32 vcc_lo, 0, v96
	v_subrev_nc_u32_e32 v98, 28, v87
	v_sub_nc_u32_e32 v87, 29, v87
	v_lshlrev_b32_e32 v98, v98, v85
	v_lshlrev_b32_e32 v85, 24, v85
	v_cndmask_b32_e32 v87, v96, v87, vcc_lo
	v_and_b32_e32 v98, 7, v98
	v_and_b32_e32 v85, 0x80000000, v85
	v_lshl_add_u32 v87, v87, 23, 0x3b800000
	v_cndmask_b32_e32 v27, v27, v98, vcc_lo
	v_lshlrev_b32_e32 v27, 20, v27
	v_or3_b32 v27, v85, v87, v27
.LBB6_4245:                             ;   in Loop: Header=BB6_3357 Depth=2
	s_or_b32 exec_lo, exec_lo, s28
	v_add_f32_e32 v85, v86, v27
	v_and_b32_e32 v27, 0x7f800000, v85
	v_cmp_ne_u32_e32 vcc_lo, 0x7f800000, v27
	v_mov_b32_e32 v27, 0x80
	s_and_saveexec_b32 s28, vcc_lo
	s_cbranch_execz .LBB6_4253
; %bb.4246:                             ;   in Loop: Header=BB6_3357 Depth=2
	v_mov_b32_e32 v27, 0
	s_mov_b32 s29, exec_lo
	v_cmpx_ne_u32_e32 0, v85
	s_cbranch_execz .LBB6_4252
; %bb.4247:                             ;   in Loop: Header=BB6_3357 Depth=2
	v_bfe_u32 v27, v85, 23, 8
	v_and_b32_e32 v86, 0x7fffff, v85
	v_sub_nc_u32_e32 v87, 0x78, v27
	v_cmp_gt_u32_e32 vcc_lo, 0x79, v27
	v_or_b32_e32 v96, 0x800000, v86
	v_cndmask_b32_e32 v87, 0, v87, vcc_lo
	v_cmp_eq_u32_e32 vcc_lo, 0, v27
	v_add_nc_u32_e32 v27, 0xffffff89, v27
	v_cndmask_b32_e64 v87, v87, 0x77, vcc_lo
	v_cndmask_b32_e32 v86, v96, v86, vcc_lo
	v_cndmask_b32_e64 v27, v27, 0xffffff8a, vcc_lo
	v_lshl_add_u32 v96, 0x100000, v87, -1
	v_lshrrev_b32_e32 v98, v87, v86
	v_lshlrev_b32_e64 v112, v87, 0x80000
	v_add_nc_u32_e32 v87, v87, v27
	v_and_b32_e32 v86, v96, v86
	v_bfe_u32 v103, v98, 20, 1
	v_cmp_eq_u32_e64 s13, v86, v112
	v_add_nc_u32_e32 v96, -1, v103
	v_cndmask_b32_e64 v86, 0, v96, s13
	v_lshrrev_b32_e32 v96, 23, v98
	s_mov_b32 s13, exec_lo
	v_add_nc_u32_e32 v86, v86, v98
	v_xor_b32_e32 v96, 1, v96
	v_and_b32_e32 v27, 0xfffff, v86
	v_add_nc_u32_e32 v86, v27, v98
                                        ; implicit-def: $vgpr27
	v_cmpx_ne_u32_e64 v87, v96
	s_xor_b32 s13, exec_lo, s13
; %bb.4248:                             ;   in Loop: Header=BB6_3357 Depth=2
	v_cmp_lt_u32_e32 vcc_lo, 0xffffff, v86
	v_sub_nc_u32_e32 v27, v87, v96
	v_cndmask_b32_e64 v87, 0, 1, vcc_lo
	v_add_co_ci_u32_e64 v27, null, 0, v27, vcc_lo
	v_lshrrev_b32_e32 v86, v87, v86
; %bb.4249:                             ;   in Loop: Header=BB6_3357 Depth=2
	s_andn2_saveexec_b32 s13, s13
; %bb.4250:                             ;   in Loop: Header=BB6_3357 Depth=2
	v_bfe_u32 v27, v86, 23, 1
; %bb.4251:                             ;   in Loop: Header=BB6_3357 Depth=2
	s_or_b32 exec_lo, exec_lo, s13
	v_lshrrev_b32_e32 v86, 20, v86
	v_cmp_gt_i32_e32 vcc_lo, 16, v27
	v_min_i32_e32 v87, 15, v27
	v_and_b32_sdwa v85, v85, v114 dst_sel:DWORD dst_unused:UNUSED_PAD src0_sel:BYTE_3 src1_sel:DWORD
	v_cndmask_b32_e32 v86, 7, v86, vcc_lo
	v_lshlrev_b32_e32 v87, 3, v87
	v_and_b32_e32 v96, 7, v86
	v_or_b32_e32 v27, v27, v86
	v_or3_b32 v85, v87, v85, v96
	v_cmp_ne_u32_e32 vcc_lo, 0, v27
	v_cndmask_b32_e32 v27, 0, v85, vcc_lo
.LBB6_4252:                             ;   in Loop: Header=BB6_3357 Depth=2
	s_or_b32 exec_lo, exec_lo, s29
.LBB6_4253:                             ;   in Loop: Header=BB6_3357 Depth=2
	s_or_b32 exec_lo, exec_lo, s28
	v_cmp_gt_i16_sdwa s28, v25, v113 src0_sel:BYTE_0 src1_sel:DWORD
	s_mov_b32 s13, 0
	s_and_saveexec_b32 s29, s28
	s_xor_b32 s28, exec_lo, s29
	s_cbranch_execz .LBB6_4603
; %bb.4254:                             ;   in Loop: Header=BB6_3357 Depth=2
	v_cmp_eq_u16_sdwa s40, v25, v114 src0_sel:BYTE_0 src1_sel:DWORD
	s_mov_b32 s13, -1
	s_and_saveexec_b32 s29, s40
; %bb.4255:                             ;   in Loop: Header=BB6_3357 Depth=2
	s_xor_b32 s13, exec_lo, -1
; %bb.4256:                             ;   in Loop: Header=BB6_3357 Depth=2
	s_or_b32 exec_lo, exec_lo, s29
	s_and_b32 s13, s13, exec_lo
	s_or_saveexec_b32 s28, s28
	v_mov_b32_e32 v85, 0x7f800001
	s_xor_b32 exec_lo, exec_lo, s28
	s_cbranch_execnz .LBB6_4604
.LBB6_4257:                             ;   in Loop: Header=BB6_3357 Depth=2
	s_or_b32 exec_lo, exec_lo, s28
	s_and_saveexec_b32 s28, s13
	s_cbranch_execz .LBB6_4259
.LBB6_4258:                             ;   in Loop: Header=BB6_3357 Depth=2
	v_and_b32_e32 v85, 7, v25
	v_lshrrev_b16 v87, 3, v25
	v_ffbh_u32_e32 v86, v85
	v_and_b32_e32 v87, 15, v87
	v_min_u32_e32 v86, 32, v86
	v_cmp_eq_u32_e32 vcc_lo, 0, v87
	v_subrev_nc_u32_e32 v96, 28, v86
	v_sub_nc_u32_e32 v86, 29, v86
	v_lshlrev_b32_e32 v96, v96, v25
	v_lshlrev_b32_e32 v25, 24, v25
	v_cndmask_b32_e32 v86, v87, v86, vcc_lo
	v_and_b32_e32 v96, 7, v96
	v_and_b32_e32 v25, 0x80000000, v25
	v_lshl_add_u32 v86, v86, 23, 0x3b800000
	v_cndmask_b32_e32 v85, v85, v96, vcc_lo
	v_lshlrev_b32_e32 v85, 20, v85
	v_or3_b32 v85, v25, v86, v85
.LBB6_4259:                             ;   in Loop: Header=BB6_3357 Depth=2
	s_or_b32 exec_lo, exec_lo, s28
	s_waitcnt vmcnt(9) lgkmcnt(9)
	v_cmp_gt_i16_sdwa s28, v84, v113 src0_sel:BYTE_0 src1_sel:DWORD
	s_mov_b32 s13, 0
	s_and_saveexec_b32 s29, s28
	s_xor_b32 s28, exec_lo, s29
	s_cbranch_execz .LBB6_4605
; %bb.4260:                             ;   in Loop: Header=BB6_3357 Depth=2
	v_cmp_eq_u16_sdwa s40, v84, v114 src0_sel:BYTE_0 src1_sel:DWORD
	s_mov_b32 s13, -1
	s_and_saveexec_b32 s29, s40
; %bb.4261:                             ;   in Loop: Header=BB6_3357 Depth=2
	s_xor_b32 s13, exec_lo, -1
; %bb.4262:                             ;   in Loop: Header=BB6_3357 Depth=2
	s_or_b32 exec_lo, exec_lo, s29
	s_and_b32 s13, s13, exec_lo
	s_or_saveexec_b32 s28, s28
	v_mov_b32_e32 v25, 0x7f800001
	s_xor_b32 exec_lo, exec_lo, s28
	s_cbranch_execnz .LBB6_4606
.LBB6_4263:                             ;   in Loop: Header=BB6_3357 Depth=2
	s_or_b32 exec_lo, exec_lo, s28
	s_and_saveexec_b32 s28, s13
	s_cbranch_execz .LBB6_4265
.LBB6_4264:                             ;   in Loop: Header=BB6_3357 Depth=2
	v_and_b32_e32 v25, 7, v84
	v_lshrrev_b16 v87, 3, v84
	v_ffbh_u32_e32 v86, v25
	v_and_b32_e32 v87, 15, v87
	v_min_u32_e32 v86, 32, v86
	v_cmp_eq_u32_e32 vcc_lo, 0, v87
	v_subrev_nc_u32_e32 v96, 28, v86
	v_sub_nc_u32_e32 v86, 29, v86
	v_lshlrev_b32_e32 v96, v96, v84
	v_lshlrev_b32_e32 v84, 24, v84
	v_cndmask_b32_e32 v86, v87, v86, vcc_lo
	v_and_b32_e32 v96, 7, v96
	v_and_b32_e32 v84, 0x80000000, v84
	v_lshl_add_u32 v86, v86, 23, 0x3b800000
	v_cndmask_b32_e32 v25, v25, v96, vcc_lo
	v_lshlrev_b32_e32 v25, 20, v25
	v_or3_b32 v25, v84, v86, v25
.LBB6_4265:                             ;   in Loop: Header=BB6_3357 Depth=2
	s_or_b32 exec_lo, exec_lo, s28
	v_add_f32_e32 v84, v85, v25
	v_and_b32_e32 v25, 0x7f800000, v84
	v_cmp_ne_u32_e32 vcc_lo, 0x7f800000, v25
	v_mov_b32_e32 v25, 0x80
	s_and_saveexec_b32 s28, vcc_lo
	s_cbranch_execz .LBB6_4273
; %bb.4266:                             ;   in Loop: Header=BB6_3357 Depth=2
	v_mov_b32_e32 v25, 0
	s_mov_b32 s29, exec_lo
	v_cmpx_ne_u32_e32 0, v84
	s_cbranch_execz .LBB6_4272
; %bb.4267:                             ;   in Loop: Header=BB6_3357 Depth=2
	v_bfe_u32 v25, v84, 23, 8
	v_and_b32_e32 v85, 0x7fffff, v84
	v_sub_nc_u32_e32 v86, 0x78, v25
	v_cmp_gt_u32_e32 vcc_lo, 0x79, v25
	v_or_b32_e32 v87, 0x800000, v85
	v_cndmask_b32_e32 v86, 0, v86, vcc_lo
	v_cmp_eq_u32_e32 vcc_lo, 0, v25
	v_add_nc_u32_e32 v25, 0xffffff89, v25
	v_cndmask_b32_e64 v86, v86, 0x77, vcc_lo
	v_cndmask_b32_e32 v85, v87, v85, vcc_lo
	v_cndmask_b32_e64 v25, v25, 0xffffff8a, vcc_lo
	v_lshl_add_u32 v87, 0x100000, v86, -1
	v_lshrrev_b32_e32 v96, v86, v85
	v_lshlrev_b32_e64 v103, v86, 0x80000
	v_add_nc_u32_e32 v86, v86, v25
	v_and_b32_e32 v85, v87, v85
	v_bfe_u32 v98, v96, 20, 1
	v_cmp_eq_u32_e64 s13, v85, v103
	v_add_nc_u32_e32 v87, -1, v98
	v_cndmask_b32_e64 v85, 0, v87, s13
	v_lshrrev_b32_e32 v87, 23, v96
	s_mov_b32 s13, exec_lo
	v_add_nc_u32_e32 v85, v85, v96
	v_xor_b32_e32 v87, 1, v87
	v_and_b32_e32 v25, 0xfffff, v85
	v_add_nc_u32_e32 v85, v25, v96
                                        ; implicit-def: $vgpr25
	v_cmpx_ne_u32_e64 v86, v87
	s_xor_b32 s13, exec_lo, s13
; %bb.4268:                             ;   in Loop: Header=BB6_3357 Depth=2
	v_cmp_lt_u32_e32 vcc_lo, 0xffffff, v85
	v_sub_nc_u32_e32 v25, v86, v87
	v_cndmask_b32_e64 v86, 0, 1, vcc_lo
	v_add_co_ci_u32_e64 v25, null, 0, v25, vcc_lo
	v_lshrrev_b32_e32 v85, v86, v85
; %bb.4269:                             ;   in Loop: Header=BB6_3357 Depth=2
	s_andn2_saveexec_b32 s13, s13
; %bb.4270:                             ;   in Loop: Header=BB6_3357 Depth=2
	v_bfe_u32 v25, v85, 23, 1
; %bb.4271:                             ;   in Loop: Header=BB6_3357 Depth=2
	s_or_b32 exec_lo, exec_lo, s13
	v_lshrrev_b32_e32 v85, 20, v85
	v_cmp_gt_i32_e32 vcc_lo, 16, v25
	v_min_i32_e32 v86, 15, v25
	v_and_b32_sdwa v84, v84, v114 dst_sel:DWORD dst_unused:UNUSED_PAD src0_sel:BYTE_3 src1_sel:DWORD
	v_cndmask_b32_e32 v85, 7, v85, vcc_lo
	v_lshlrev_b32_e32 v86, 3, v86
	v_and_b32_e32 v87, 7, v85
	v_or_b32_e32 v25, v25, v85
	v_or3_b32 v84, v86, v84, v87
	v_cmp_ne_u32_e32 vcc_lo, 0, v25
	v_cndmask_b32_e32 v25, 0, v84, vcc_lo
.LBB6_4272:                             ;   in Loop: Header=BB6_3357 Depth=2
	s_or_b32 exec_lo, exec_lo, s29
.LBB6_4273:                             ;   in Loop: Header=BB6_3357 Depth=2
	s_or_b32 exec_lo, exec_lo, s28
	v_cmp_gt_i16_sdwa s28, v24, v113 src0_sel:BYTE_0 src1_sel:DWORD
	s_mov_b32 s13, 0
	s_and_saveexec_b32 s29, s28
	s_xor_b32 s28, exec_lo, s29
	s_cbranch_execz .LBB6_4607
; %bb.4274:                             ;   in Loop: Header=BB6_3357 Depth=2
	v_cmp_eq_u16_sdwa s40, v24, v114 src0_sel:BYTE_0 src1_sel:DWORD
	s_mov_b32 s13, -1
	s_and_saveexec_b32 s29, s40
; %bb.4275:                             ;   in Loop: Header=BB6_3357 Depth=2
	s_xor_b32 s13, exec_lo, -1
; %bb.4276:                             ;   in Loop: Header=BB6_3357 Depth=2
	s_or_b32 exec_lo, exec_lo, s29
	s_and_b32 s13, s13, exec_lo
	s_or_saveexec_b32 s28, s28
	v_mov_b32_e32 v84, 0x7f800001
	s_xor_b32 exec_lo, exec_lo, s28
	s_cbranch_execnz .LBB6_4608
.LBB6_4277:                             ;   in Loop: Header=BB6_3357 Depth=2
	s_or_b32 exec_lo, exec_lo, s28
	s_and_saveexec_b32 s28, s13
	s_cbranch_execz .LBB6_4279
.LBB6_4278:                             ;   in Loop: Header=BB6_3357 Depth=2
	v_and_b32_e32 v84, 7, v24
	v_lshrrev_b16 v86, 3, v24
	v_ffbh_u32_e32 v85, v84
	v_and_b32_e32 v86, 15, v86
	v_min_u32_e32 v85, 32, v85
	v_cmp_eq_u32_e32 vcc_lo, 0, v86
	v_subrev_nc_u32_e32 v87, 28, v85
	v_sub_nc_u32_e32 v85, 29, v85
	v_lshlrev_b32_e32 v87, v87, v24
	v_lshlrev_b32_e32 v24, 24, v24
	v_cndmask_b32_e32 v85, v86, v85, vcc_lo
	v_and_b32_e32 v87, 7, v87
	v_and_b32_e32 v24, 0x80000000, v24
	v_lshl_add_u32 v85, v85, 23, 0x3b800000
	v_cndmask_b32_e32 v84, v84, v87, vcc_lo
	v_lshlrev_b32_e32 v84, 20, v84
	v_or3_b32 v84, v24, v85, v84
.LBB6_4279:                             ;   in Loop: Header=BB6_3357 Depth=2
	s_or_b32 exec_lo, exec_lo, s28
	s_waitcnt vmcnt(8) lgkmcnt(8)
	v_cmp_gt_i16_sdwa s28, v83, v113 src0_sel:BYTE_0 src1_sel:DWORD
	s_mov_b32 s13, 0
	s_and_saveexec_b32 s29, s28
	s_xor_b32 s28, exec_lo, s29
	s_cbranch_execz .LBB6_4609
; %bb.4280:                             ;   in Loop: Header=BB6_3357 Depth=2
	v_cmp_eq_u16_sdwa s40, v83, v114 src0_sel:BYTE_0 src1_sel:DWORD
	s_mov_b32 s13, -1
	s_and_saveexec_b32 s29, s40
; %bb.4281:                             ;   in Loop: Header=BB6_3357 Depth=2
	s_xor_b32 s13, exec_lo, -1
; %bb.4282:                             ;   in Loop: Header=BB6_3357 Depth=2
	s_or_b32 exec_lo, exec_lo, s29
	s_and_b32 s13, s13, exec_lo
	s_or_saveexec_b32 s28, s28
	v_mov_b32_e32 v24, 0x7f800001
	s_xor_b32 exec_lo, exec_lo, s28
	s_cbranch_execnz .LBB6_4610
.LBB6_4283:                             ;   in Loop: Header=BB6_3357 Depth=2
	s_or_b32 exec_lo, exec_lo, s28
	s_and_saveexec_b32 s28, s13
	s_cbranch_execz .LBB6_4285
.LBB6_4284:                             ;   in Loop: Header=BB6_3357 Depth=2
	v_and_b32_e32 v24, 7, v83
	v_lshrrev_b16 v86, 3, v83
	v_ffbh_u32_e32 v85, v24
	v_and_b32_e32 v86, 15, v86
	v_min_u32_e32 v85, 32, v85
	v_cmp_eq_u32_e32 vcc_lo, 0, v86
	v_subrev_nc_u32_e32 v87, 28, v85
	v_sub_nc_u32_e32 v85, 29, v85
	v_lshlrev_b32_e32 v87, v87, v83
	v_lshlrev_b32_e32 v83, 24, v83
	v_cndmask_b32_e32 v85, v86, v85, vcc_lo
	v_and_b32_e32 v87, 7, v87
	v_and_b32_e32 v83, 0x80000000, v83
	v_lshl_add_u32 v85, v85, 23, 0x3b800000
	v_cndmask_b32_e32 v24, v24, v87, vcc_lo
	v_lshlrev_b32_e32 v24, 20, v24
	v_or3_b32 v24, v83, v85, v24
.LBB6_4285:                             ;   in Loop: Header=BB6_3357 Depth=2
	s_or_b32 exec_lo, exec_lo, s28
	v_add_f32_e32 v83, v84, v24
	v_and_b32_e32 v24, 0x7f800000, v83
	v_cmp_ne_u32_e32 vcc_lo, 0x7f800000, v24
	v_mov_b32_e32 v24, 0x80
	s_and_saveexec_b32 s28, vcc_lo
	s_cbranch_execz .LBB6_4293
; %bb.4286:                             ;   in Loop: Header=BB6_3357 Depth=2
	v_mov_b32_e32 v24, 0
	s_mov_b32 s29, exec_lo
	v_cmpx_ne_u32_e32 0, v83
	s_cbranch_execz .LBB6_4292
; %bb.4287:                             ;   in Loop: Header=BB6_3357 Depth=2
	v_bfe_u32 v24, v83, 23, 8
	v_and_b32_e32 v84, 0x7fffff, v83
	v_sub_nc_u32_e32 v85, 0x78, v24
	v_cmp_gt_u32_e32 vcc_lo, 0x79, v24
	v_or_b32_e32 v86, 0x800000, v84
	v_cndmask_b32_e32 v85, 0, v85, vcc_lo
	v_cmp_eq_u32_e32 vcc_lo, 0, v24
	v_add_nc_u32_e32 v24, 0xffffff89, v24
	v_cndmask_b32_e64 v85, v85, 0x77, vcc_lo
	v_cndmask_b32_e32 v84, v86, v84, vcc_lo
	v_cndmask_b32_e64 v24, v24, 0xffffff8a, vcc_lo
	v_lshl_add_u32 v86, 0x100000, v85, -1
	v_lshrrev_b32_e32 v87, v85, v84
	v_lshlrev_b32_e64 v98, v85, 0x80000
	v_add_nc_u32_e32 v85, v85, v24
	v_and_b32_e32 v84, v86, v84
	v_bfe_u32 v96, v87, 20, 1
	v_cmp_eq_u32_e64 s13, v84, v98
	v_add_nc_u32_e32 v86, -1, v96
	v_cndmask_b32_e64 v84, 0, v86, s13
	v_lshrrev_b32_e32 v86, 23, v87
	s_mov_b32 s13, exec_lo
	v_add_nc_u32_e32 v84, v84, v87
	v_xor_b32_e32 v86, 1, v86
	v_and_b32_e32 v24, 0xfffff, v84
	v_add_nc_u32_e32 v84, v24, v87
                                        ; implicit-def: $vgpr24
	v_cmpx_ne_u32_e64 v85, v86
	s_xor_b32 s13, exec_lo, s13
; %bb.4288:                             ;   in Loop: Header=BB6_3357 Depth=2
	v_cmp_lt_u32_e32 vcc_lo, 0xffffff, v84
	v_sub_nc_u32_e32 v24, v85, v86
	v_cndmask_b32_e64 v85, 0, 1, vcc_lo
	v_add_co_ci_u32_e64 v24, null, 0, v24, vcc_lo
	v_lshrrev_b32_e32 v84, v85, v84
; %bb.4289:                             ;   in Loop: Header=BB6_3357 Depth=2
	s_andn2_saveexec_b32 s13, s13
; %bb.4290:                             ;   in Loop: Header=BB6_3357 Depth=2
	v_bfe_u32 v24, v84, 23, 1
; %bb.4291:                             ;   in Loop: Header=BB6_3357 Depth=2
	s_or_b32 exec_lo, exec_lo, s13
	v_lshrrev_b32_e32 v84, 20, v84
	v_cmp_gt_i32_e32 vcc_lo, 16, v24
	v_min_i32_e32 v85, 15, v24
	v_and_b32_sdwa v83, v83, v114 dst_sel:DWORD dst_unused:UNUSED_PAD src0_sel:BYTE_3 src1_sel:DWORD
	v_cndmask_b32_e32 v84, 7, v84, vcc_lo
	v_lshlrev_b32_e32 v85, 3, v85
	v_and_b32_e32 v86, 7, v84
	v_or_b32_e32 v24, v24, v84
	v_or3_b32 v83, v85, v83, v86
	v_cmp_ne_u32_e32 vcc_lo, 0, v24
	v_cndmask_b32_e32 v24, 0, v83, vcc_lo
.LBB6_4292:                             ;   in Loop: Header=BB6_3357 Depth=2
	s_or_b32 exec_lo, exec_lo, s29
.LBB6_4293:                             ;   in Loop: Header=BB6_3357 Depth=2
	s_or_b32 exec_lo, exec_lo, s28
	v_cmp_gt_i16_sdwa s28, v23, v113 src0_sel:BYTE_0 src1_sel:DWORD
	s_mov_b32 s13, 0
	s_and_saveexec_b32 s29, s28
	s_xor_b32 s28, exec_lo, s29
	s_cbranch_execz .LBB6_4611
; %bb.4294:                             ;   in Loop: Header=BB6_3357 Depth=2
	v_cmp_eq_u16_sdwa s40, v23, v114 src0_sel:BYTE_0 src1_sel:DWORD
	s_mov_b32 s13, -1
	s_and_saveexec_b32 s29, s40
; %bb.4295:                             ;   in Loop: Header=BB6_3357 Depth=2
	s_xor_b32 s13, exec_lo, -1
; %bb.4296:                             ;   in Loop: Header=BB6_3357 Depth=2
	s_or_b32 exec_lo, exec_lo, s29
	s_and_b32 s13, s13, exec_lo
	s_or_saveexec_b32 s28, s28
	v_mov_b32_e32 v83, 0x7f800001
	s_xor_b32 exec_lo, exec_lo, s28
	s_cbranch_execnz .LBB6_4612
.LBB6_4297:                             ;   in Loop: Header=BB6_3357 Depth=2
	s_or_b32 exec_lo, exec_lo, s28
	s_and_saveexec_b32 s28, s13
	s_cbranch_execz .LBB6_4299
.LBB6_4298:                             ;   in Loop: Header=BB6_3357 Depth=2
	v_and_b32_e32 v83, 7, v23
	v_lshrrev_b16 v85, 3, v23
	v_ffbh_u32_e32 v84, v83
	v_and_b32_e32 v85, 15, v85
	v_min_u32_e32 v84, 32, v84
	v_cmp_eq_u32_e32 vcc_lo, 0, v85
	v_subrev_nc_u32_e32 v86, 28, v84
	v_sub_nc_u32_e32 v84, 29, v84
	v_lshlrev_b32_e32 v86, v86, v23
	v_lshlrev_b32_e32 v23, 24, v23
	v_cndmask_b32_e32 v84, v85, v84, vcc_lo
	v_and_b32_e32 v86, 7, v86
	v_and_b32_e32 v23, 0x80000000, v23
	v_lshl_add_u32 v84, v84, 23, 0x3b800000
	v_cndmask_b32_e32 v83, v83, v86, vcc_lo
	v_lshlrev_b32_e32 v83, 20, v83
	v_or3_b32 v83, v23, v84, v83
.LBB6_4299:                             ;   in Loop: Header=BB6_3357 Depth=2
	s_or_b32 exec_lo, exec_lo, s28
	s_waitcnt vmcnt(7) lgkmcnt(7)
	v_cmp_gt_i16_sdwa s28, v80, v113 src0_sel:BYTE_0 src1_sel:DWORD
	s_mov_b32 s13, 0
	s_and_saveexec_b32 s29, s28
	s_xor_b32 s28, exec_lo, s29
	s_cbranch_execz .LBB6_4613
; %bb.4300:                             ;   in Loop: Header=BB6_3357 Depth=2
	v_cmp_eq_u16_sdwa s40, v80, v114 src0_sel:BYTE_0 src1_sel:DWORD
	s_mov_b32 s13, -1
	s_and_saveexec_b32 s29, s40
; %bb.4301:                             ;   in Loop: Header=BB6_3357 Depth=2
	s_xor_b32 s13, exec_lo, -1
; %bb.4302:                             ;   in Loop: Header=BB6_3357 Depth=2
	s_or_b32 exec_lo, exec_lo, s29
	s_and_b32 s13, s13, exec_lo
	s_or_saveexec_b32 s28, s28
	v_mov_b32_e32 v23, 0x7f800001
	s_xor_b32 exec_lo, exec_lo, s28
	s_cbranch_execnz .LBB6_4614
.LBB6_4303:                             ;   in Loop: Header=BB6_3357 Depth=2
	s_or_b32 exec_lo, exec_lo, s28
	s_and_saveexec_b32 s28, s13
	s_cbranch_execz .LBB6_4305
.LBB6_4304:                             ;   in Loop: Header=BB6_3357 Depth=2
	v_and_b32_e32 v23, 7, v80
	v_lshrrev_b16 v85, 3, v80
	v_ffbh_u32_e32 v84, v23
	v_and_b32_e32 v85, 15, v85
	v_min_u32_e32 v84, 32, v84
	v_cmp_eq_u32_e32 vcc_lo, 0, v85
	v_subrev_nc_u32_e32 v86, 28, v84
	v_sub_nc_u32_e32 v84, 29, v84
	v_lshlrev_b32_e32 v86, v86, v80
	v_lshlrev_b32_e32 v80, 24, v80
	v_cndmask_b32_e32 v84, v85, v84, vcc_lo
	v_and_b32_e32 v86, 7, v86
	v_and_b32_e32 v80, 0x80000000, v80
	v_lshl_add_u32 v84, v84, 23, 0x3b800000
	v_cndmask_b32_e32 v23, v23, v86, vcc_lo
	v_lshlrev_b32_e32 v23, 20, v23
	v_or3_b32 v23, v80, v84, v23
.LBB6_4305:                             ;   in Loop: Header=BB6_3357 Depth=2
	s_or_b32 exec_lo, exec_lo, s28
	v_add_f32_e32 v80, v83, v23
	v_and_b32_e32 v23, 0x7f800000, v80
	v_cmp_ne_u32_e32 vcc_lo, 0x7f800000, v23
	v_mov_b32_e32 v23, 0x80
	s_and_saveexec_b32 s28, vcc_lo
	s_cbranch_execz .LBB6_4313
; %bb.4306:                             ;   in Loop: Header=BB6_3357 Depth=2
	v_mov_b32_e32 v23, 0
	s_mov_b32 s29, exec_lo
	v_cmpx_ne_u32_e32 0, v80
	s_cbranch_execz .LBB6_4312
; %bb.4307:                             ;   in Loop: Header=BB6_3357 Depth=2
	v_bfe_u32 v23, v80, 23, 8
	v_and_b32_e32 v83, 0x7fffff, v80
	v_sub_nc_u32_e32 v84, 0x78, v23
	v_cmp_gt_u32_e32 vcc_lo, 0x79, v23
	v_or_b32_e32 v85, 0x800000, v83
	v_cndmask_b32_e32 v84, 0, v84, vcc_lo
	v_cmp_eq_u32_e32 vcc_lo, 0, v23
	v_add_nc_u32_e32 v23, 0xffffff89, v23
	v_cndmask_b32_e64 v84, v84, 0x77, vcc_lo
	v_cndmask_b32_e32 v83, v85, v83, vcc_lo
	v_cndmask_b32_e64 v23, v23, 0xffffff8a, vcc_lo
	v_lshl_add_u32 v85, 0x100000, v84, -1
	v_lshrrev_b32_e32 v86, v84, v83
	v_lshlrev_b32_e64 v96, v84, 0x80000
	v_add_nc_u32_e32 v84, v84, v23
	v_and_b32_e32 v83, v85, v83
	v_bfe_u32 v87, v86, 20, 1
	v_cmp_eq_u32_e64 s13, v83, v96
	v_add_nc_u32_e32 v85, -1, v87
	v_cndmask_b32_e64 v83, 0, v85, s13
	v_lshrrev_b32_e32 v85, 23, v86
	s_mov_b32 s13, exec_lo
	v_add_nc_u32_e32 v83, v83, v86
	v_xor_b32_e32 v85, 1, v85
	v_and_b32_e32 v23, 0xfffff, v83
	v_add_nc_u32_e32 v83, v23, v86
                                        ; implicit-def: $vgpr23
	v_cmpx_ne_u32_e64 v84, v85
	s_xor_b32 s13, exec_lo, s13
; %bb.4308:                             ;   in Loop: Header=BB6_3357 Depth=2
	v_cmp_lt_u32_e32 vcc_lo, 0xffffff, v83
	v_sub_nc_u32_e32 v23, v84, v85
	v_cndmask_b32_e64 v84, 0, 1, vcc_lo
	v_add_co_ci_u32_e64 v23, null, 0, v23, vcc_lo
	v_lshrrev_b32_e32 v83, v84, v83
; %bb.4309:                             ;   in Loop: Header=BB6_3357 Depth=2
	s_andn2_saveexec_b32 s13, s13
; %bb.4310:                             ;   in Loop: Header=BB6_3357 Depth=2
	v_bfe_u32 v23, v83, 23, 1
; %bb.4311:                             ;   in Loop: Header=BB6_3357 Depth=2
	s_or_b32 exec_lo, exec_lo, s13
	v_lshrrev_b32_e32 v83, 20, v83
	v_cmp_gt_i32_e32 vcc_lo, 16, v23
	v_min_i32_e32 v84, 15, v23
	v_and_b32_sdwa v80, v80, v114 dst_sel:DWORD dst_unused:UNUSED_PAD src0_sel:BYTE_3 src1_sel:DWORD
	v_cndmask_b32_e32 v83, 7, v83, vcc_lo
	v_lshlrev_b32_e32 v84, 3, v84
	v_and_b32_e32 v85, 7, v83
	v_or_b32_e32 v23, v23, v83
	v_or3_b32 v80, v84, v80, v85
	v_cmp_ne_u32_e32 vcc_lo, 0, v23
	v_cndmask_b32_e32 v23, 0, v80, vcc_lo
.LBB6_4312:                             ;   in Loop: Header=BB6_3357 Depth=2
	s_or_b32 exec_lo, exec_lo, s29
.LBB6_4313:                             ;   in Loop: Header=BB6_3357 Depth=2
	s_or_b32 exec_lo, exec_lo, s28
	v_cmp_gt_i16_sdwa s28, v17, v113 src0_sel:BYTE_0 src1_sel:DWORD
	s_mov_b32 s13, 0
	s_and_saveexec_b32 s29, s28
	s_xor_b32 s28, exec_lo, s29
	s_cbranch_execz .LBB6_4615
; %bb.4314:                             ;   in Loop: Header=BB6_3357 Depth=2
	v_cmp_eq_u16_sdwa s40, v17, v114 src0_sel:BYTE_0 src1_sel:DWORD
	s_mov_b32 s13, -1
	s_and_saveexec_b32 s29, s40
; %bb.4315:                             ;   in Loop: Header=BB6_3357 Depth=2
	s_xor_b32 s13, exec_lo, -1
; %bb.4316:                             ;   in Loop: Header=BB6_3357 Depth=2
	s_or_b32 exec_lo, exec_lo, s29
	s_and_b32 s13, s13, exec_lo
	s_or_saveexec_b32 s28, s28
	v_mov_b32_e32 v80, 0x7f800001
	s_xor_b32 exec_lo, exec_lo, s28
	s_cbranch_execnz .LBB6_4616
.LBB6_4317:                             ;   in Loop: Header=BB6_3357 Depth=2
	s_or_b32 exec_lo, exec_lo, s28
	s_and_saveexec_b32 s28, s13
	s_cbranch_execz .LBB6_4319
.LBB6_4318:                             ;   in Loop: Header=BB6_3357 Depth=2
	v_and_b32_e32 v80, 7, v17
	v_lshrrev_b16 v84, 3, v17
	v_ffbh_u32_e32 v83, v80
	v_and_b32_e32 v84, 15, v84
	v_min_u32_e32 v83, 32, v83
	v_cmp_eq_u32_e32 vcc_lo, 0, v84
	v_subrev_nc_u32_e32 v85, 28, v83
	v_sub_nc_u32_e32 v83, 29, v83
	v_lshlrev_b32_e32 v85, v85, v17
	v_lshlrev_b32_e32 v17, 24, v17
	v_cndmask_b32_e32 v83, v84, v83, vcc_lo
	v_and_b32_e32 v85, 7, v85
	v_and_b32_e32 v17, 0x80000000, v17
	v_lshl_add_u32 v83, v83, 23, 0x3b800000
	v_cndmask_b32_e32 v80, v80, v85, vcc_lo
	v_lshlrev_b32_e32 v80, 20, v80
	v_or3_b32 v80, v17, v83, v80
.LBB6_4319:                             ;   in Loop: Header=BB6_3357 Depth=2
	s_or_b32 exec_lo, exec_lo, s28
	s_waitcnt vmcnt(6) lgkmcnt(6)
	v_cmp_gt_i16_sdwa s28, v66, v113 src0_sel:BYTE_0 src1_sel:DWORD
	s_mov_b32 s13, 0
	s_and_saveexec_b32 s29, s28
	s_xor_b32 s28, exec_lo, s29
	s_cbranch_execz .LBB6_4617
; %bb.4320:                             ;   in Loop: Header=BB6_3357 Depth=2
	v_cmp_eq_u16_sdwa s40, v66, v114 src0_sel:BYTE_0 src1_sel:DWORD
	s_mov_b32 s13, -1
	s_and_saveexec_b32 s29, s40
; %bb.4321:                             ;   in Loop: Header=BB6_3357 Depth=2
	s_xor_b32 s13, exec_lo, -1
; %bb.4322:                             ;   in Loop: Header=BB6_3357 Depth=2
	s_or_b32 exec_lo, exec_lo, s29
	s_and_b32 s13, s13, exec_lo
	s_or_saveexec_b32 s28, s28
	v_mov_b32_e32 v17, 0x7f800001
	s_xor_b32 exec_lo, exec_lo, s28
	s_cbranch_execnz .LBB6_4618
.LBB6_4323:                             ;   in Loop: Header=BB6_3357 Depth=2
	s_or_b32 exec_lo, exec_lo, s28
	s_and_saveexec_b32 s28, s13
	s_cbranch_execz .LBB6_4325
.LBB6_4324:                             ;   in Loop: Header=BB6_3357 Depth=2
	v_and_b32_e32 v17, 7, v66
	v_lshrrev_b16 v84, 3, v66
	v_ffbh_u32_e32 v83, v17
	v_and_b32_e32 v84, 15, v84
	v_min_u32_e32 v83, 32, v83
	v_cmp_eq_u32_e32 vcc_lo, 0, v84
	v_subrev_nc_u32_e32 v85, 28, v83
	v_sub_nc_u32_e32 v83, 29, v83
	v_lshlrev_b32_e32 v85, v85, v66
	v_lshlrev_b32_e32 v66, 24, v66
	v_cndmask_b32_e32 v83, v84, v83, vcc_lo
	v_and_b32_e32 v85, 7, v85
	v_and_b32_e32 v66, 0x80000000, v66
	v_lshl_add_u32 v83, v83, 23, 0x3b800000
	v_cndmask_b32_e32 v17, v17, v85, vcc_lo
	v_lshlrev_b32_e32 v17, 20, v17
	v_or3_b32 v17, v66, v83, v17
.LBB6_4325:                             ;   in Loop: Header=BB6_3357 Depth=2
	s_or_b32 exec_lo, exec_lo, s28
	v_add_f32_e32 v66, v80, v17
	v_and_b32_e32 v17, 0x7f800000, v66
	v_cmp_ne_u32_e32 vcc_lo, 0x7f800000, v17
	v_mov_b32_e32 v17, 0x80
	s_and_saveexec_b32 s28, vcc_lo
	s_cbranch_execz .LBB6_4333
; %bb.4326:                             ;   in Loop: Header=BB6_3357 Depth=2
	v_mov_b32_e32 v17, 0
	s_mov_b32 s29, exec_lo
	v_cmpx_ne_u32_e32 0, v66
	s_cbranch_execz .LBB6_4332
; %bb.4327:                             ;   in Loop: Header=BB6_3357 Depth=2
	v_bfe_u32 v17, v66, 23, 8
	v_and_b32_e32 v80, 0x7fffff, v66
	v_sub_nc_u32_e32 v83, 0x78, v17
	v_cmp_gt_u32_e32 vcc_lo, 0x79, v17
	v_or_b32_e32 v84, 0x800000, v80
	v_cndmask_b32_e32 v83, 0, v83, vcc_lo
	v_cmp_eq_u32_e32 vcc_lo, 0, v17
	v_add_nc_u32_e32 v17, 0xffffff89, v17
	v_cndmask_b32_e64 v83, v83, 0x77, vcc_lo
	v_cndmask_b32_e32 v80, v84, v80, vcc_lo
	v_cndmask_b32_e64 v17, v17, 0xffffff8a, vcc_lo
	v_lshl_add_u32 v84, 0x100000, v83, -1
	v_lshrrev_b32_e32 v85, v83, v80
	v_lshlrev_b32_e64 v87, v83, 0x80000
	v_add_nc_u32_e32 v83, v83, v17
	v_and_b32_e32 v80, v84, v80
	v_bfe_u32 v86, v85, 20, 1
	v_cmp_eq_u32_e64 s13, v80, v87
	v_add_nc_u32_e32 v84, -1, v86
	v_cndmask_b32_e64 v80, 0, v84, s13
	v_lshrrev_b32_e32 v84, 23, v85
	s_mov_b32 s13, exec_lo
	v_add_nc_u32_e32 v80, v80, v85
	v_xor_b32_e32 v84, 1, v84
	v_and_b32_e32 v17, 0xfffff, v80
	v_add_nc_u32_e32 v80, v17, v85
                                        ; implicit-def: $vgpr17
	v_cmpx_ne_u32_e64 v83, v84
	s_xor_b32 s13, exec_lo, s13
; %bb.4328:                             ;   in Loop: Header=BB6_3357 Depth=2
	v_cmp_lt_u32_e32 vcc_lo, 0xffffff, v80
	v_sub_nc_u32_e32 v17, v83, v84
	v_cndmask_b32_e64 v83, 0, 1, vcc_lo
	v_add_co_ci_u32_e64 v17, null, 0, v17, vcc_lo
	v_lshrrev_b32_e32 v80, v83, v80
; %bb.4329:                             ;   in Loop: Header=BB6_3357 Depth=2
	s_andn2_saveexec_b32 s13, s13
; %bb.4330:                             ;   in Loop: Header=BB6_3357 Depth=2
	v_bfe_u32 v17, v80, 23, 1
; %bb.4331:                             ;   in Loop: Header=BB6_3357 Depth=2
	s_or_b32 exec_lo, exec_lo, s13
	v_lshrrev_b32_e32 v80, 20, v80
	v_cmp_gt_i32_e32 vcc_lo, 16, v17
	v_min_i32_e32 v83, 15, v17
	v_and_b32_sdwa v66, v66, v114 dst_sel:DWORD dst_unused:UNUSED_PAD src0_sel:BYTE_3 src1_sel:DWORD
	v_cndmask_b32_e32 v80, 7, v80, vcc_lo
	v_lshlrev_b32_e32 v83, 3, v83
	v_and_b32_e32 v84, 7, v80
	v_or_b32_e32 v17, v17, v80
	v_or3_b32 v66, v83, v66, v84
	v_cmp_ne_u32_e32 vcc_lo, 0, v17
	v_cndmask_b32_e32 v17, 0, v66, vcc_lo
.LBB6_4332:                             ;   in Loop: Header=BB6_3357 Depth=2
	s_or_b32 exec_lo, exec_lo, s29
.LBB6_4333:                             ;   in Loop: Header=BB6_3357 Depth=2
	s_or_b32 exec_lo, exec_lo, s28
	v_cmp_gt_i16_sdwa s28, v16, v113 src0_sel:BYTE_0 src1_sel:DWORD
	s_mov_b32 s13, 0
	s_and_saveexec_b32 s29, s28
	s_xor_b32 s28, exec_lo, s29
	s_cbranch_execz .LBB6_4619
; %bb.4334:                             ;   in Loop: Header=BB6_3357 Depth=2
	v_cmp_eq_u16_sdwa s40, v16, v114 src0_sel:BYTE_0 src1_sel:DWORD
	s_mov_b32 s13, -1
	s_and_saveexec_b32 s29, s40
; %bb.4335:                             ;   in Loop: Header=BB6_3357 Depth=2
	s_xor_b32 s13, exec_lo, -1
; %bb.4336:                             ;   in Loop: Header=BB6_3357 Depth=2
	s_or_b32 exec_lo, exec_lo, s29
	s_and_b32 s13, s13, exec_lo
	s_or_saveexec_b32 s28, s28
	v_mov_b32_e32 v66, 0x7f800001
	s_xor_b32 exec_lo, exec_lo, s28
	s_cbranch_execnz .LBB6_4620
.LBB6_4337:                             ;   in Loop: Header=BB6_3357 Depth=2
	s_or_b32 exec_lo, exec_lo, s28
	s_and_saveexec_b32 s28, s13
	s_cbranch_execz .LBB6_4339
.LBB6_4338:                             ;   in Loop: Header=BB6_3357 Depth=2
	v_and_b32_e32 v66, 7, v16
	v_lshrrev_b16 v83, 3, v16
	v_ffbh_u32_e32 v80, v66
	v_and_b32_e32 v83, 15, v83
	v_min_u32_e32 v80, 32, v80
	v_cmp_eq_u32_e32 vcc_lo, 0, v83
	v_subrev_nc_u32_e32 v84, 28, v80
	v_sub_nc_u32_e32 v80, 29, v80
	v_lshlrev_b32_e32 v84, v84, v16
	v_lshlrev_b32_e32 v16, 24, v16
	v_cndmask_b32_e32 v80, v83, v80, vcc_lo
	v_and_b32_e32 v84, 7, v84
	v_and_b32_e32 v16, 0x80000000, v16
	v_lshl_add_u32 v80, v80, 23, 0x3b800000
	v_cndmask_b32_e32 v66, v66, v84, vcc_lo
	v_lshlrev_b32_e32 v66, 20, v66
	v_or3_b32 v66, v16, v80, v66
.LBB6_4339:                             ;   in Loop: Header=BB6_3357 Depth=2
	s_or_b32 exec_lo, exec_lo, s28
	s_waitcnt vmcnt(5) lgkmcnt(5)
	v_cmp_gt_i16_sdwa s28, v37, v113 src0_sel:BYTE_0 src1_sel:DWORD
	s_mov_b32 s13, 0
	s_and_saveexec_b32 s29, s28
	s_xor_b32 s28, exec_lo, s29
	s_cbranch_execz .LBB6_4621
; %bb.4340:                             ;   in Loop: Header=BB6_3357 Depth=2
	v_cmp_eq_u16_sdwa s40, v37, v114 src0_sel:BYTE_0 src1_sel:DWORD
	s_mov_b32 s13, -1
	s_and_saveexec_b32 s29, s40
; %bb.4341:                             ;   in Loop: Header=BB6_3357 Depth=2
	s_xor_b32 s13, exec_lo, -1
; %bb.4342:                             ;   in Loop: Header=BB6_3357 Depth=2
	s_or_b32 exec_lo, exec_lo, s29
	s_and_b32 s13, s13, exec_lo
	s_or_saveexec_b32 s28, s28
	v_mov_b32_e32 v16, 0x7f800001
	s_xor_b32 exec_lo, exec_lo, s28
	s_cbranch_execnz .LBB6_4622
.LBB6_4343:                             ;   in Loop: Header=BB6_3357 Depth=2
	s_or_b32 exec_lo, exec_lo, s28
	s_and_saveexec_b32 s28, s13
	s_cbranch_execz .LBB6_4345
.LBB6_4344:                             ;   in Loop: Header=BB6_3357 Depth=2
	v_and_b32_e32 v16, 7, v37
	v_lshrrev_b16 v83, 3, v37
	v_ffbh_u32_e32 v80, v16
	v_and_b32_e32 v83, 15, v83
	v_min_u32_e32 v80, 32, v80
	v_cmp_eq_u32_e32 vcc_lo, 0, v83
	v_subrev_nc_u32_e32 v84, 28, v80
	v_sub_nc_u32_e32 v80, 29, v80
	v_lshlrev_b32_e32 v84, v84, v37
	v_lshlrev_b32_e32 v37, 24, v37
	v_cndmask_b32_e32 v80, v83, v80, vcc_lo
	v_and_b32_e32 v84, 7, v84
	v_and_b32_e32 v37, 0x80000000, v37
	v_lshl_add_u32 v80, v80, 23, 0x3b800000
	v_cndmask_b32_e32 v16, v16, v84, vcc_lo
	v_lshlrev_b32_e32 v16, 20, v16
	v_or3_b32 v16, v37, v80, v16
.LBB6_4345:                             ;   in Loop: Header=BB6_3357 Depth=2
	s_or_b32 exec_lo, exec_lo, s28
	v_add_f32_e32 v37, v66, v16
	v_and_b32_e32 v16, 0x7f800000, v37
	v_cmp_ne_u32_e32 vcc_lo, 0x7f800000, v16
	v_mov_b32_e32 v16, 0x80
	s_and_saveexec_b32 s28, vcc_lo
	s_cbranch_execz .LBB6_4353
; %bb.4346:                             ;   in Loop: Header=BB6_3357 Depth=2
	v_mov_b32_e32 v16, 0
	s_mov_b32 s29, exec_lo
	v_cmpx_ne_u32_e32 0, v37
	s_cbranch_execz .LBB6_4352
; %bb.4347:                             ;   in Loop: Header=BB6_3357 Depth=2
	v_bfe_u32 v16, v37, 23, 8
	v_and_b32_e32 v66, 0x7fffff, v37
	v_sub_nc_u32_e32 v80, 0x78, v16
	v_cmp_gt_u32_e32 vcc_lo, 0x79, v16
	v_or_b32_e32 v83, 0x800000, v66
	v_cndmask_b32_e32 v80, 0, v80, vcc_lo
	v_cmp_eq_u32_e32 vcc_lo, 0, v16
	v_add_nc_u32_e32 v16, 0xffffff89, v16
	v_cndmask_b32_e64 v80, v80, 0x77, vcc_lo
	v_cndmask_b32_e32 v66, v83, v66, vcc_lo
	v_cndmask_b32_e64 v16, v16, 0xffffff8a, vcc_lo
	v_lshl_add_u32 v83, 0x100000, v80, -1
	v_lshrrev_b32_e32 v84, v80, v66
	v_lshlrev_b32_e64 v86, v80, 0x80000
	v_add_nc_u32_e32 v80, v80, v16
	v_and_b32_e32 v66, v83, v66
	v_bfe_u32 v85, v84, 20, 1
	v_cmp_eq_u32_e64 s13, v66, v86
	v_add_nc_u32_e32 v83, -1, v85
	v_cndmask_b32_e64 v66, 0, v83, s13
	v_lshrrev_b32_e32 v83, 23, v84
	s_mov_b32 s13, exec_lo
	v_add_nc_u32_e32 v66, v66, v84
	v_xor_b32_e32 v83, 1, v83
	v_and_b32_e32 v16, 0xfffff, v66
	v_add_nc_u32_e32 v66, v16, v84
                                        ; implicit-def: $vgpr16
	v_cmpx_ne_u32_e64 v80, v83
	s_xor_b32 s13, exec_lo, s13
; %bb.4348:                             ;   in Loop: Header=BB6_3357 Depth=2
	v_cmp_lt_u32_e32 vcc_lo, 0xffffff, v66
	v_sub_nc_u32_e32 v16, v80, v83
	v_cndmask_b32_e64 v80, 0, 1, vcc_lo
	v_add_co_ci_u32_e64 v16, null, 0, v16, vcc_lo
	v_lshrrev_b32_e32 v66, v80, v66
; %bb.4349:                             ;   in Loop: Header=BB6_3357 Depth=2
	s_andn2_saveexec_b32 s13, s13
; %bb.4350:                             ;   in Loop: Header=BB6_3357 Depth=2
	v_bfe_u32 v16, v66, 23, 1
; %bb.4351:                             ;   in Loop: Header=BB6_3357 Depth=2
	s_or_b32 exec_lo, exec_lo, s13
	v_lshrrev_b32_e32 v66, 20, v66
	v_cmp_gt_i32_e32 vcc_lo, 16, v16
	v_min_i32_e32 v80, 15, v16
	v_and_b32_sdwa v37, v37, v114 dst_sel:DWORD dst_unused:UNUSED_PAD src0_sel:BYTE_3 src1_sel:DWORD
	v_cndmask_b32_e32 v66, 7, v66, vcc_lo
	v_lshlrev_b32_e32 v80, 3, v80
	v_and_b32_e32 v83, 7, v66
	v_or_b32_e32 v16, v16, v66
	v_or3_b32 v37, v80, v37, v83
	v_cmp_ne_u32_e32 vcc_lo, 0, v16
	v_cndmask_b32_e32 v16, 0, v37, vcc_lo
.LBB6_4352:                             ;   in Loop: Header=BB6_3357 Depth=2
	s_or_b32 exec_lo, exec_lo, s29
.LBB6_4353:                             ;   in Loop: Header=BB6_3357 Depth=2
	s_or_b32 exec_lo, exec_lo, s28
	v_cmp_gt_i16_sdwa s28, v9, v113 src0_sel:BYTE_0 src1_sel:DWORD
	s_mov_b32 s13, 0
	s_and_saveexec_b32 s29, s28
	s_xor_b32 s28, exec_lo, s29
	s_cbranch_execz .LBB6_4623
; %bb.4354:                             ;   in Loop: Header=BB6_3357 Depth=2
	v_cmp_eq_u16_sdwa s40, v9, v114 src0_sel:BYTE_0 src1_sel:DWORD
	s_mov_b32 s13, -1
	s_and_saveexec_b32 s29, s40
; %bb.4355:                             ;   in Loop: Header=BB6_3357 Depth=2
	s_xor_b32 s13, exec_lo, -1
; %bb.4356:                             ;   in Loop: Header=BB6_3357 Depth=2
	s_or_b32 exec_lo, exec_lo, s29
	s_and_b32 s13, s13, exec_lo
	s_or_saveexec_b32 s28, s28
	v_mov_b32_e32 v37, 0x7f800001
	s_xor_b32 exec_lo, exec_lo, s28
	s_cbranch_execnz .LBB6_4624
.LBB6_4357:                             ;   in Loop: Header=BB6_3357 Depth=2
	s_or_b32 exec_lo, exec_lo, s28
	s_and_saveexec_b32 s28, s13
	s_cbranch_execz .LBB6_4359
.LBB6_4358:                             ;   in Loop: Header=BB6_3357 Depth=2
	v_and_b32_e32 v37, 7, v9
	v_lshrrev_b16 v80, 3, v9
	v_ffbh_u32_e32 v66, v37
	v_and_b32_e32 v80, 15, v80
	v_min_u32_e32 v66, 32, v66
	v_cmp_eq_u32_e32 vcc_lo, 0, v80
	v_subrev_nc_u32_e32 v83, 28, v66
	v_sub_nc_u32_e32 v66, 29, v66
	v_lshlrev_b32_e32 v83, v83, v9
	v_lshlrev_b32_e32 v9, 24, v9
	v_cndmask_b32_e32 v66, v80, v66, vcc_lo
	v_and_b32_e32 v83, 7, v83
	v_and_b32_e32 v9, 0x80000000, v9
	v_lshl_add_u32 v66, v66, 23, 0x3b800000
	v_cndmask_b32_e32 v37, v37, v83, vcc_lo
	v_lshlrev_b32_e32 v37, 20, v37
	v_or3_b32 v37, v9, v66, v37
.LBB6_4359:                             ;   in Loop: Header=BB6_3357 Depth=2
	s_or_b32 exec_lo, exec_lo, s28
	s_waitcnt vmcnt(4) lgkmcnt(4)
	v_cmp_gt_i16_sdwa s28, v32, v113 src0_sel:BYTE_0 src1_sel:DWORD
	s_mov_b32 s13, 0
	s_and_saveexec_b32 s29, s28
	s_xor_b32 s28, exec_lo, s29
	s_cbranch_execz .LBB6_4625
; %bb.4360:                             ;   in Loop: Header=BB6_3357 Depth=2
	v_cmp_eq_u16_sdwa s40, v32, v114 src0_sel:BYTE_0 src1_sel:DWORD
	s_mov_b32 s13, -1
	s_and_saveexec_b32 s29, s40
; %bb.4361:                             ;   in Loop: Header=BB6_3357 Depth=2
	s_xor_b32 s13, exec_lo, -1
; %bb.4362:                             ;   in Loop: Header=BB6_3357 Depth=2
	s_or_b32 exec_lo, exec_lo, s29
	s_and_b32 s13, s13, exec_lo
	s_or_saveexec_b32 s28, s28
	v_mov_b32_e32 v9, 0x7f800001
	s_xor_b32 exec_lo, exec_lo, s28
	s_cbranch_execnz .LBB6_4626
.LBB6_4363:                             ;   in Loop: Header=BB6_3357 Depth=2
	s_or_b32 exec_lo, exec_lo, s28
	s_and_saveexec_b32 s28, s13
	s_cbranch_execz .LBB6_4365
.LBB6_4364:                             ;   in Loop: Header=BB6_3357 Depth=2
	v_and_b32_e32 v9, 7, v32
	v_lshrrev_b16 v80, 3, v32
	v_ffbh_u32_e32 v66, v9
	v_and_b32_e32 v80, 15, v80
	v_min_u32_e32 v66, 32, v66
	v_cmp_eq_u32_e32 vcc_lo, 0, v80
	v_subrev_nc_u32_e32 v83, 28, v66
	v_sub_nc_u32_e32 v66, 29, v66
	v_lshlrev_b32_e32 v83, v83, v32
	v_lshlrev_b32_e32 v32, 24, v32
	v_cndmask_b32_e32 v66, v80, v66, vcc_lo
	v_and_b32_e32 v83, 7, v83
	v_and_b32_e32 v32, 0x80000000, v32
	v_lshl_add_u32 v66, v66, 23, 0x3b800000
	v_cndmask_b32_e32 v9, v9, v83, vcc_lo
	v_lshlrev_b32_e32 v9, 20, v9
	v_or3_b32 v9, v32, v66, v9
.LBB6_4365:                             ;   in Loop: Header=BB6_3357 Depth=2
	s_or_b32 exec_lo, exec_lo, s28
	v_add_f32_e32 v32, v37, v9
	v_and_b32_e32 v9, 0x7f800000, v32
	v_cmp_ne_u32_e32 vcc_lo, 0x7f800000, v9
	v_mov_b32_e32 v9, 0x80
	s_and_saveexec_b32 s28, vcc_lo
	s_cbranch_execz .LBB6_4373
; %bb.4366:                             ;   in Loop: Header=BB6_3357 Depth=2
	v_mov_b32_e32 v9, 0
	s_mov_b32 s29, exec_lo
	v_cmpx_ne_u32_e32 0, v32
	s_cbranch_execz .LBB6_4372
; %bb.4367:                             ;   in Loop: Header=BB6_3357 Depth=2
	v_bfe_u32 v9, v32, 23, 8
	v_and_b32_e32 v37, 0x7fffff, v32
	v_sub_nc_u32_e32 v66, 0x78, v9
	v_cmp_gt_u32_e32 vcc_lo, 0x79, v9
	v_or_b32_e32 v80, 0x800000, v37
	v_cndmask_b32_e32 v66, 0, v66, vcc_lo
	v_cmp_eq_u32_e32 vcc_lo, 0, v9
	v_add_nc_u32_e32 v9, 0xffffff89, v9
	v_cndmask_b32_e64 v66, v66, 0x77, vcc_lo
	v_cndmask_b32_e32 v37, v80, v37, vcc_lo
	v_cndmask_b32_e64 v9, v9, 0xffffff8a, vcc_lo
	v_lshl_add_u32 v80, 0x100000, v66, -1
	v_lshrrev_b32_e32 v83, v66, v37
	v_lshlrev_b32_e64 v85, v66, 0x80000
	v_add_nc_u32_e32 v66, v66, v9
	v_and_b32_e32 v37, v80, v37
	v_bfe_u32 v84, v83, 20, 1
	v_cmp_eq_u32_e64 s13, v37, v85
	v_add_nc_u32_e32 v80, -1, v84
	v_cndmask_b32_e64 v37, 0, v80, s13
	v_lshrrev_b32_e32 v80, 23, v83
	s_mov_b32 s13, exec_lo
	v_add_nc_u32_e32 v37, v37, v83
	v_xor_b32_e32 v80, 1, v80
	v_and_b32_e32 v9, 0xfffff, v37
	v_add_nc_u32_e32 v37, v9, v83
                                        ; implicit-def: $vgpr9
	v_cmpx_ne_u32_e64 v66, v80
	s_xor_b32 s13, exec_lo, s13
; %bb.4368:                             ;   in Loop: Header=BB6_3357 Depth=2
	v_cmp_lt_u32_e32 vcc_lo, 0xffffff, v37
	v_sub_nc_u32_e32 v9, v66, v80
	v_cndmask_b32_e64 v66, 0, 1, vcc_lo
	v_add_co_ci_u32_e64 v9, null, 0, v9, vcc_lo
	v_lshrrev_b32_e32 v37, v66, v37
; %bb.4369:                             ;   in Loop: Header=BB6_3357 Depth=2
	s_andn2_saveexec_b32 s13, s13
; %bb.4370:                             ;   in Loop: Header=BB6_3357 Depth=2
	v_bfe_u32 v9, v37, 23, 1
; %bb.4371:                             ;   in Loop: Header=BB6_3357 Depth=2
	s_or_b32 exec_lo, exec_lo, s13
	v_lshrrev_b32_e32 v37, 20, v37
	v_cmp_gt_i32_e32 vcc_lo, 16, v9
	v_min_i32_e32 v66, 15, v9
	v_and_b32_sdwa v32, v32, v114 dst_sel:DWORD dst_unused:UNUSED_PAD src0_sel:BYTE_3 src1_sel:DWORD
	v_cndmask_b32_e32 v37, 7, v37, vcc_lo
	v_lshlrev_b32_e32 v66, 3, v66
	v_and_b32_e32 v80, 7, v37
	v_or_b32_e32 v9, v9, v37
	v_or3_b32 v32, v66, v32, v80
	v_cmp_ne_u32_e32 vcc_lo, 0, v9
	v_cndmask_b32_e32 v9, 0, v32, vcc_lo
.LBB6_4372:                             ;   in Loop: Header=BB6_3357 Depth=2
	s_or_b32 exec_lo, exec_lo, s29
.LBB6_4373:                             ;   in Loop: Header=BB6_3357 Depth=2
	s_or_b32 exec_lo, exec_lo, s28
	v_cmp_gt_i16_sdwa s28, v7, v113 src0_sel:BYTE_0 src1_sel:DWORD
	s_mov_b32 s13, 0
	s_and_saveexec_b32 s29, s28
	s_xor_b32 s28, exec_lo, s29
	s_cbranch_execz .LBB6_4627
; %bb.4374:                             ;   in Loop: Header=BB6_3357 Depth=2
	v_cmp_eq_u16_sdwa s40, v7, v114 src0_sel:BYTE_0 src1_sel:DWORD
	s_mov_b32 s13, -1
	s_and_saveexec_b32 s29, s40
; %bb.4375:                             ;   in Loop: Header=BB6_3357 Depth=2
	s_xor_b32 s13, exec_lo, -1
; %bb.4376:                             ;   in Loop: Header=BB6_3357 Depth=2
	s_or_b32 exec_lo, exec_lo, s29
	s_and_b32 s13, s13, exec_lo
	s_or_saveexec_b32 s28, s28
	v_mov_b32_e32 v32, 0x7f800001
	s_xor_b32 exec_lo, exec_lo, s28
	s_cbranch_execnz .LBB6_4628
.LBB6_4377:                             ;   in Loop: Header=BB6_3357 Depth=2
	s_or_b32 exec_lo, exec_lo, s28
	s_and_saveexec_b32 s28, s13
	s_cbranch_execz .LBB6_4379
.LBB6_4378:                             ;   in Loop: Header=BB6_3357 Depth=2
	v_and_b32_e32 v32, 7, v7
	v_lshrrev_b16 v66, 3, v7
	v_ffbh_u32_e32 v37, v32
	v_and_b32_e32 v66, 15, v66
	v_min_u32_e32 v37, 32, v37
	v_cmp_eq_u32_e32 vcc_lo, 0, v66
	v_subrev_nc_u32_e32 v80, 28, v37
	v_sub_nc_u32_e32 v37, 29, v37
	v_lshlrev_b32_e32 v80, v80, v7
	v_lshlrev_b32_e32 v7, 24, v7
	v_cndmask_b32_e32 v37, v66, v37, vcc_lo
	v_and_b32_e32 v80, 7, v80
	v_and_b32_e32 v7, 0x80000000, v7
	v_lshl_add_u32 v37, v37, 23, 0x3b800000
	v_cndmask_b32_e32 v32, v32, v80, vcc_lo
	v_lshlrev_b32_e32 v32, 20, v32
	v_or3_b32 v32, v7, v37, v32
.LBB6_4379:                             ;   in Loop: Header=BB6_3357 Depth=2
	s_or_b32 exec_lo, exec_lo, s28
	s_waitcnt vmcnt(3) lgkmcnt(3)
	v_cmp_gt_i16_sdwa s28, v26, v113 src0_sel:BYTE_0 src1_sel:DWORD
	s_mov_b32 s13, 0
	s_and_saveexec_b32 s29, s28
	s_xor_b32 s28, exec_lo, s29
	s_cbranch_execz .LBB6_4629
; %bb.4380:                             ;   in Loop: Header=BB6_3357 Depth=2
	v_cmp_eq_u16_sdwa s40, v26, v114 src0_sel:BYTE_0 src1_sel:DWORD
	s_mov_b32 s13, -1
	s_and_saveexec_b32 s29, s40
; %bb.4381:                             ;   in Loop: Header=BB6_3357 Depth=2
	s_xor_b32 s13, exec_lo, -1
; %bb.4382:                             ;   in Loop: Header=BB6_3357 Depth=2
	s_or_b32 exec_lo, exec_lo, s29
	s_and_b32 s13, s13, exec_lo
	s_or_saveexec_b32 s28, s28
	v_mov_b32_e32 v7, 0x7f800001
	s_xor_b32 exec_lo, exec_lo, s28
	s_cbranch_execnz .LBB6_4630
.LBB6_4383:                             ;   in Loop: Header=BB6_3357 Depth=2
	s_or_b32 exec_lo, exec_lo, s28
	s_and_saveexec_b32 s28, s13
	s_cbranch_execz .LBB6_4385
.LBB6_4384:                             ;   in Loop: Header=BB6_3357 Depth=2
	v_and_b32_e32 v7, 7, v26
	v_lshrrev_b16 v66, 3, v26
	v_ffbh_u32_e32 v37, v7
	v_and_b32_e32 v66, 15, v66
	v_min_u32_e32 v37, 32, v37
	v_cmp_eq_u32_e32 vcc_lo, 0, v66
	v_subrev_nc_u32_e32 v80, 28, v37
	v_sub_nc_u32_e32 v37, 29, v37
	v_lshlrev_b32_e32 v80, v80, v26
	v_lshlrev_b32_e32 v26, 24, v26
	v_cndmask_b32_e32 v37, v66, v37, vcc_lo
	v_and_b32_e32 v80, 7, v80
	v_and_b32_e32 v26, 0x80000000, v26
	v_lshl_add_u32 v37, v37, 23, 0x3b800000
	v_cndmask_b32_e32 v7, v7, v80, vcc_lo
	v_lshlrev_b32_e32 v7, 20, v7
	v_or3_b32 v7, v26, v37, v7
.LBB6_4385:                             ;   in Loop: Header=BB6_3357 Depth=2
	s_or_b32 exec_lo, exec_lo, s28
	v_add_f32_e32 v26, v32, v7
	v_and_b32_e32 v7, 0x7f800000, v26
	v_cmp_ne_u32_e32 vcc_lo, 0x7f800000, v7
	v_mov_b32_e32 v7, 0x80
	s_and_saveexec_b32 s28, vcc_lo
	s_cbranch_execz .LBB6_4393
; %bb.4386:                             ;   in Loop: Header=BB6_3357 Depth=2
	v_mov_b32_e32 v7, 0
	s_mov_b32 s29, exec_lo
	v_cmpx_ne_u32_e32 0, v26
	s_cbranch_execz .LBB6_4392
; %bb.4387:                             ;   in Loop: Header=BB6_3357 Depth=2
	v_bfe_u32 v7, v26, 23, 8
	v_and_b32_e32 v32, 0x7fffff, v26
	v_sub_nc_u32_e32 v37, 0x78, v7
	v_cmp_gt_u32_e32 vcc_lo, 0x79, v7
	v_or_b32_e32 v66, 0x800000, v32
	v_cndmask_b32_e32 v37, 0, v37, vcc_lo
	v_cmp_eq_u32_e32 vcc_lo, 0, v7
	v_add_nc_u32_e32 v7, 0xffffff89, v7
	v_cndmask_b32_e64 v37, v37, 0x77, vcc_lo
	v_cndmask_b32_e32 v32, v66, v32, vcc_lo
	v_cndmask_b32_e64 v7, v7, 0xffffff8a, vcc_lo
	v_lshl_add_u32 v66, 0x100000, v37, -1
	v_lshrrev_b32_e32 v80, v37, v32
	v_lshlrev_b32_e64 v84, v37, 0x80000
	v_add_nc_u32_e32 v37, v37, v7
	v_and_b32_e32 v32, v66, v32
	v_bfe_u32 v83, v80, 20, 1
	v_cmp_eq_u32_e64 s13, v32, v84
	v_add_nc_u32_e32 v66, -1, v83
	v_cndmask_b32_e64 v32, 0, v66, s13
	v_lshrrev_b32_e32 v66, 23, v80
	s_mov_b32 s13, exec_lo
	v_add_nc_u32_e32 v32, v32, v80
	v_xor_b32_e32 v66, 1, v66
	v_and_b32_e32 v7, 0xfffff, v32
	v_add_nc_u32_e32 v32, v7, v80
                                        ; implicit-def: $vgpr7
	v_cmpx_ne_u32_e64 v37, v66
	s_xor_b32 s13, exec_lo, s13
; %bb.4388:                             ;   in Loop: Header=BB6_3357 Depth=2
	v_cmp_lt_u32_e32 vcc_lo, 0xffffff, v32
	v_sub_nc_u32_e32 v7, v37, v66
	v_cndmask_b32_e64 v37, 0, 1, vcc_lo
	v_add_co_ci_u32_e64 v7, null, 0, v7, vcc_lo
	v_lshrrev_b32_e32 v32, v37, v32
; %bb.4389:                             ;   in Loop: Header=BB6_3357 Depth=2
	s_andn2_saveexec_b32 s13, s13
; %bb.4390:                             ;   in Loop: Header=BB6_3357 Depth=2
	v_bfe_u32 v7, v32, 23, 1
; %bb.4391:                             ;   in Loop: Header=BB6_3357 Depth=2
	s_or_b32 exec_lo, exec_lo, s13
	v_lshrrev_b32_e32 v32, 20, v32
	v_cmp_gt_i32_e32 vcc_lo, 16, v7
	v_min_i32_e32 v37, 15, v7
	v_and_b32_sdwa v26, v26, v114 dst_sel:DWORD dst_unused:UNUSED_PAD src0_sel:BYTE_3 src1_sel:DWORD
	v_cndmask_b32_e32 v32, 7, v32, vcc_lo
	v_lshlrev_b32_e32 v37, 3, v37
	v_and_b32_e32 v66, 7, v32
	v_or_b32_e32 v7, v7, v32
	v_or3_b32 v26, v37, v26, v66
	v_cmp_ne_u32_e32 vcc_lo, 0, v7
	v_cndmask_b32_e32 v7, 0, v26, vcc_lo
.LBB6_4392:                             ;   in Loop: Header=BB6_3357 Depth=2
	s_or_b32 exec_lo, exec_lo, s29
.LBB6_4393:                             ;   in Loop: Header=BB6_3357 Depth=2
	s_or_b32 exec_lo, exec_lo, s28
	v_cmp_gt_i16_sdwa s28, v5, v113 src0_sel:BYTE_0 src1_sel:DWORD
	s_mov_b32 s13, 0
	s_and_saveexec_b32 s29, s28
	s_xor_b32 s28, exec_lo, s29
	s_cbranch_execz .LBB6_4631
; %bb.4394:                             ;   in Loop: Header=BB6_3357 Depth=2
	v_cmp_eq_u16_sdwa s40, v5, v114 src0_sel:BYTE_0 src1_sel:DWORD
	s_mov_b32 s13, -1
	s_and_saveexec_b32 s29, s40
; %bb.4395:                             ;   in Loop: Header=BB6_3357 Depth=2
	s_xor_b32 s13, exec_lo, -1
; %bb.4396:                             ;   in Loop: Header=BB6_3357 Depth=2
	s_or_b32 exec_lo, exec_lo, s29
	s_and_b32 s13, s13, exec_lo
	s_or_saveexec_b32 s28, s28
	v_mov_b32_e32 v26, 0x7f800001
	s_xor_b32 exec_lo, exec_lo, s28
	s_cbranch_execnz .LBB6_4632
.LBB6_4397:                             ;   in Loop: Header=BB6_3357 Depth=2
	s_or_b32 exec_lo, exec_lo, s28
	s_and_saveexec_b32 s28, s13
	s_cbranch_execz .LBB6_4399
.LBB6_4398:                             ;   in Loop: Header=BB6_3357 Depth=2
	v_and_b32_e32 v26, 7, v5
	v_lshrrev_b16 v37, 3, v5
	v_ffbh_u32_e32 v32, v26
	v_and_b32_e32 v37, 15, v37
	v_min_u32_e32 v32, 32, v32
	v_cmp_eq_u32_e32 vcc_lo, 0, v37
	v_subrev_nc_u32_e32 v66, 28, v32
	v_sub_nc_u32_e32 v32, 29, v32
	v_lshlrev_b32_e32 v66, v66, v5
	v_lshlrev_b32_e32 v5, 24, v5
	v_cndmask_b32_e32 v32, v37, v32, vcc_lo
	v_and_b32_e32 v66, 7, v66
	v_and_b32_e32 v5, 0x80000000, v5
	v_lshl_add_u32 v32, v32, 23, 0x3b800000
	v_cndmask_b32_e32 v26, v26, v66, vcc_lo
	v_lshlrev_b32_e32 v26, 20, v26
	v_or3_b32 v26, v5, v32, v26
.LBB6_4399:                             ;   in Loop: Header=BB6_3357 Depth=2
	s_or_b32 exec_lo, exec_lo, s28
	s_waitcnt vmcnt(2) lgkmcnt(2)
	v_cmp_gt_i16_sdwa s28, v22, v113 src0_sel:BYTE_0 src1_sel:DWORD
	s_mov_b32 s13, 0
	s_and_saveexec_b32 s29, s28
	s_xor_b32 s28, exec_lo, s29
	s_cbranch_execz .LBB6_4633
; %bb.4400:                             ;   in Loop: Header=BB6_3357 Depth=2
	v_cmp_eq_u16_sdwa s40, v22, v114 src0_sel:BYTE_0 src1_sel:DWORD
	s_mov_b32 s13, -1
	s_and_saveexec_b32 s29, s40
; %bb.4401:                             ;   in Loop: Header=BB6_3357 Depth=2
	s_xor_b32 s13, exec_lo, -1
; %bb.4402:                             ;   in Loop: Header=BB6_3357 Depth=2
	s_or_b32 exec_lo, exec_lo, s29
	s_and_b32 s13, s13, exec_lo
	s_or_saveexec_b32 s28, s28
	v_mov_b32_e32 v5, 0x7f800001
	s_xor_b32 exec_lo, exec_lo, s28
	s_cbranch_execnz .LBB6_4634
.LBB6_4403:                             ;   in Loop: Header=BB6_3357 Depth=2
	s_or_b32 exec_lo, exec_lo, s28
	s_and_saveexec_b32 s28, s13
	s_cbranch_execz .LBB6_4405
.LBB6_4404:                             ;   in Loop: Header=BB6_3357 Depth=2
	v_and_b32_e32 v5, 7, v22
	v_lshrrev_b16 v37, 3, v22
	v_ffbh_u32_e32 v32, v5
	v_and_b32_e32 v37, 15, v37
	v_min_u32_e32 v32, 32, v32
	v_cmp_eq_u32_e32 vcc_lo, 0, v37
	v_subrev_nc_u32_e32 v66, 28, v32
	v_sub_nc_u32_e32 v32, 29, v32
	v_lshlrev_b32_e32 v66, v66, v22
	v_lshlrev_b32_e32 v22, 24, v22
	v_cndmask_b32_e32 v32, v37, v32, vcc_lo
	v_and_b32_e32 v66, 7, v66
	v_and_b32_e32 v22, 0x80000000, v22
	v_lshl_add_u32 v32, v32, 23, 0x3b800000
	v_cndmask_b32_e32 v5, v5, v66, vcc_lo
	v_lshlrev_b32_e32 v5, 20, v5
	v_or3_b32 v5, v22, v32, v5
.LBB6_4405:                             ;   in Loop: Header=BB6_3357 Depth=2
	s_or_b32 exec_lo, exec_lo, s28
	v_add_f32_e32 v22, v26, v5
	v_and_b32_e32 v5, 0x7f800000, v22
	v_cmp_ne_u32_e32 vcc_lo, 0x7f800000, v5
	v_mov_b32_e32 v5, 0x80
	s_and_saveexec_b32 s28, vcc_lo
	s_cbranch_execz .LBB6_4413
; %bb.4406:                             ;   in Loop: Header=BB6_3357 Depth=2
	v_mov_b32_e32 v5, 0
	s_mov_b32 s29, exec_lo
	v_cmpx_ne_u32_e32 0, v22
	s_cbranch_execz .LBB6_4412
; %bb.4407:                             ;   in Loop: Header=BB6_3357 Depth=2
	v_bfe_u32 v5, v22, 23, 8
	v_and_b32_e32 v26, 0x7fffff, v22
	v_sub_nc_u32_e32 v32, 0x78, v5
	v_cmp_gt_u32_e32 vcc_lo, 0x79, v5
	v_or_b32_e32 v37, 0x800000, v26
	v_cndmask_b32_e32 v32, 0, v32, vcc_lo
	v_cmp_eq_u32_e32 vcc_lo, 0, v5
	v_add_nc_u32_e32 v5, 0xffffff89, v5
	v_cndmask_b32_e64 v32, v32, 0x77, vcc_lo
	v_cndmask_b32_e32 v26, v37, v26, vcc_lo
	v_cndmask_b32_e64 v5, v5, 0xffffff8a, vcc_lo
	v_lshl_add_u32 v37, 0x100000, v32, -1
	v_lshrrev_b32_e32 v66, v32, v26
	v_lshlrev_b32_e64 v83, v32, 0x80000
	v_add_nc_u32_e32 v32, v32, v5
	v_and_b32_e32 v26, v37, v26
	v_bfe_u32 v80, v66, 20, 1
	v_cmp_eq_u32_e64 s13, v26, v83
	v_add_nc_u32_e32 v37, -1, v80
	v_cndmask_b32_e64 v26, 0, v37, s13
	v_lshrrev_b32_e32 v37, 23, v66
	s_mov_b32 s13, exec_lo
	v_add_nc_u32_e32 v26, v26, v66
	v_xor_b32_e32 v37, 1, v37
	v_and_b32_e32 v5, 0xfffff, v26
	v_add_nc_u32_e32 v26, v5, v66
                                        ; implicit-def: $vgpr5
	v_cmpx_ne_u32_e64 v32, v37
	s_xor_b32 s13, exec_lo, s13
; %bb.4408:                             ;   in Loop: Header=BB6_3357 Depth=2
	v_cmp_lt_u32_e32 vcc_lo, 0xffffff, v26
	v_sub_nc_u32_e32 v5, v32, v37
	v_cndmask_b32_e64 v32, 0, 1, vcc_lo
	v_add_co_ci_u32_e64 v5, null, 0, v5, vcc_lo
	v_lshrrev_b32_e32 v26, v32, v26
; %bb.4409:                             ;   in Loop: Header=BB6_3357 Depth=2
	s_andn2_saveexec_b32 s13, s13
; %bb.4410:                             ;   in Loop: Header=BB6_3357 Depth=2
	v_bfe_u32 v5, v26, 23, 1
; %bb.4411:                             ;   in Loop: Header=BB6_3357 Depth=2
	s_or_b32 exec_lo, exec_lo, s13
	v_lshrrev_b32_e32 v26, 20, v26
	v_cmp_gt_i32_e32 vcc_lo, 16, v5
	v_min_i32_e32 v32, 15, v5
	v_and_b32_sdwa v22, v22, v114 dst_sel:DWORD dst_unused:UNUSED_PAD src0_sel:BYTE_3 src1_sel:DWORD
	v_cndmask_b32_e32 v26, 7, v26, vcc_lo
	v_lshlrev_b32_e32 v32, 3, v32
	v_and_b32_e32 v37, 7, v26
	v_or_b32_e32 v5, v5, v26
	v_or3_b32 v22, v32, v22, v37
	v_cmp_ne_u32_e32 vcc_lo, 0, v5
	v_cndmask_b32_e32 v5, 0, v22, vcc_lo
.LBB6_4412:                             ;   in Loop: Header=BB6_3357 Depth=2
	s_or_b32 exec_lo, exec_lo, s29
.LBB6_4413:                             ;   in Loop: Header=BB6_3357 Depth=2
	s_or_b32 exec_lo, exec_lo, s28
	v_cmp_gt_i16_sdwa s28, v4, v113 src0_sel:BYTE_0 src1_sel:DWORD
	s_mov_b32 s13, 0
	s_and_saveexec_b32 s29, s28
	s_xor_b32 s28, exec_lo, s29
	s_cbranch_execz .LBB6_4635
; %bb.4414:                             ;   in Loop: Header=BB6_3357 Depth=2
	v_cmp_eq_u16_sdwa s40, v4, v114 src0_sel:BYTE_0 src1_sel:DWORD
	s_mov_b32 s13, -1
	s_and_saveexec_b32 s29, s40
; %bb.4415:                             ;   in Loop: Header=BB6_3357 Depth=2
	s_xor_b32 s13, exec_lo, -1
; %bb.4416:                             ;   in Loop: Header=BB6_3357 Depth=2
	s_or_b32 exec_lo, exec_lo, s29
	s_and_b32 s13, s13, exec_lo
	s_or_saveexec_b32 s28, s28
	v_mov_b32_e32 v22, 0x7f800001
	s_xor_b32 exec_lo, exec_lo, s28
	s_cbranch_execnz .LBB6_4636
.LBB6_4417:                             ;   in Loop: Header=BB6_3357 Depth=2
	s_or_b32 exec_lo, exec_lo, s28
	s_and_saveexec_b32 s28, s13
	s_cbranch_execz .LBB6_4419
.LBB6_4418:                             ;   in Loop: Header=BB6_3357 Depth=2
	v_and_b32_e32 v22, 7, v4
	v_lshrrev_b16 v32, 3, v4
	v_ffbh_u32_e32 v26, v22
	v_and_b32_e32 v32, 15, v32
	v_min_u32_e32 v26, 32, v26
	v_cmp_eq_u32_e32 vcc_lo, 0, v32
	v_subrev_nc_u32_e32 v37, 28, v26
	v_sub_nc_u32_e32 v26, 29, v26
	v_lshlrev_b32_e32 v37, v37, v4
	v_lshlrev_b32_e32 v4, 24, v4
	v_cndmask_b32_e32 v26, v32, v26, vcc_lo
	v_and_b32_e32 v37, 7, v37
	v_and_b32_e32 v4, 0x80000000, v4
	v_lshl_add_u32 v26, v26, 23, 0x3b800000
	v_cndmask_b32_e32 v22, v22, v37, vcc_lo
	v_lshlrev_b32_e32 v22, 20, v22
	v_or3_b32 v22, v4, v26, v22
.LBB6_4419:                             ;   in Loop: Header=BB6_3357 Depth=2
	s_or_b32 exec_lo, exec_lo, s28
	s_waitcnt vmcnt(1) lgkmcnt(1)
	v_cmp_gt_i16_sdwa s28, v8, v113 src0_sel:BYTE_0 src1_sel:DWORD
	s_mov_b32 s13, 0
	s_and_saveexec_b32 s29, s28
	s_xor_b32 s28, exec_lo, s29
	s_cbranch_execz .LBB6_4637
; %bb.4420:                             ;   in Loop: Header=BB6_3357 Depth=2
	v_cmp_eq_u16_sdwa s40, v8, v114 src0_sel:BYTE_0 src1_sel:DWORD
	s_mov_b32 s13, -1
	s_and_saveexec_b32 s29, s40
; %bb.4421:                             ;   in Loop: Header=BB6_3357 Depth=2
	s_xor_b32 s13, exec_lo, -1
; %bb.4422:                             ;   in Loop: Header=BB6_3357 Depth=2
	s_or_b32 exec_lo, exec_lo, s29
	s_and_b32 s13, s13, exec_lo
	s_or_saveexec_b32 s28, s28
	v_mov_b32_e32 v4, 0x7f800001
	s_xor_b32 exec_lo, exec_lo, s28
	s_cbranch_execnz .LBB6_4638
.LBB6_4423:                             ;   in Loop: Header=BB6_3357 Depth=2
	s_or_b32 exec_lo, exec_lo, s28
	s_and_saveexec_b32 s28, s13
	s_cbranch_execz .LBB6_4425
.LBB6_4424:                             ;   in Loop: Header=BB6_3357 Depth=2
	v_and_b32_e32 v4, 7, v8
	v_lshrrev_b16 v32, 3, v8
	v_ffbh_u32_e32 v26, v4
	v_and_b32_e32 v32, 15, v32
	v_min_u32_e32 v26, 32, v26
	v_cmp_eq_u32_e32 vcc_lo, 0, v32
	v_subrev_nc_u32_e32 v37, 28, v26
	v_sub_nc_u32_e32 v26, 29, v26
	v_lshlrev_b32_e32 v37, v37, v8
	v_lshlrev_b32_e32 v8, 24, v8
	v_cndmask_b32_e32 v26, v32, v26, vcc_lo
	v_and_b32_e32 v37, 7, v37
	v_and_b32_e32 v8, 0x80000000, v8
	v_lshl_add_u32 v26, v26, 23, 0x3b800000
	v_cndmask_b32_e32 v4, v4, v37, vcc_lo
	v_lshlrev_b32_e32 v4, 20, v4
	v_or3_b32 v4, v8, v26, v4
.LBB6_4425:                             ;   in Loop: Header=BB6_3357 Depth=2
	s_or_b32 exec_lo, exec_lo, s28
	v_add_f32_e32 v8, v22, v4
	v_and_b32_e32 v4, 0x7f800000, v8
	v_cmp_ne_u32_e32 vcc_lo, 0x7f800000, v4
	v_mov_b32_e32 v4, 0x80
	s_and_saveexec_b32 s28, vcc_lo
	s_cbranch_execz .LBB6_4433
; %bb.4426:                             ;   in Loop: Header=BB6_3357 Depth=2
	v_mov_b32_e32 v4, 0
	s_mov_b32 s29, exec_lo
	v_cmpx_ne_u32_e32 0, v8
	s_cbranch_execz .LBB6_4432
; %bb.4427:                             ;   in Loop: Header=BB6_3357 Depth=2
	v_bfe_u32 v4, v8, 23, 8
	v_and_b32_e32 v22, 0x7fffff, v8
	v_sub_nc_u32_e32 v26, 0x78, v4
	v_cmp_gt_u32_e32 vcc_lo, 0x79, v4
	v_or_b32_e32 v32, 0x800000, v22
	v_cndmask_b32_e32 v26, 0, v26, vcc_lo
	v_cmp_eq_u32_e32 vcc_lo, 0, v4
	v_add_nc_u32_e32 v4, 0xffffff89, v4
	v_cndmask_b32_e64 v26, v26, 0x77, vcc_lo
	v_cndmask_b32_e32 v22, v32, v22, vcc_lo
	v_cndmask_b32_e64 v4, v4, 0xffffff8a, vcc_lo
	v_lshl_add_u32 v32, 0x100000, v26, -1
	v_lshrrev_b32_e32 v37, v26, v22
	v_lshlrev_b32_e64 v80, v26, 0x80000
	v_add_nc_u32_e32 v26, v26, v4
	v_and_b32_e32 v22, v32, v22
	v_bfe_u32 v66, v37, 20, 1
	v_cmp_eq_u32_e64 s13, v22, v80
	v_add_nc_u32_e32 v32, -1, v66
	v_cndmask_b32_e64 v22, 0, v32, s13
	v_lshrrev_b32_e32 v32, 23, v37
	s_mov_b32 s13, exec_lo
	v_add_nc_u32_e32 v22, v22, v37
	v_xor_b32_e32 v32, 1, v32
	v_and_b32_e32 v4, 0xfffff, v22
	v_add_nc_u32_e32 v22, v4, v37
                                        ; implicit-def: $vgpr4
	v_cmpx_ne_u32_e64 v26, v32
	s_xor_b32 s13, exec_lo, s13
; %bb.4428:                             ;   in Loop: Header=BB6_3357 Depth=2
	v_cmp_lt_u32_e32 vcc_lo, 0xffffff, v22
	v_sub_nc_u32_e32 v4, v26, v32
	v_cndmask_b32_e64 v26, 0, 1, vcc_lo
	v_add_co_ci_u32_e64 v4, null, 0, v4, vcc_lo
	v_lshrrev_b32_e32 v22, v26, v22
; %bb.4429:                             ;   in Loop: Header=BB6_3357 Depth=2
	s_andn2_saveexec_b32 s13, s13
; %bb.4430:                             ;   in Loop: Header=BB6_3357 Depth=2
	v_bfe_u32 v4, v22, 23, 1
; %bb.4431:                             ;   in Loop: Header=BB6_3357 Depth=2
	s_or_b32 exec_lo, exec_lo, s13
	v_lshrrev_b32_e32 v22, 20, v22
	v_cmp_gt_i32_e32 vcc_lo, 16, v4
	v_min_i32_e32 v26, 15, v4
	v_and_b32_sdwa v8, v8, v114 dst_sel:DWORD dst_unused:UNUSED_PAD src0_sel:BYTE_3 src1_sel:DWORD
	v_cndmask_b32_e32 v22, 7, v22, vcc_lo
	v_lshlrev_b32_e32 v26, 3, v26
	v_and_b32_e32 v32, 7, v22
	v_or_b32_e32 v4, v4, v22
	v_or3_b32 v8, v26, v8, v32
	v_cmp_ne_u32_e32 vcc_lo, 0, v4
	v_cndmask_b32_e32 v4, 0, v8, vcc_lo
.LBB6_4432:                             ;   in Loop: Header=BB6_3357 Depth=2
	s_or_b32 exec_lo, exec_lo, s29
.LBB6_4433:                             ;   in Loop: Header=BB6_3357 Depth=2
	s_or_b32 exec_lo, exec_lo, s28
	v_cmp_gt_i16_sdwa s28, v1, v113 src0_sel:BYTE_0 src1_sel:DWORD
	s_mov_b32 s13, 0
	s_and_saveexec_b32 s29, s28
	s_xor_b32 s28, exec_lo, s29
	s_cbranch_execz .LBB6_4639
; %bb.4434:                             ;   in Loop: Header=BB6_3357 Depth=2
	v_cmp_eq_u16_sdwa s40, v1, v114 src0_sel:BYTE_0 src1_sel:DWORD
	s_mov_b32 s13, -1
	s_and_saveexec_b32 s29, s40
; %bb.4435:                             ;   in Loop: Header=BB6_3357 Depth=2
	s_xor_b32 s13, exec_lo, -1
; %bb.4436:                             ;   in Loop: Header=BB6_3357 Depth=2
	s_or_b32 exec_lo, exec_lo, s29
	s_and_b32 s13, s13, exec_lo
	s_or_saveexec_b32 s28, s28
	v_mov_b32_e32 v8, 0x7f800001
	s_xor_b32 exec_lo, exec_lo, s28
	s_cbranch_execnz .LBB6_4640
.LBB6_4437:                             ;   in Loop: Header=BB6_3357 Depth=2
	s_or_b32 exec_lo, exec_lo, s28
	s_and_saveexec_b32 s28, s13
	s_cbranch_execz .LBB6_4439
.LBB6_4438:                             ;   in Loop: Header=BB6_3357 Depth=2
	v_and_b32_e32 v8, 7, v1
	v_lshrrev_b16 v26, 3, v1
	v_ffbh_u32_e32 v22, v8
	v_and_b32_e32 v26, 15, v26
	v_min_u32_e32 v22, 32, v22
	v_cmp_eq_u32_e32 vcc_lo, 0, v26
	v_subrev_nc_u32_e32 v32, 28, v22
	v_sub_nc_u32_e32 v22, 29, v22
	v_lshlrev_b32_e32 v32, v32, v1
	v_lshlrev_b32_e32 v1, 24, v1
	v_cndmask_b32_e32 v22, v26, v22, vcc_lo
	v_and_b32_e32 v32, 7, v32
	v_and_b32_e32 v1, 0x80000000, v1
	v_lshl_add_u32 v22, v22, 23, 0x3b800000
	v_cndmask_b32_e32 v8, v8, v32, vcc_lo
	v_lshlrev_b32_e32 v8, 20, v8
	v_or3_b32 v8, v1, v22, v8
.LBB6_4439:                             ;   in Loop: Header=BB6_3357 Depth=2
	s_or_b32 exec_lo, exec_lo, s28
	s_waitcnt vmcnt(0) lgkmcnt(0)
	v_cmp_gt_i16_sdwa s28, v0, v113 src0_sel:BYTE_0 src1_sel:DWORD
	s_mov_b32 s13, 0
	s_and_saveexec_b32 s29, s28
	s_xor_b32 s28, exec_lo, s29
	s_cbranch_execz .LBB6_4641
; %bb.4440:                             ;   in Loop: Header=BB6_3357 Depth=2
	v_cmp_eq_u16_sdwa s40, v0, v114 src0_sel:BYTE_0 src1_sel:DWORD
	s_mov_b32 s13, -1
	s_and_saveexec_b32 s29, s40
; %bb.4441:                             ;   in Loop: Header=BB6_3357 Depth=2
	s_xor_b32 s13, exec_lo, -1
; %bb.4442:                             ;   in Loop: Header=BB6_3357 Depth=2
	s_or_b32 exec_lo, exec_lo, s29
	s_and_b32 s13, s13, exec_lo
	s_or_saveexec_b32 s28, s28
	v_mov_b32_e32 v1, 0x7f800001
	s_xor_b32 exec_lo, exec_lo, s28
	s_cbranch_execnz .LBB6_4642
.LBB6_4443:                             ;   in Loop: Header=BB6_3357 Depth=2
	s_or_b32 exec_lo, exec_lo, s28
	s_and_saveexec_b32 s28, s13
	s_cbranch_execz .LBB6_4445
.LBB6_4444:                             ;   in Loop: Header=BB6_3357 Depth=2
	v_and_b32_e32 v1, 7, v0
	v_lshrrev_b16 v26, 3, v0
	v_ffbh_u32_e32 v22, v1
	v_and_b32_e32 v26, 15, v26
	v_min_u32_e32 v22, 32, v22
	v_cmp_eq_u32_e32 vcc_lo, 0, v26
	v_subrev_nc_u32_e32 v32, 28, v22
	v_sub_nc_u32_e32 v22, 29, v22
	v_lshlrev_b32_e32 v32, v32, v0
	v_lshlrev_b32_e32 v0, 24, v0
	v_cndmask_b32_e32 v22, v26, v22, vcc_lo
	v_and_b32_e32 v32, 7, v32
	v_and_b32_e32 v0, 0x80000000, v0
	v_lshl_add_u32 v22, v22, 23, 0x3b800000
	v_cndmask_b32_e32 v1, v1, v32, vcc_lo
	v_lshlrev_b32_e32 v1, 20, v1
	v_or3_b32 v1, v0, v22, v1
.LBB6_4445:                             ;   in Loop: Header=BB6_3357 Depth=2
	s_or_b32 exec_lo, exec_lo, s28
	v_add_f32_e32 v1, v8, v1
	v_and_b32_e32 v0, 0x7f800000, v1
	v_cmp_ne_u32_e32 vcc_lo, 0x7f800000, v0
	v_mov_b32_e32 v0, 0x80
	s_and_saveexec_b32 s28, vcc_lo
	s_cbranch_execz .LBB6_3356
; %bb.4446:                             ;   in Loop: Header=BB6_3357 Depth=2
	v_mov_b32_e32 v0, 0
	s_mov_b32 s29, exec_lo
	v_cmpx_ne_u32_e32 0, v1
	s_cbranch_execz .LBB6_3355
; %bb.4447:                             ;   in Loop: Header=BB6_3357 Depth=2
	v_bfe_u32 v0, v1, 23, 8
	v_and_b32_e32 v8, 0x7fffff, v1
	v_sub_nc_u32_e32 v22, 0x78, v0
	v_cmp_gt_u32_e32 vcc_lo, 0x79, v0
	v_or_b32_e32 v26, 0x800000, v8
	v_cndmask_b32_e32 v22, 0, v22, vcc_lo
	v_cmp_eq_u32_e32 vcc_lo, 0, v0
	v_add_nc_u32_e32 v0, 0xffffff89, v0
	v_cndmask_b32_e64 v22, v22, 0x77, vcc_lo
	v_cndmask_b32_e32 v8, v26, v8, vcc_lo
	v_cndmask_b32_e64 v0, v0, 0xffffff8a, vcc_lo
	v_lshl_add_u32 v26, 0x100000, v22, -1
	v_lshrrev_b32_e32 v32, v22, v8
	v_lshlrev_b32_e64 v66, v22, 0x80000
	v_add_nc_u32_e32 v22, v22, v0
	v_and_b32_e32 v8, v26, v8
	v_bfe_u32 v37, v32, 20, 1
	v_cmp_eq_u32_e64 s13, v8, v66
	v_add_nc_u32_e32 v26, -1, v37
	v_cndmask_b32_e64 v8, 0, v26, s13
	v_lshrrev_b32_e32 v26, 23, v32
	s_mov_b32 s13, exec_lo
	v_add_nc_u32_e32 v8, v8, v32
	v_xor_b32_e32 v26, 1, v26
	v_and_b32_e32 v0, 0xfffff, v8
	v_add_nc_u32_e32 v8, v0, v32
                                        ; implicit-def: $vgpr0
	v_cmpx_ne_u32_e64 v22, v26
	s_xor_b32 s13, exec_lo, s13
; %bb.4448:                             ;   in Loop: Header=BB6_3357 Depth=2
	v_cmp_lt_u32_e32 vcc_lo, 0xffffff, v8
	v_sub_nc_u32_e32 v0, v22, v26
	v_cndmask_b32_e64 v22, 0, 1, vcc_lo
	v_add_co_ci_u32_e64 v0, null, 0, v0, vcc_lo
	v_lshrrev_b32_e32 v8, v22, v8
; %bb.4449:                             ;   in Loop: Header=BB6_3357 Depth=2
	s_andn2_saveexec_b32 s13, s13
	s_cbranch_execz .LBB6_3354
; %bb.4450:                             ;   in Loop: Header=BB6_3357 Depth=2
	v_bfe_u32 v0, v8, 23, 1
	s_branch .LBB6_3354
.LBB6_4451:                             ;   in Loop: Header=BB6_3357 Depth=2
	s_or_saveexec_b32 s28, s28
	v_mov_b32_e32 v4, 0x7f800001
	s_xor_b32 exec_lo, exec_lo, s28
	s_cbranch_execz .LBB6_3369
.LBB6_4452:                             ;   in Loop: Header=BB6_3357 Depth=2
	v_cmp_ne_u16_e32 vcc_lo, 0, v1
	v_mov_b32_e32 v4, 0
	s_andn2_b32 s13, s13, exec_lo
	s_and_b32 s29, vcc_lo, exec_lo
	s_or_b32 s13, s13, s29
	s_or_b32 exec_lo, exec_lo, s28
	s_and_saveexec_b32 s28, s13
	s_cbranch_execnz .LBB6_3370
	s_branch .LBB6_3371
.LBB6_4453:                             ;   in Loop: Header=BB6_3357 Depth=2
	s_or_saveexec_b32 s28, s28
	v_mov_b32_e32 v4, 0x7f800001
	s_xor_b32 exec_lo, exec_lo, s28
	s_cbranch_execz .LBB6_3383
.LBB6_4454:                             ;   in Loop: Header=BB6_3357 Depth=2
	v_cmp_ne_u16_e32 vcc_lo, 0, v1
	v_mov_b32_e32 v4, 0
	s_andn2_b32 s13, s13, exec_lo
	s_and_b32 s29, vcc_lo, exec_lo
	s_or_b32 s13, s13, s29
	s_or_b32 exec_lo, exec_lo, s28
	s_and_saveexec_b32 s28, s13
	s_cbranch_execnz .LBB6_3384
	s_branch .LBB6_3385
.LBB6_4455:                             ;   in Loop: Header=BB6_3357 Depth=2
	s_or_saveexec_b32 s28, s28
	v_mov_b32_e32 v4, 0x7f800001
	s_xor_b32 exec_lo, exec_lo, s28
	s_cbranch_execz .LBB6_3397
.LBB6_4456:                             ;   in Loop: Header=BB6_3357 Depth=2
	v_cmp_ne_u16_e32 vcc_lo, 0, v1
	v_mov_b32_e32 v4, 0
	s_andn2_b32 s13, s13, exec_lo
	s_and_b32 s29, vcc_lo, exec_lo
	s_or_b32 s13, s13, s29
	s_or_b32 exec_lo, exec_lo, s28
	s_and_saveexec_b32 s28, s13
	s_cbranch_execnz .LBB6_3398
	s_branch .LBB6_3399
.LBB6_4457:                             ;   in Loop: Header=BB6_3357 Depth=2
	s_or_saveexec_b32 s28, s28
	v_mov_b32_e32 v4, 0x7f800001
	s_xor_b32 exec_lo, exec_lo, s28
	s_cbranch_execz .LBB6_3411
.LBB6_4458:                             ;   in Loop: Header=BB6_3357 Depth=2
	v_cmp_ne_u16_e32 vcc_lo, 0, v1
	v_mov_b32_e32 v4, 0
	s_andn2_b32 s13, s13, exec_lo
	s_and_b32 s29, vcc_lo, exec_lo
	s_or_b32 s13, s13, s29
	s_or_b32 exec_lo, exec_lo, s28
	s_and_saveexec_b32 s28, s13
	s_cbranch_execnz .LBB6_3412
	s_branch .LBB6_3413
.LBB6_4459:                             ;   in Loop: Header=BB6_3357 Depth=2
	s_or_saveexec_b32 s28, s28
	v_mov_b32_e32 v4, 0x7f800001
	s_xor_b32 exec_lo, exec_lo, s28
	s_cbranch_execz .LBB6_3425
.LBB6_4460:                             ;   in Loop: Header=BB6_3357 Depth=2
	v_cmp_ne_u16_e32 vcc_lo, 0, v1
	v_mov_b32_e32 v4, 0
	s_andn2_b32 s13, s13, exec_lo
	s_and_b32 s29, vcc_lo, exec_lo
	s_or_b32 s13, s13, s29
	s_or_b32 exec_lo, exec_lo, s28
	s_and_saveexec_b32 s28, s13
	s_cbranch_execnz .LBB6_3426
	s_branch .LBB6_3427
.LBB6_4461:                             ;   in Loop: Header=BB6_3357 Depth=2
	s_or_saveexec_b32 s28, s28
	v_mov_b32_e32 v4, 0x7f800001
	s_xor_b32 exec_lo, exec_lo, s28
	s_cbranch_execz .LBB6_3439
.LBB6_4462:                             ;   in Loop: Header=BB6_3357 Depth=2
	v_cmp_ne_u16_e32 vcc_lo, 0, v1
	v_mov_b32_e32 v4, 0
	s_andn2_b32 s13, s13, exec_lo
	s_and_b32 s29, vcc_lo, exec_lo
	s_or_b32 s13, s13, s29
	s_or_b32 exec_lo, exec_lo, s28
	s_and_saveexec_b32 s28, s13
	s_cbranch_execnz .LBB6_3440
	s_branch .LBB6_3441
.LBB6_4463:                             ;   in Loop: Header=BB6_3357 Depth=2
	s_or_saveexec_b32 s28, s28
	v_mov_b32_e32 v4, 0x7f800001
	s_xor_b32 exec_lo, exec_lo, s28
	s_cbranch_execz .LBB6_3453
.LBB6_4464:                             ;   in Loop: Header=BB6_3357 Depth=2
	v_cmp_ne_u16_e32 vcc_lo, 0, v1
	v_mov_b32_e32 v4, 0
	s_andn2_b32 s13, s13, exec_lo
	s_and_b32 s29, vcc_lo, exec_lo
	s_or_b32 s13, s13, s29
	s_or_b32 exec_lo, exec_lo, s28
	s_and_saveexec_b32 s28, s13
	s_cbranch_execnz .LBB6_3454
	s_branch .LBB6_3455
.LBB6_4465:                             ;   in Loop: Header=BB6_3357 Depth=2
	s_or_saveexec_b32 s28, s28
	v_mov_b32_e32 v4, 0x7f800001
	s_xor_b32 exec_lo, exec_lo, s28
	s_cbranch_execz .LBB6_3467
.LBB6_4466:                             ;   in Loop: Header=BB6_3357 Depth=2
	v_cmp_ne_u16_e32 vcc_lo, 0, v1
	v_mov_b32_e32 v4, 0
	s_andn2_b32 s13, s13, exec_lo
	s_and_b32 s29, vcc_lo, exec_lo
	s_or_b32 s13, s13, s29
	s_or_b32 exec_lo, exec_lo, s28
	s_and_saveexec_b32 s28, s13
	s_cbranch_execnz .LBB6_3468
	s_branch .LBB6_3469
.LBB6_4467:                             ;   in Loop: Header=BB6_3357 Depth=2
	s_or_saveexec_b32 s28, s28
	v_mov_b32_e32 v4, 0x7f800001
	s_xor_b32 exec_lo, exec_lo, s28
	s_cbranch_execz .LBB6_3481
.LBB6_4468:                             ;   in Loop: Header=BB6_3357 Depth=2
	v_cmp_ne_u16_e32 vcc_lo, 0, v1
	v_mov_b32_e32 v4, 0
	s_andn2_b32 s13, s13, exec_lo
	s_and_b32 s29, vcc_lo, exec_lo
	s_or_b32 s13, s13, s29
	s_or_b32 exec_lo, exec_lo, s28
	s_and_saveexec_b32 s28, s13
	s_cbranch_execnz .LBB6_3482
	s_branch .LBB6_3483
.LBB6_4469:                             ;   in Loop: Header=BB6_3357 Depth=2
	s_or_saveexec_b32 s28, s28
	v_mov_b32_e32 v4, 0x7f800001
	s_xor_b32 exec_lo, exec_lo, s28
	s_cbranch_execz .LBB6_3495
.LBB6_4470:                             ;   in Loop: Header=BB6_3357 Depth=2
	v_cmp_ne_u16_e32 vcc_lo, 0, v1
	v_mov_b32_e32 v4, 0
	s_andn2_b32 s13, s13, exec_lo
	s_and_b32 s29, vcc_lo, exec_lo
	s_or_b32 s13, s13, s29
	s_or_b32 exec_lo, exec_lo, s28
	s_and_saveexec_b32 s28, s13
	s_cbranch_execnz .LBB6_3496
	s_branch .LBB6_3497
.LBB6_4471:                             ;   in Loop: Header=BB6_3357 Depth=2
	s_or_saveexec_b32 s28, s28
	v_mov_b32_e32 v4, 0x7f800001
	s_xor_b32 exec_lo, exec_lo, s28
	s_cbranch_execz .LBB6_3509
.LBB6_4472:                             ;   in Loop: Header=BB6_3357 Depth=2
	v_cmp_ne_u16_e32 vcc_lo, 0, v1
	v_mov_b32_e32 v4, 0
	s_andn2_b32 s13, s13, exec_lo
	s_and_b32 s29, vcc_lo, exec_lo
	s_or_b32 s13, s13, s29
	s_or_b32 exec_lo, exec_lo, s28
	s_and_saveexec_b32 s28, s13
	s_cbranch_execnz .LBB6_3510
	s_branch .LBB6_3511
.LBB6_4473:                             ;   in Loop: Header=BB6_3357 Depth=2
	s_or_saveexec_b32 s28, s28
	v_mov_b32_e32 v4, 0x7f800001
	s_xor_b32 exec_lo, exec_lo, s28
	s_cbranch_execz .LBB6_3523
.LBB6_4474:                             ;   in Loop: Header=BB6_3357 Depth=2
	v_cmp_ne_u16_e32 vcc_lo, 0, v1
	v_mov_b32_e32 v4, 0
	s_andn2_b32 s13, s13, exec_lo
	s_and_b32 s29, vcc_lo, exec_lo
	s_or_b32 s13, s13, s29
	s_or_b32 exec_lo, exec_lo, s28
	s_and_saveexec_b32 s28, s13
	s_cbranch_execnz .LBB6_3524
	s_branch .LBB6_3525
.LBB6_4475:                             ;   in Loop: Header=BB6_3357 Depth=2
	s_or_saveexec_b32 s28, s28
	v_mov_b32_e32 v4, 0x7f800001
	s_xor_b32 exec_lo, exec_lo, s28
	s_cbranch_execz .LBB6_3537
.LBB6_4476:                             ;   in Loop: Header=BB6_3357 Depth=2
	v_cmp_ne_u16_e32 vcc_lo, 0, v1
	v_mov_b32_e32 v4, 0
	s_andn2_b32 s13, s13, exec_lo
	s_and_b32 s29, vcc_lo, exec_lo
	s_or_b32 s13, s13, s29
	s_or_b32 exec_lo, exec_lo, s28
	s_and_saveexec_b32 s28, s13
	s_cbranch_execnz .LBB6_3538
	s_branch .LBB6_3539
.LBB6_4477:                             ;   in Loop: Header=BB6_3357 Depth=2
	s_or_saveexec_b32 s28, s28
	v_mov_b32_e32 v4, 0x7f800001
	s_xor_b32 exec_lo, exec_lo, s28
	s_cbranch_execz .LBB6_3551
.LBB6_4478:                             ;   in Loop: Header=BB6_3357 Depth=2
	v_cmp_ne_u16_e32 vcc_lo, 0, v1
	v_mov_b32_e32 v4, 0
	s_andn2_b32 s13, s13, exec_lo
	s_and_b32 s29, vcc_lo, exec_lo
	s_or_b32 s13, s13, s29
	s_or_b32 exec_lo, exec_lo, s28
	s_and_saveexec_b32 s28, s13
	s_cbranch_execnz .LBB6_3552
	s_branch .LBB6_3553
.LBB6_4479:                             ;   in Loop: Header=BB6_3357 Depth=2
	s_or_saveexec_b32 s28, s28
	v_mov_b32_e32 v4, 0x7f800001
	s_xor_b32 exec_lo, exec_lo, s28
	s_cbranch_execz .LBB6_3565
.LBB6_4480:                             ;   in Loop: Header=BB6_3357 Depth=2
	v_cmp_ne_u16_e32 vcc_lo, 0, v1
	v_mov_b32_e32 v4, 0
	s_andn2_b32 s13, s13, exec_lo
	s_and_b32 s29, vcc_lo, exec_lo
	s_or_b32 s13, s13, s29
	s_or_b32 exec_lo, exec_lo, s28
	s_and_saveexec_b32 s28, s13
	s_cbranch_execnz .LBB6_3566
	s_branch .LBB6_3567
.LBB6_4481:                             ;   in Loop: Header=BB6_3357 Depth=2
	s_or_saveexec_b32 s28, s28
	v_mov_b32_e32 v4, 0x7f800001
	s_xor_b32 exec_lo, exec_lo, s28
	s_cbranch_execz .LBB6_3579
.LBB6_4482:                             ;   in Loop: Header=BB6_3357 Depth=2
	v_cmp_ne_u16_e32 vcc_lo, 0, v1
	v_mov_b32_e32 v4, 0
	s_andn2_b32 s13, s13, exec_lo
	s_and_b32 s29, vcc_lo, exec_lo
	s_or_b32 s13, s13, s29
	s_or_b32 exec_lo, exec_lo, s28
	s_and_saveexec_b32 s28, s13
	s_cbranch_execnz .LBB6_3580
	s_branch .LBB6_3581
.LBB6_4483:                             ;   in Loop: Header=BB6_3357 Depth=2
	s_or_saveexec_b32 s28, s28
	v_mov_b32_e32 v4, 0x7f800001
	s_xor_b32 exec_lo, exec_lo, s28
	s_cbranch_execz .LBB6_3593
.LBB6_4484:                             ;   in Loop: Header=BB6_3357 Depth=2
	v_cmp_ne_u16_e32 vcc_lo, 0, v1
	v_mov_b32_e32 v4, 0
	s_andn2_b32 s13, s13, exec_lo
	s_and_b32 s29, vcc_lo, exec_lo
	s_or_b32 s13, s13, s29
	s_or_b32 exec_lo, exec_lo, s28
	s_and_saveexec_b32 s28, s13
	s_cbranch_execnz .LBB6_3594
	s_branch .LBB6_3595
.LBB6_4485:                             ;   in Loop: Header=BB6_3357 Depth=2
	s_or_saveexec_b32 s28, s28
	v_mov_b32_e32 v4, 0x7f800001
	s_xor_b32 exec_lo, exec_lo, s28
	s_cbranch_execz .LBB6_3607
.LBB6_4486:                             ;   in Loop: Header=BB6_3357 Depth=2
	v_cmp_ne_u16_e32 vcc_lo, 0, v1
	v_mov_b32_e32 v4, 0
	s_andn2_b32 s13, s13, exec_lo
	s_and_b32 s29, vcc_lo, exec_lo
	s_or_b32 s13, s13, s29
	s_or_b32 exec_lo, exec_lo, s28
	s_and_saveexec_b32 s28, s13
	s_cbranch_execnz .LBB6_3608
	s_branch .LBB6_3609
.LBB6_4487:                             ;   in Loop: Header=BB6_3357 Depth=2
	s_or_saveexec_b32 s28, s28
	v_mov_b32_e32 v4, 0x7f800001
	s_xor_b32 exec_lo, exec_lo, s28
	s_cbranch_execz .LBB6_3621
.LBB6_4488:                             ;   in Loop: Header=BB6_3357 Depth=2
	v_cmp_ne_u16_e32 vcc_lo, 0, v1
	v_mov_b32_e32 v4, 0
	s_andn2_b32 s13, s13, exec_lo
	s_and_b32 s29, vcc_lo, exec_lo
	s_or_b32 s13, s13, s29
	s_or_b32 exec_lo, exec_lo, s28
	s_and_saveexec_b32 s28, s13
	s_cbranch_execnz .LBB6_3622
	s_branch .LBB6_3623
.LBB6_4489:                             ;   in Loop: Header=BB6_3357 Depth=2
	s_or_saveexec_b32 s28, s28
	v_mov_b32_e32 v4, 0x7f800001
	s_xor_b32 exec_lo, exec_lo, s28
	s_cbranch_execz .LBB6_3635
.LBB6_4490:                             ;   in Loop: Header=BB6_3357 Depth=2
	v_cmp_ne_u16_e32 vcc_lo, 0, v1
	v_mov_b32_e32 v4, 0
	s_andn2_b32 s13, s13, exec_lo
	s_and_b32 s29, vcc_lo, exec_lo
	s_or_b32 s13, s13, s29
	s_or_b32 exec_lo, exec_lo, s28
	s_and_saveexec_b32 s28, s13
	s_cbranch_execnz .LBB6_3636
	s_branch .LBB6_3637
.LBB6_4491:                             ;   in Loop: Header=BB6_3357 Depth=2
	s_or_saveexec_b32 s28, s28
	v_mov_b32_e32 v4, 0x7f800001
	s_xor_b32 exec_lo, exec_lo, s28
	s_cbranch_execz .LBB6_3649
.LBB6_4492:                             ;   in Loop: Header=BB6_3357 Depth=2
	v_cmp_ne_u16_e32 vcc_lo, 0, v1
	v_mov_b32_e32 v4, 0
	s_andn2_b32 s13, s13, exec_lo
	s_and_b32 s29, vcc_lo, exec_lo
	s_or_b32 s13, s13, s29
	s_or_b32 exec_lo, exec_lo, s28
	s_and_saveexec_b32 s28, s13
	s_cbranch_execnz .LBB6_3650
	s_branch .LBB6_3651
.LBB6_4493:                             ;   in Loop: Header=BB6_3357 Depth=2
	s_or_saveexec_b32 s28, s28
	v_mov_b32_e32 v4, 0x7f800001
	s_xor_b32 exec_lo, exec_lo, s28
	s_cbranch_execz .LBB6_3663
.LBB6_4494:                             ;   in Loop: Header=BB6_3357 Depth=2
	v_cmp_ne_u16_e32 vcc_lo, 0, v1
	v_mov_b32_e32 v4, 0
	s_andn2_b32 s13, s13, exec_lo
	s_and_b32 s29, vcc_lo, exec_lo
	s_or_b32 s13, s13, s29
	s_or_b32 exec_lo, exec_lo, s28
	s_and_saveexec_b32 s28, s13
	s_cbranch_execnz .LBB6_3664
	s_branch .LBB6_3665
.LBB6_4495:                             ;   in Loop: Header=BB6_3357 Depth=2
	s_or_saveexec_b32 s28, s28
	v_mov_b32_e32 v4, 0x7f800001
	s_xor_b32 exec_lo, exec_lo, s28
	s_cbranch_execz .LBB6_3677
.LBB6_4496:                             ;   in Loop: Header=BB6_3357 Depth=2
	v_cmp_ne_u16_e32 vcc_lo, 0, v1
	v_mov_b32_e32 v4, 0
	s_andn2_b32 s13, s13, exec_lo
	s_and_b32 s29, vcc_lo, exec_lo
	s_or_b32 s13, s13, s29
	s_or_b32 exec_lo, exec_lo, s28
	s_and_saveexec_b32 s28, s13
	s_cbranch_execnz .LBB6_3678
	s_branch .LBB6_3679
.LBB6_4497:                             ;   in Loop: Header=BB6_3357 Depth=2
	s_or_saveexec_b32 s28, s28
	v_mov_b32_e32 v4, 0x7f800001
	s_xor_b32 exec_lo, exec_lo, s28
	s_cbranch_execz .LBB6_3691
.LBB6_4498:                             ;   in Loop: Header=BB6_3357 Depth=2
	v_cmp_ne_u16_e32 vcc_lo, 0, v1
	v_mov_b32_e32 v4, 0
	s_andn2_b32 s13, s13, exec_lo
	s_and_b32 s29, vcc_lo, exec_lo
	s_or_b32 s13, s13, s29
	s_or_b32 exec_lo, exec_lo, s28
	s_and_saveexec_b32 s28, s13
	s_cbranch_execnz .LBB6_3692
	s_branch .LBB6_3693
.LBB6_4499:                             ;   in Loop: Header=BB6_3357 Depth=2
	s_or_saveexec_b32 s28, s28
	v_mov_b32_e32 v4, 0x7f800001
	s_xor_b32 exec_lo, exec_lo, s28
	s_cbranch_execz .LBB6_3705
.LBB6_4500:                             ;   in Loop: Header=BB6_3357 Depth=2
	v_cmp_ne_u16_e32 vcc_lo, 0, v1
	v_mov_b32_e32 v4, 0
	s_andn2_b32 s13, s13, exec_lo
	s_and_b32 s29, vcc_lo, exec_lo
	s_or_b32 s13, s13, s29
	s_or_b32 exec_lo, exec_lo, s28
	s_and_saveexec_b32 s28, s13
	s_cbranch_execnz .LBB6_3706
	s_branch .LBB6_3707
.LBB6_4501:                             ;   in Loop: Header=BB6_3357 Depth=2
	s_or_saveexec_b32 s28, s28
	v_mov_b32_e32 v4, 0x7f800001
	s_xor_b32 exec_lo, exec_lo, s28
	s_cbranch_execz .LBB6_3719
.LBB6_4502:                             ;   in Loop: Header=BB6_3357 Depth=2
	v_cmp_ne_u16_e32 vcc_lo, 0, v1
	v_mov_b32_e32 v4, 0
	s_andn2_b32 s13, s13, exec_lo
	s_and_b32 s29, vcc_lo, exec_lo
	s_or_b32 s13, s13, s29
	s_or_b32 exec_lo, exec_lo, s28
	s_and_saveexec_b32 s28, s13
	s_cbranch_execnz .LBB6_3720
	s_branch .LBB6_3721
.LBB6_4503:                             ;   in Loop: Header=BB6_3357 Depth=2
	s_or_saveexec_b32 s28, s28
	v_mov_b32_e32 v4, 0x7f800001
	s_xor_b32 exec_lo, exec_lo, s28
	s_cbranch_execz .LBB6_3733
.LBB6_4504:                             ;   in Loop: Header=BB6_3357 Depth=2
	v_cmp_ne_u16_e32 vcc_lo, 0, v1
	v_mov_b32_e32 v4, 0
	s_andn2_b32 s13, s13, exec_lo
	s_and_b32 s29, vcc_lo, exec_lo
	s_or_b32 s13, s13, s29
	s_or_b32 exec_lo, exec_lo, s28
	s_and_saveexec_b32 s28, s13
	s_cbranch_execnz .LBB6_3734
	s_branch .LBB6_3735
.LBB6_4505:                             ;   in Loop: Header=BB6_3357 Depth=2
	s_or_saveexec_b32 s28, s28
	v_mov_b32_e32 v4, 0x7f800001
	s_xor_b32 exec_lo, exec_lo, s28
	s_cbranch_execz .LBB6_3747
.LBB6_4506:                             ;   in Loop: Header=BB6_3357 Depth=2
	v_cmp_ne_u16_e32 vcc_lo, 0, v1
	v_mov_b32_e32 v4, 0
	s_andn2_b32 s13, s13, exec_lo
	s_and_b32 s29, vcc_lo, exec_lo
	s_or_b32 s13, s13, s29
	s_or_b32 exec_lo, exec_lo, s28
	s_and_saveexec_b32 s28, s13
	s_cbranch_execnz .LBB6_3748
	s_branch .LBB6_3749
.LBB6_4507:                             ;   in Loop: Header=BB6_3357 Depth=2
	s_or_saveexec_b32 s28, s28
	v_mov_b32_e32 v4, 0x7f800001
	s_xor_b32 exec_lo, exec_lo, s28
	s_cbranch_execz .LBB6_3761
.LBB6_4508:                             ;   in Loop: Header=BB6_3357 Depth=2
	v_cmp_ne_u16_e32 vcc_lo, 0, v1
	v_mov_b32_e32 v4, 0
	s_andn2_b32 s13, s13, exec_lo
	s_and_b32 s29, vcc_lo, exec_lo
	s_or_b32 s13, s13, s29
	s_or_b32 exec_lo, exec_lo, s28
	s_and_saveexec_b32 s28, s13
	s_cbranch_execnz .LBB6_3762
	s_branch .LBB6_3763
.LBB6_4509:                             ;   in Loop: Header=BB6_3357 Depth=2
	s_or_saveexec_b32 s28, s28
	v_mov_b32_e32 v4, 0x7f800001
	s_xor_b32 exec_lo, exec_lo, s28
	s_cbranch_execz .LBB6_3775
.LBB6_4510:                             ;   in Loop: Header=BB6_3357 Depth=2
	v_cmp_ne_u16_e32 vcc_lo, 0, v1
	v_mov_b32_e32 v4, 0
	s_andn2_b32 s13, s13, exec_lo
	s_and_b32 s29, vcc_lo, exec_lo
	s_or_b32 s13, s13, s29
	s_or_b32 exec_lo, exec_lo, s28
	s_and_saveexec_b32 s28, s13
	s_cbranch_execnz .LBB6_3776
	s_branch .LBB6_3777
.LBB6_4511:                             ;   in Loop: Header=BB6_3357 Depth=2
	s_or_saveexec_b32 s28, s28
	v_mov_b32_e32 v4, 0x7f800001
	s_xor_b32 exec_lo, exec_lo, s28
	s_cbranch_execz .LBB6_3789
.LBB6_4512:                             ;   in Loop: Header=BB6_3357 Depth=2
	v_cmp_ne_u16_e32 vcc_lo, 0, v1
	v_mov_b32_e32 v4, 0
	s_andn2_b32 s13, s13, exec_lo
	s_and_b32 s29, vcc_lo, exec_lo
	s_or_b32 s13, s13, s29
	s_or_b32 exec_lo, exec_lo, s28
	s_and_saveexec_b32 s28, s13
	s_cbranch_execnz .LBB6_3790
	s_branch .LBB6_3791
.LBB6_4513:                             ;   in Loop: Header=BB6_3357 Depth=2
	s_or_saveexec_b32 s28, s28
	v_mov_b32_e32 v8, 0x7f800001
	s_xor_b32 exec_lo, exec_lo, s28
	s_cbranch_execz .LBB6_3803
.LBB6_4514:                             ;   in Loop: Header=BB6_3357 Depth=2
	v_cmp_ne_u16_e32 vcc_lo, 0, v1
	v_mov_b32_e32 v8, 0
	s_andn2_b32 s13, s13, exec_lo
	s_and_b32 s29, vcc_lo, exec_lo
	s_or_b32 s13, s13, s29
	s_or_b32 exec_lo, exec_lo, s28
	s_and_saveexec_b32 s28, s13
	s_cbranch_execnz .LBB6_3804
	s_branch .LBB6_3805
.LBB6_4515:                             ;   in Loop: Header=BB6_3357 Depth=2
	s_or_saveexec_b32 s13, s13
	v_mov_b32_e32 v62, 0x7f800001
	s_xor_b32 exec_lo, exec_lo, s13
	s_cbranch_execz .LBB6_3817
.LBB6_4516:                             ;   in Loop: Header=BB6_3357 Depth=2
	v_cmp_ne_u16_sdwa s29, v6, v52 src0_sel:BYTE_0 src1_sel:DWORD
	v_mov_b32_e32 v62, 0
	s_andn2_b32 s28, s28, exec_lo
	s_and_b32 s29, s29, exec_lo
	s_or_b32 s28, s28, s29
	s_or_b32 exec_lo, exec_lo, s13
	s_and_saveexec_b32 s13, s28
	s_cbranch_execnz .LBB6_3818
	s_branch .LBB6_3819
.LBB6_4517:                             ;   in Loop: Header=BB6_3357 Depth=2
	s_or_saveexec_b32 s13, s13
	v_mov_b32_e32 v6, 0x7f800001
	s_xor_b32 exec_lo, exec_lo, s13
	s_cbranch_execz .LBB6_3823
.LBB6_4518:                             ;   in Loop: Header=BB6_3357 Depth=2
	v_cmp_ne_u16_sdwa s29, v61, v52 src0_sel:BYTE_0 src1_sel:DWORD
	v_mov_b32_e32 v6, 0
	s_andn2_b32 s28, s28, exec_lo
	s_and_b32 s29, s29, exec_lo
	s_or_b32 s28, s28, s29
	s_or_b32 exec_lo, exec_lo, s13
	s_and_saveexec_b32 s13, s28
	s_cbranch_execnz .LBB6_3824
	s_branch .LBB6_3825
.LBB6_4519:                             ;   in Loop: Header=BB6_3357 Depth=2
	s_or_saveexec_b32 s13, s13
	v_mov_b32_e32 v61, 0x7f800001
	s_xor_b32 exec_lo, exec_lo, s13
	s_cbranch_execz .LBB6_3837
.LBB6_4520:                             ;   in Loop: Header=BB6_3357 Depth=2
	v_cmp_ne_u16_sdwa s29, v21, v52 src0_sel:BYTE_0 src1_sel:DWORD
	v_mov_b32_e32 v61, 0
	s_andn2_b32 s28, s28, exec_lo
	s_and_b32 s29, s29, exec_lo
	s_or_b32 s28, s28, s29
	s_or_b32 exec_lo, exec_lo, s13
	s_and_saveexec_b32 s13, s28
	s_cbranch_execnz .LBB6_3838
	s_branch .LBB6_3839
.LBB6_4521:                             ;   in Loop: Header=BB6_3357 Depth=2
	s_or_saveexec_b32 s28, s28
	v_mov_b32_e32 v21, 0x7f800001
	s_xor_b32 exec_lo, exec_lo, s28
	s_cbranch_execz .LBB6_3843
.LBB6_4522:                             ;   in Loop: Header=BB6_3357 Depth=2
	v_cmp_ne_u16_sdwa s29, v60, v52 src0_sel:BYTE_0 src1_sel:DWORD
	v_mov_b32_e32 v21, 0
	s_andn2_b32 s13, s13, exec_lo
	s_and_b32 s29, s29, exec_lo
	s_or_b32 s13, s13, s29
	s_or_b32 exec_lo, exec_lo, s28
	s_and_saveexec_b32 s28, s13
	s_cbranch_execnz .LBB6_3844
	s_branch .LBB6_3845
.LBB6_4523:                             ;   in Loop: Header=BB6_3357 Depth=2
	s_or_saveexec_b32 s13, s13
	v_mov_b32_e32 v60, 0x7f800001
	s_xor_b32 exec_lo, exec_lo, s13
	s_cbranch_execz .LBB6_3857
.LBB6_4524:                             ;   in Loop: Header=BB6_3357 Depth=2
	v_cmp_ne_u16_sdwa s29, v28, v52 src0_sel:BYTE_0 src1_sel:DWORD
	v_mov_b32_e32 v60, 0
	s_andn2_b32 s28, s28, exec_lo
	s_and_b32 s29, s29, exec_lo
	s_or_b32 s28, s28, s29
	s_or_b32 exec_lo, exec_lo, s13
	s_and_saveexec_b32 s13, s28
	s_cbranch_execnz .LBB6_3858
	s_branch .LBB6_3859
.LBB6_4525:                             ;   in Loop: Header=BB6_3357 Depth=2
	s_or_saveexec_b32 s28, s28
	v_mov_b32_e32 v28, 0x7f800001
	s_xor_b32 exec_lo, exec_lo, s28
	s_cbranch_execz .LBB6_3863
.LBB6_4526:                             ;   in Loop: Header=BB6_3357 Depth=2
	v_cmp_ne_u16_sdwa s29, v59, v52 src0_sel:BYTE_0 src1_sel:DWORD
	v_mov_b32_e32 v28, 0
	s_andn2_b32 s13, s13, exec_lo
	s_and_b32 s29, s29, exec_lo
	s_or_b32 s13, s13, s29
	s_or_b32 exec_lo, exec_lo, s28
	s_and_saveexec_b32 s28, s13
	s_cbranch_execnz .LBB6_3864
	s_branch .LBB6_3865
.LBB6_4527:                             ;   in Loop: Header=BB6_3357 Depth=2
	s_or_saveexec_b32 s13, s13
	v_mov_b32_e32 v59, 0x7f800001
	s_xor_b32 exec_lo, exec_lo, s13
	s_cbranch_execz .LBB6_3877
.LBB6_4528:                             ;   in Loop: Header=BB6_3357 Depth=2
	v_cmp_ne_u16_sdwa s29, v34, v52 src0_sel:BYTE_0 src1_sel:DWORD
	v_mov_b32_e32 v59, 0
	s_andn2_b32 s28, s28, exec_lo
	s_and_b32 s29, s29, exec_lo
	s_or_b32 s28, s28, s29
	s_or_b32 exec_lo, exec_lo, s13
	s_and_saveexec_b32 s13, s28
	s_cbranch_execnz .LBB6_3878
	s_branch .LBB6_3879
.LBB6_4529:                             ;   in Loop: Header=BB6_3357 Depth=2
	s_or_saveexec_b32 s28, s28
	v_mov_b32_e32 v34, 0x7f800001
	s_xor_b32 exec_lo, exec_lo, s28
	s_cbranch_execz .LBB6_3883
.LBB6_4530:                             ;   in Loop: Header=BB6_3357 Depth=2
	v_cmp_ne_u16_sdwa s29, v58, v52 src0_sel:BYTE_0 src1_sel:DWORD
	v_mov_b32_e32 v34, 0
	s_andn2_b32 s13, s13, exec_lo
	s_and_b32 s29, s29, exec_lo
	s_or_b32 s13, s13, s29
	s_or_b32 exec_lo, exec_lo, s28
	s_and_saveexec_b32 s28, s13
	s_cbranch_execnz .LBB6_3884
	s_branch .LBB6_3885
.LBB6_4531:                             ;   in Loop: Header=BB6_3357 Depth=2
	s_or_saveexec_b32 s13, s13
	v_mov_b32_e32 v58, 0x7f800001
	s_xor_b32 exec_lo, exec_lo, s13
	s_cbranch_execz .LBB6_3897
.LBB6_4532:                             ;   in Loop: Header=BB6_3357 Depth=2
	v_cmp_ne_u16_sdwa s29, v51, v52 src0_sel:BYTE_0 src1_sel:DWORD
	v_mov_b32_e32 v58, 0
	s_andn2_b32 s28, s28, exec_lo
	s_and_b32 s29, s29, exec_lo
	s_or_b32 s28, s28, s29
	s_or_b32 exec_lo, exec_lo, s13
	s_and_saveexec_b32 s13, s28
	s_cbranch_execnz .LBB6_3898
	s_branch .LBB6_3899
.LBB6_4533:                             ;   in Loop: Header=BB6_3357 Depth=2
	s_or_saveexec_b32 s28, s28
	v_mov_b32_e32 v51, 0x7f800001
	s_xor_b32 exec_lo, exec_lo, s28
	s_cbranch_execz .LBB6_3903
.LBB6_4534:                             ;   in Loop: Header=BB6_3357 Depth=2
	v_cmp_ne_u16_sdwa s29, v57, v52 src0_sel:BYTE_0 src1_sel:DWORD
	v_mov_b32_e32 v51, 0
	s_andn2_b32 s13, s13, exec_lo
	s_and_b32 s29, s29, exec_lo
	s_or_b32 s13, s13, s29
	s_or_b32 exec_lo, exec_lo, s28
	s_and_saveexec_b32 s28, s13
	s_cbranch_execnz .LBB6_3904
	s_branch .LBB6_3905
.LBB6_4535:                             ;   in Loop: Header=BB6_3357 Depth=2
	s_or_saveexec_b32 s28, s28
	v_mov_b32_e32 v57, 0x7f800001
	s_xor_b32 exec_lo, exec_lo, s28
	s_cbranch_execz .LBB6_3917
.LBB6_4536:                             ;   in Loop: Header=BB6_3357 Depth=2
	v_cmp_ne_u16_sdwa s29, v71, v52 src0_sel:BYTE_0 src1_sel:DWORD
	v_mov_b32_e32 v57, 0
	s_andn2_b32 s13, s13, exec_lo
	s_and_b32 s29, s29, exec_lo
	s_or_b32 s13, s13, s29
	s_or_b32 exec_lo, exec_lo, s28
	s_and_saveexec_b32 s28, s13
	s_cbranch_execnz .LBB6_3918
	s_branch .LBB6_3919
.LBB6_4537:                             ;   in Loop: Header=BB6_3357 Depth=2
	s_or_saveexec_b32 s28, s28
	v_mov_b32_e32 v71, 0x7f800001
	s_xor_b32 exec_lo, exec_lo, s28
	s_cbranch_execz .LBB6_3923
.LBB6_4538:                             ;   in Loop: Header=BB6_3357 Depth=2
	v_cmp_ne_u16_sdwa s29, v56, v52 src0_sel:BYTE_0 src1_sel:DWORD
	v_mov_b32_e32 v71, 0
	s_andn2_b32 s13, s13, exec_lo
	s_and_b32 s29, s29, exec_lo
	s_or_b32 s13, s13, s29
	s_or_b32 exec_lo, exec_lo, s28
	s_and_saveexec_b32 s28, s13
	s_cbranch_execnz .LBB6_3924
	s_branch .LBB6_3925
.LBB6_4539:                             ;   in Loop: Header=BB6_3357 Depth=2
	s_or_saveexec_b32 s28, s28
	v_mov_b32_e32 v56, 0x7f800001
	s_xor_b32 exec_lo, exec_lo, s28
	s_cbranch_execz .LBB6_3937
.LBB6_4540:                             ;   in Loop: Header=BB6_3357 Depth=2
	v_cmp_ne_u16_sdwa s29, v82, v52 src0_sel:BYTE_0 src1_sel:DWORD
	v_mov_b32_e32 v56, 0
	s_andn2_b32 s13, s13, exec_lo
	s_and_b32 s29, s29, exec_lo
	s_or_b32 s13, s13, s29
	s_or_b32 exec_lo, exec_lo, s28
	s_and_saveexec_b32 s28, s13
	s_cbranch_execnz .LBB6_3938
	s_branch .LBB6_3939
.LBB6_4541:                             ;   in Loop: Header=BB6_3357 Depth=2
	s_or_saveexec_b32 s28, s28
	v_mov_b32_e32 v82, 0x7f800001
	s_xor_b32 exec_lo, exec_lo, s28
	s_cbranch_execz .LBB6_3943
.LBB6_4542:                             ;   in Loop: Header=BB6_3357 Depth=2
	v_cmp_ne_u16_sdwa s29, v47, v52 src0_sel:BYTE_0 src1_sel:DWORD
	v_mov_b32_e32 v82, 0
	s_andn2_b32 s13, s13, exec_lo
	s_and_b32 s29, s29, exec_lo
	s_or_b32 s13, s13, s29
	s_or_b32 exec_lo, exec_lo, s28
	s_and_saveexec_b32 s28, s13
	s_cbranch_execnz .LBB6_3944
	s_branch .LBB6_3945
.LBB6_4543:                             ;   in Loop: Header=BB6_3357 Depth=2
	s_or_saveexec_b32 s28, s28
	v_mov_b32_e32 v47, 0x7f800001
	s_xor_b32 exec_lo, exec_lo, s28
	s_cbranch_execz .LBB6_3957
.LBB6_4544:                             ;   in Loop: Header=BB6_3357 Depth=2
	v_cmp_ne_u16_sdwa s29, v81, v52 src0_sel:BYTE_0 src1_sel:DWORD
	v_mov_b32_e32 v47, 0
	s_andn2_b32 s13, s13, exec_lo
	s_and_b32 s29, s29, exec_lo
	s_or_b32 s13, s13, s29
	s_or_b32 exec_lo, exec_lo, s28
	s_and_saveexec_b32 s28, s13
	s_cbranch_execnz .LBB6_3958
	s_branch .LBB6_3959
.LBB6_4545:                             ;   in Loop: Header=BB6_3357 Depth=2
	s_or_saveexec_b32 s28, s28
	v_mov_b32_e32 v81, 0x7f800001
	s_xor_b32 exec_lo, exec_lo, s28
	s_cbranch_execz .LBB6_3963
.LBB6_4546:                             ;   in Loop: Header=BB6_3357 Depth=2
	v_cmp_ne_u16_sdwa s29, v46, v52 src0_sel:BYTE_0 src1_sel:DWORD
	v_mov_b32_e32 v81, 0
	s_andn2_b32 s13, s13, exec_lo
	s_and_b32 s29, s29, exec_lo
	s_or_b32 s13, s13, s29
	s_or_b32 exec_lo, exec_lo, s28
	s_and_saveexec_b32 s28, s13
	s_cbranch_execnz .LBB6_3964
	s_branch .LBB6_3965
.LBB6_4547:                             ;   in Loop: Header=BB6_3357 Depth=2
	s_or_saveexec_b32 s28, s28
	v_mov_b32_e32 v46, 0x7f800001
	s_xor_b32 exec_lo, exec_lo, s28
	s_cbranch_execz .LBB6_3977
.LBB6_4548:                             ;   in Loop: Header=BB6_3357 Depth=2
	v_cmp_ne_u16_sdwa s29, v70, v52 src0_sel:BYTE_0 src1_sel:DWORD
	v_mov_b32_e32 v46, 0
	s_andn2_b32 s13, s13, exec_lo
	s_and_b32 s29, s29, exec_lo
	s_or_b32 s13, s13, s29
	s_or_b32 exec_lo, exec_lo, s28
	s_and_saveexec_b32 s28, s13
	s_cbranch_execnz .LBB6_3978
	s_branch .LBB6_3979
.LBB6_4549:                             ;   in Loop: Header=BB6_3357 Depth=2
	s_or_saveexec_b32 s28, s28
	v_mov_b32_e32 v70, 0x7f800001
	s_xor_b32 exec_lo, exec_lo, s28
	s_cbranch_execz .LBB6_3983
.LBB6_4550:                             ;   in Loop: Header=BB6_3357 Depth=2
	v_cmp_ne_u16_sdwa s29, v45, v52 src0_sel:BYTE_0 src1_sel:DWORD
	v_mov_b32_e32 v70, 0
	s_andn2_b32 s13, s13, exec_lo
	s_and_b32 s29, s29, exec_lo
	s_or_b32 s13, s13, s29
	s_or_b32 exec_lo, exec_lo, s28
	s_and_saveexec_b32 s28, s13
	s_cbranch_execnz .LBB6_3984
	s_branch .LBB6_3985
.LBB6_4551:                             ;   in Loop: Header=BB6_3357 Depth=2
	s_or_saveexec_b32 s28, s28
	v_mov_b32_e32 v45, 0x7f800001
	s_xor_b32 exec_lo, exec_lo, s28
	s_cbranch_execz .LBB6_3997
.LBB6_4552:                             ;   in Loop: Header=BB6_3357 Depth=2
	v_cmp_ne_u16_sdwa s29, v69, v52 src0_sel:BYTE_0 src1_sel:DWORD
	v_mov_b32_e32 v45, 0
	s_andn2_b32 s13, s13, exec_lo
	s_and_b32 s29, s29, exec_lo
	s_or_b32 s13, s13, s29
	s_or_b32 exec_lo, exec_lo, s28
	s_and_saveexec_b32 s28, s13
	s_cbranch_execnz .LBB6_3998
	s_branch .LBB6_3999
.LBB6_4553:                             ;   in Loop: Header=BB6_3357 Depth=2
	s_or_saveexec_b32 s28, s28
	v_mov_b32_e32 v69, 0x7f800001
	s_xor_b32 exec_lo, exec_lo, s28
	s_cbranch_execz .LBB6_4003
.LBB6_4554:                             ;   in Loop: Header=BB6_3357 Depth=2
	v_cmp_ne_u16_sdwa s29, v44, v52 src0_sel:BYTE_0 src1_sel:DWORD
	v_mov_b32_e32 v69, 0
	s_andn2_b32 s13, s13, exec_lo
	s_and_b32 s29, s29, exec_lo
	s_or_b32 s13, s13, s29
	s_or_b32 exec_lo, exec_lo, s28
	s_and_saveexec_b32 s28, s13
	s_cbranch_execnz .LBB6_4004
	s_branch .LBB6_4005
.LBB6_4555:                             ;   in Loop: Header=BB6_3357 Depth=2
	s_or_saveexec_b32 s28, s28
	v_mov_b32_e32 v44, 0x7f800001
	s_xor_b32 exec_lo, exec_lo, s28
	s_cbranch_execz .LBB6_4017
.LBB6_4556:                             ;   in Loop: Header=BB6_3357 Depth=2
	v_cmp_ne_u16_sdwa s29, v68, v52 src0_sel:BYTE_0 src1_sel:DWORD
	v_mov_b32_e32 v44, 0
	s_andn2_b32 s13, s13, exec_lo
	s_and_b32 s29, s29, exec_lo
	s_or_b32 s13, s13, s29
	s_or_b32 exec_lo, exec_lo, s28
	s_and_saveexec_b32 s28, s13
	s_cbranch_execnz .LBB6_4018
	s_branch .LBB6_4019
.LBB6_4557:                             ;   in Loop: Header=BB6_3357 Depth=2
	s_or_saveexec_b32 s28, s28
	v_mov_b32_e32 v68, 0x7f800001
	s_xor_b32 exec_lo, exec_lo, s28
	s_cbranch_execz .LBB6_4023
.LBB6_4558:                             ;   in Loop: Header=BB6_3357 Depth=2
	v_cmp_ne_u16_sdwa s29, v43, v52 src0_sel:BYTE_0 src1_sel:DWORD
	v_mov_b32_e32 v68, 0
	s_andn2_b32 s13, s13, exec_lo
	s_and_b32 s29, s29, exec_lo
	s_or_b32 s13, s13, s29
	s_or_b32 exec_lo, exec_lo, s28
	s_and_saveexec_b32 s28, s13
	s_cbranch_execnz .LBB6_4024
	s_branch .LBB6_4025
.LBB6_4559:                             ;   in Loop: Header=BB6_3357 Depth=2
	s_or_saveexec_b32 s28, s28
	v_mov_b32_e32 v43, 0x7f800001
	s_xor_b32 exec_lo, exec_lo, s28
	s_cbranch_execz .LBB6_4037
.LBB6_4560:                             ;   in Loop: Header=BB6_3357 Depth=2
	v_cmp_ne_u16_sdwa s29, v67, v52 src0_sel:BYTE_0 src1_sel:DWORD
	v_mov_b32_e32 v43, 0
	s_andn2_b32 s13, s13, exec_lo
	s_and_b32 s29, s29, exec_lo
	s_or_b32 s13, s13, s29
	s_or_b32 exec_lo, exec_lo, s28
	s_and_saveexec_b32 s28, s13
	s_cbranch_execnz .LBB6_4038
	s_branch .LBB6_4039
.LBB6_4561:                             ;   in Loop: Header=BB6_3357 Depth=2
	s_or_saveexec_b32 s28, s28
	v_mov_b32_e32 v67, 0x7f800001
	s_xor_b32 exec_lo, exec_lo, s28
	s_cbranch_execz .LBB6_4043
.LBB6_4562:                             ;   in Loop: Header=BB6_3357 Depth=2
	v_cmp_ne_u16_sdwa s29, v42, v52 src0_sel:BYTE_0 src1_sel:DWORD
	v_mov_b32_e32 v67, 0
	s_andn2_b32 s13, s13, exec_lo
	s_and_b32 s29, s29, exec_lo
	s_or_b32 s13, s13, s29
	s_or_b32 exec_lo, exec_lo, s28
	s_and_saveexec_b32 s28, s13
	s_cbranch_execnz .LBB6_4044
	s_branch .LBB6_4045
.LBB6_4563:                             ;   in Loop: Header=BB6_3357 Depth=2
	s_or_saveexec_b32 s28, s28
	v_mov_b32_e32 v42, 0x7f800001
	s_xor_b32 exec_lo, exec_lo, s28
	s_cbranch_execz .LBB6_4057
.LBB6_4564:                             ;   in Loop: Header=BB6_3357 Depth=2
	v_cmp_ne_u16_sdwa s29, v50, v52 src0_sel:BYTE_0 src1_sel:DWORD
	v_mov_b32_e32 v42, 0
	s_andn2_b32 s13, s13, exec_lo
	s_and_b32 s29, s29, exec_lo
	s_or_b32 s13, s13, s29
	s_or_b32 exec_lo, exec_lo, s28
	s_and_saveexec_b32 s28, s13
	s_cbranch_execnz .LBB6_4058
	s_branch .LBB6_4059
.LBB6_4565:                             ;   in Loop: Header=BB6_3357 Depth=2
	s_or_saveexec_b32 s28, s28
	v_mov_b32_e32 v50, 0x7f800001
	s_xor_b32 exec_lo, exec_lo, s28
	s_cbranch_execz .LBB6_4063
.LBB6_4566:                             ;   in Loop: Header=BB6_3357 Depth=2
	v_cmp_ne_u16_sdwa s29, v41, v52 src0_sel:BYTE_0 src1_sel:DWORD
	v_mov_b32_e32 v50, 0
	s_andn2_b32 s13, s13, exec_lo
	s_and_b32 s29, s29, exec_lo
	s_or_b32 s13, s13, s29
	s_or_b32 exec_lo, exec_lo, s28
	s_and_saveexec_b32 s28, s13
	s_cbranch_execnz .LBB6_4064
	s_branch .LBB6_4065
.LBB6_4567:                             ;   in Loop: Header=BB6_3357 Depth=2
	s_or_saveexec_b32 s28, s28
	v_mov_b32_e32 v41, 0x7f800001
	s_xor_b32 exec_lo, exec_lo, s28
	s_cbranch_execz .LBB6_4077
.LBB6_4568:                             ;   in Loop: Header=BB6_3357 Depth=2
	v_cmp_ne_u16_sdwa s29, v49, v52 src0_sel:BYTE_0 src1_sel:DWORD
	v_mov_b32_e32 v41, 0
	s_andn2_b32 s13, s13, exec_lo
	s_and_b32 s29, s29, exec_lo
	s_or_b32 s13, s13, s29
	s_or_b32 exec_lo, exec_lo, s28
	s_and_saveexec_b32 s28, s13
	s_cbranch_execnz .LBB6_4078
	s_branch .LBB6_4079
.LBB6_4569:                             ;   in Loop: Header=BB6_3357 Depth=2
	s_or_saveexec_b32 s28, s28
	v_mov_b32_e32 v49, 0x7f800001
	s_xor_b32 exec_lo, exec_lo, s28
	s_cbranch_execz .LBB6_4083
.LBB6_4570:                             ;   in Loop: Header=BB6_3357 Depth=2
	v_cmp_ne_u16_sdwa s29, v40, v52 src0_sel:BYTE_0 src1_sel:DWORD
	v_mov_b32_e32 v49, 0
	s_andn2_b32 s13, s13, exec_lo
	s_and_b32 s29, s29, exec_lo
	s_or_b32 s13, s13, s29
	s_or_b32 exec_lo, exec_lo, s28
	s_and_saveexec_b32 s28, s13
	s_cbranch_execnz .LBB6_4084
	s_branch .LBB6_4085
.LBB6_4571:                             ;   in Loop: Header=BB6_3357 Depth=2
	s_or_saveexec_b32 s28, s28
	v_mov_b32_e32 v40, 0x7f800001
	s_xor_b32 exec_lo, exec_lo, s28
	s_cbranch_execz .LBB6_4097
.LBB6_4572:                             ;   in Loop: Header=BB6_3357 Depth=2
	v_cmp_ne_u16_sdwa s29, v48, v52 src0_sel:BYTE_0 src1_sel:DWORD
	v_mov_b32_e32 v40, 0
	s_andn2_b32 s13, s13, exec_lo
	s_and_b32 s29, s29, exec_lo
	s_or_b32 s13, s13, s29
	s_or_b32 exec_lo, exec_lo, s28
	s_and_saveexec_b32 s28, s13
	s_cbranch_execnz .LBB6_4098
	s_branch .LBB6_4099
.LBB6_4573:                             ;   in Loop: Header=BB6_3357 Depth=2
	s_or_saveexec_b32 s28, s28
	v_mov_b32_e32 v48, 0x7f800001
	s_xor_b32 exec_lo, exec_lo, s28
	s_cbranch_execz .LBB6_4103
.LBB6_4574:                             ;   in Loop: Header=BB6_3357 Depth=2
	v_cmp_ne_u16_sdwa s29, v119, v52 src0_sel:BYTE_0 src1_sel:DWORD
	v_mov_b32_e32 v48, 0
	s_andn2_b32 s13, s13, exec_lo
	s_and_b32 s29, s29, exec_lo
	s_or_b32 s13, s13, s29
	s_or_b32 exec_lo, exec_lo, s28
	s_and_saveexec_b32 s28, s13
	s_cbranch_execnz .LBB6_4104
	s_branch .LBB6_4105
.LBB6_4575:                             ;   in Loop: Header=BB6_3357 Depth=2
	s_or_saveexec_b32 s28, s28
	v_mov_b32_e32 v119, 0x7f800001
	s_xor_b32 exec_lo, exec_lo, s28
	s_cbranch_execz .LBB6_4117
.LBB6_4576:                             ;   in Loop: Header=BB6_3357 Depth=2
	v_cmp_ne_u16_sdwa s29, v36, v52 src0_sel:BYTE_0 src1_sel:DWORD
	v_mov_b32_e32 v119, 0
	s_andn2_b32 s13, s13, exec_lo
	s_and_b32 s29, s29, exec_lo
	s_or_b32 s13, s13, s29
	s_or_b32 exec_lo, exec_lo, s28
	s_and_saveexec_b32 s28, s13
	s_cbranch_execnz .LBB6_4118
	s_branch .LBB6_4119
.LBB6_4577:                             ;   in Loop: Header=BB6_3357 Depth=2
	s_or_saveexec_b32 s28, s28
	v_mov_b32_e32 v36, 0x7f800001
	s_xor_b32 exec_lo, exec_lo, s28
	s_cbranch_execz .LBB6_4123
.LBB6_4578:                             ;   in Loop: Header=BB6_3357 Depth=2
	v_cmp_ne_u16_sdwa s29, v112, v52 src0_sel:BYTE_0 src1_sel:DWORD
	v_mov_b32_e32 v36, 0
	s_andn2_b32 s13, s13, exec_lo
	s_and_b32 s29, s29, exec_lo
	s_or_b32 s13, s13, s29
	s_or_b32 exec_lo, exec_lo, s28
	s_and_saveexec_b32 s28, s13
	s_cbranch_execnz .LBB6_4124
	s_branch .LBB6_4125
.LBB6_4579:                             ;   in Loop: Header=BB6_3357 Depth=2
	s_or_saveexec_b32 s28, s28
	v_mov_b32_e32 v112, 0x7f800001
	s_xor_b32 exec_lo, exec_lo, s28
	s_cbranch_execz .LBB6_4137
.LBB6_4580:                             ;   in Loop: Header=BB6_3357 Depth=2
	v_cmp_ne_u16_sdwa s29, v35, v52 src0_sel:BYTE_0 src1_sel:DWORD
	v_mov_b32_e32 v112, 0
	s_andn2_b32 s13, s13, exec_lo
	s_and_b32 s29, s29, exec_lo
	s_or_b32 s13, s13, s29
	s_or_b32 exec_lo, exec_lo, s28
	s_and_saveexec_b32 s28, s13
	s_cbranch_execnz .LBB6_4138
	s_branch .LBB6_4139
.LBB6_4581:                             ;   in Loop: Header=BB6_3357 Depth=2
	s_or_saveexec_b32 s28, s28
	v_mov_b32_e32 v35, 0x7f800001
	s_xor_b32 exec_lo, exec_lo, s28
	s_cbranch_execz .LBB6_4143
.LBB6_4582:                             ;   in Loop: Header=BB6_3357 Depth=2
	v_cmp_ne_u16_sdwa s29, v103, v52 src0_sel:BYTE_0 src1_sel:DWORD
	v_mov_b32_e32 v35, 0
	s_andn2_b32 s13, s13, exec_lo
	s_and_b32 s29, s29, exec_lo
	s_or_b32 s13, s13, s29
	s_or_b32 exec_lo, exec_lo, s28
	s_and_saveexec_b32 s28, s13
	s_cbranch_execnz .LBB6_4144
	s_branch .LBB6_4145
.LBB6_4583:                             ;   in Loop: Header=BB6_3357 Depth=2
	s_or_saveexec_b32 s28, s28
	v_mov_b32_e32 v103, 0x7f800001
	s_xor_b32 exec_lo, exec_lo, s28
	s_cbranch_execz .LBB6_4157
.LBB6_4584:                             ;   in Loop: Header=BB6_3357 Depth=2
	v_cmp_ne_u16_sdwa s29, v33, v52 src0_sel:BYTE_0 src1_sel:DWORD
	v_mov_b32_e32 v103, 0
	s_andn2_b32 s13, s13, exec_lo
	s_and_b32 s29, s29, exec_lo
	s_or_b32 s13, s13, s29
	s_or_b32 exec_lo, exec_lo, s28
	s_and_saveexec_b32 s28, s13
	s_cbranch_execnz .LBB6_4158
	s_branch .LBB6_4159
.LBB6_4585:                             ;   in Loop: Header=BB6_3357 Depth=2
	s_or_saveexec_b32 s28, s28
	v_mov_b32_e32 v33, 0x7f800001
	s_xor_b32 exec_lo, exec_lo, s28
	s_cbranch_execz .LBB6_4163
.LBB6_4586:                             ;   in Loop: Header=BB6_3357 Depth=2
	v_cmp_ne_u16_sdwa s29, v98, v52 src0_sel:BYTE_0 src1_sel:DWORD
	v_mov_b32_e32 v33, 0
	s_andn2_b32 s13, s13, exec_lo
	s_and_b32 s29, s29, exec_lo
	s_or_b32 s13, s13, s29
	s_or_b32 exec_lo, exec_lo, s28
	s_and_saveexec_b32 s28, s13
	s_cbranch_execnz .LBB6_4164
	s_branch .LBB6_4165
.LBB6_4587:                             ;   in Loop: Header=BB6_3357 Depth=2
	s_or_saveexec_b32 s28, s28
	v_mov_b32_e32 v98, 0x7f800001
	s_xor_b32 exec_lo, exec_lo, s28
	s_cbranch_execz .LBB6_4177
.LBB6_4588:                             ;   in Loop: Header=BB6_3357 Depth=2
	v_cmp_ne_u16_sdwa s29, v31, v52 src0_sel:BYTE_0 src1_sel:DWORD
	v_mov_b32_e32 v98, 0
	s_andn2_b32 s13, s13, exec_lo
	s_and_b32 s29, s29, exec_lo
	s_or_b32 s13, s13, s29
	s_or_b32 exec_lo, exec_lo, s28
	s_and_saveexec_b32 s28, s13
	s_cbranch_execnz .LBB6_4178
	s_branch .LBB6_4179
.LBB6_4589:                             ;   in Loop: Header=BB6_3357 Depth=2
	s_or_saveexec_b32 s28, s28
	v_mov_b32_e32 v31, 0x7f800001
	s_xor_b32 exec_lo, exec_lo, s28
	s_cbranch_execz .LBB6_4183
.LBB6_4590:                             ;   in Loop: Header=BB6_3357 Depth=2
	v_cmp_ne_u16_sdwa s29, v96, v52 src0_sel:BYTE_0 src1_sel:DWORD
	v_mov_b32_e32 v31, 0
	s_andn2_b32 s13, s13, exec_lo
	s_and_b32 s29, s29, exec_lo
	s_or_b32 s13, s13, s29
	s_or_b32 exec_lo, exec_lo, s28
	s_and_saveexec_b32 s28, s13
	s_cbranch_execnz .LBB6_4184
	s_branch .LBB6_4185
.LBB6_4591:                             ;   in Loop: Header=BB6_3357 Depth=2
	s_or_saveexec_b32 s28, s28
	v_mov_b32_e32 v96, 0x7f800001
	s_xor_b32 exec_lo, exec_lo, s28
	s_cbranch_execz .LBB6_4197
.LBB6_4592:                             ;   in Loop: Header=BB6_3357 Depth=2
	v_cmp_ne_u16_sdwa s29, v30, v52 src0_sel:BYTE_0 src1_sel:DWORD
	v_mov_b32_e32 v96, 0
	s_andn2_b32 s13, s13, exec_lo
	s_and_b32 s29, s29, exec_lo
	s_or_b32 s13, s13, s29
	s_or_b32 exec_lo, exec_lo, s28
	s_and_saveexec_b32 s28, s13
	s_cbranch_execnz .LBB6_4198
	s_branch .LBB6_4199
.LBB6_4593:                             ;   in Loop: Header=BB6_3357 Depth=2
	s_or_saveexec_b32 s28, s28
	v_mov_b32_e32 v30, 0x7f800001
	s_xor_b32 exec_lo, exec_lo, s28
	s_cbranch_execz .LBB6_4203
.LBB6_4594:                             ;   in Loop: Header=BB6_3357 Depth=2
	v_cmp_ne_u16_sdwa s29, v87, v52 src0_sel:BYTE_0 src1_sel:DWORD
	v_mov_b32_e32 v30, 0
	s_andn2_b32 s13, s13, exec_lo
	s_and_b32 s29, s29, exec_lo
	s_or_b32 s13, s13, s29
	s_or_b32 exec_lo, exec_lo, s28
	s_and_saveexec_b32 s28, s13
	s_cbranch_execnz .LBB6_4204
	s_branch .LBB6_4205
.LBB6_4595:                             ;   in Loop: Header=BB6_3357 Depth=2
	s_or_saveexec_b32 s28, s28
	v_mov_b32_e32 v87, 0x7f800001
	s_xor_b32 exec_lo, exec_lo, s28
	s_cbranch_execz .LBB6_4217
.LBB6_4596:                             ;   in Loop: Header=BB6_3357 Depth=2
	v_cmp_ne_u16_sdwa s29, v29, v52 src0_sel:BYTE_0 src1_sel:DWORD
	v_mov_b32_e32 v87, 0
	s_andn2_b32 s13, s13, exec_lo
	s_and_b32 s29, s29, exec_lo
	s_or_b32 s13, s13, s29
	s_or_b32 exec_lo, exec_lo, s28
	s_and_saveexec_b32 s28, s13
	s_cbranch_execnz .LBB6_4218
	s_branch .LBB6_4219
.LBB6_4597:                             ;   in Loop: Header=BB6_3357 Depth=2
	s_or_saveexec_b32 s28, s28
	v_mov_b32_e32 v29, 0x7f800001
	s_xor_b32 exec_lo, exec_lo, s28
	s_cbranch_execz .LBB6_4223
.LBB6_4598:                             ;   in Loop: Header=BB6_3357 Depth=2
	v_cmp_ne_u16_sdwa s29, v86, v52 src0_sel:BYTE_0 src1_sel:DWORD
	v_mov_b32_e32 v29, 0
	s_andn2_b32 s13, s13, exec_lo
	s_and_b32 s29, s29, exec_lo
	s_or_b32 s13, s13, s29
	s_or_b32 exec_lo, exec_lo, s28
	s_and_saveexec_b32 s28, s13
	s_cbranch_execnz .LBB6_4224
	s_branch .LBB6_4225
.LBB6_4599:                             ;   in Loop: Header=BB6_3357 Depth=2
	s_or_saveexec_b32 s28, s28
	v_mov_b32_e32 v86, 0x7f800001
	s_xor_b32 exec_lo, exec_lo, s28
	s_cbranch_execz .LBB6_4237
.LBB6_4600:                             ;   in Loop: Header=BB6_3357 Depth=2
	v_cmp_ne_u16_sdwa s29, v27, v52 src0_sel:BYTE_0 src1_sel:DWORD
	v_mov_b32_e32 v86, 0
	s_andn2_b32 s13, s13, exec_lo
	s_and_b32 s29, s29, exec_lo
	s_or_b32 s13, s13, s29
	s_or_b32 exec_lo, exec_lo, s28
	s_and_saveexec_b32 s28, s13
	s_cbranch_execnz .LBB6_4238
	s_branch .LBB6_4239
.LBB6_4601:                             ;   in Loop: Header=BB6_3357 Depth=2
	s_or_saveexec_b32 s28, s28
	v_mov_b32_e32 v27, 0x7f800001
	s_xor_b32 exec_lo, exec_lo, s28
	s_cbranch_execz .LBB6_4243
.LBB6_4602:                             ;   in Loop: Header=BB6_3357 Depth=2
	v_cmp_ne_u16_sdwa s29, v85, v52 src0_sel:BYTE_0 src1_sel:DWORD
	v_mov_b32_e32 v27, 0
	s_andn2_b32 s13, s13, exec_lo
	s_and_b32 s29, s29, exec_lo
	s_or_b32 s13, s13, s29
	s_or_b32 exec_lo, exec_lo, s28
	s_and_saveexec_b32 s28, s13
	s_cbranch_execnz .LBB6_4244
	s_branch .LBB6_4245
.LBB6_4603:                             ;   in Loop: Header=BB6_3357 Depth=2
	s_or_saveexec_b32 s28, s28
	v_mov_b32_e32 v85, 0x7f800001
	s_xor_b32 exec_lo, exec_lo, s28
	s_cbranch_execz .LBB6_4257
.LBB6_4604:                             ;   in Loop: Header=BB6_3357 Depth=2
	v_cmp_ne_u16_sdwa s29, v25, v52 src0_sel:BYTE_0 src1_sel:DWORD
	v_mov_b32_e32 v85, 0
	s_andn2_b32 s13, s13, exec_lo
	s_and_b32 s29, s29, exec_lo
	s_or_b32 s13, s13, s29
	s_or_b32 exec_lo, exec_lo, s28
	s_and_saveexec_b32 s28, s13
	s_cbranch_execnz .LBB6_4258
	s_branch .LBB6_4259
.LBB6_4605:                             ;   in Loop: Header=BB6_3357 Depth=2
	s_or_saveexec_b32 s28, s28
	v_mov_b32_e32 v25, 0x7f800001
	s_xor_b32 exec_lo, exec_lo, s28
	s_cbranch_execz .LBB6_4263
.LBB6_4606:                             ;   in Loop: Header=BB6_3357 Depth=2
	v_cmp_ne_u16_sdwa s29, v84, v52 src0_sel:BYTE_0 src1_sel:DWORD
	v_mov_b32_e32 v25, 0
	s_andn2_b32 s13, s13, exec_lo
	s_and_b32 s29, s29, exec_lo
	s_or_b32 s13, s13, s29
	s_or_b32 exec_lo, exec_lo, s28
	s_and_saveexec_b32 s28, s13
	s_cbranch_execnz .LBB6_4264
	s_branch .LBB6_4265
.LBB6_4607:                             ;   in Loop: Header=BB6_3357 Depth=2
	s_or_saveexec_b32 s28, s28
	v_mov_b32_e32 v84, 0x7f800001
	s_xor_b32 exec_lo, exec_lo, s28
	s_cbranch_execz .LBB6_4277
.LBB6_4608:                             ;   in Loop: Header=BB6_3357 Depth=2
	v_cmp_ne_u16_sdwa s29, v24, v52 src0_sel:BYTE_0 src1_sel:DWORD
	v_mov_b32_e32 v84, 0
	s_andn2_b32 s13, s13, exec_lo
	s_and_b32 s29, s29, exec_lo
	s_or_b32 s13, s13, s29
	s_or_b32 exec_lo, exec_lo, s28
	s_and_saveexec_b32 s28, s13
	s_cbranch_execnz .LBB6_4278
	s_branch .LBB6_4279
.LBB6_4609:                             ;   in Loop: Header=BB6_3357 Depth=2
	s_or_saveexec_b32 s28, s28
	v_mov_b32_e32 v24, 0x7f800001
	s_xor_b32 exec_lo, exec_lo, s28
	s_cbranch_execz .LBB6_4283
.LBB6_4610:                             ;   in Loop: Header=BB6_3357 Depth=2
	v_cmp_ne_u16_sdwa s29, v83, v52 src0_sel:BYTE_0 src1_sel:DWORD
	v_mov_b32_e32 v24, 0
	s_andn2_b32 s13, s13, exec_lo
	s_and_b32 s29, s29, exec_lo
	s_or_b32 s13, s13, s29
	s_or_b32 exec_lo, exec_lo, s28
	s_and_saveexec_b32 s28, s13
	s_cbranch_execnz .LBB6_4284
	s_branch .LBB6_4285
.LBB6_4611:                             ;   in Loop: Header=BB6_3357 Depth=2
	s_or_saveexec_b32 s28, s28
	v_mov_b32_e32 v83, 0x7f800001
	s_xor_b32 exec_lo, exec_lo, s28
	s_cbranch_execz .LBB6_4297
.LBB6_4612:                             ;   in Loop: Header=BB6_3357 Depth=2
	v_cmp_ne_u16_sdwa s29, v23, v52 src0_sel:BYTE_0 src1_sel:DWORD
	v_mov_b32_e32 v83, 0
	s_andn2_b32 s13, s13, exec_lo
	s_and_b32 s29, s29, exec_lo
	s_or_b32 s13, s13, s29
	s_or_b32 exec_lo, exec_lo, s28
	s_and_saveexec_b32 s28, s13
	s_cbranch_execnz .LBB6_4298
	s_branch .LBB6_4299
.LBB6_4613:                             ;   in Loop: Header=BB6_3357 Depth=2
	s_or_saveexec_b32 s28, s28
	v_mov_b32_e32 v23, 0x7f800001
	s_xor_b32 exec_lo, exec_lo, s28
	s_cbranch_execz .LBB6_4303
.LBB6_4614:                             ;   in Loop: Header=BB6_3357 Depth=2
	v_cmp_ne_u16_sdwa s29, v80, v52 src0_sel:BYTE_0 src1_sel:DWORD
	v_mov_b32_e32 v23, 0
	s_andn2_b32 s13, s13, exec_lo
	s_and_b32 s29, s29, exec_lo
	s_or_b32 s13, s13, s29
	s_or_b32 exec_lo, exec_lo, s28
	s_and_saveexec_b32 s28, s13
	s_cbranch_execnz .LBB6_4304
	s_branch .LBB6_4305
.LBB6_4615:                             ;   in Loop: Header=BB6_3357 Depth=2
	s_or_saveexec_b32 s28, s28
	v_mov_b32_e32 v80, 0x7f800001
	s_xor_b32 exec_lo, exec_lo, s28
	s_cbranch_execz .LBB6_4317
.LBB6_4616:                             ;   in Loop: Header=BB6_3357 Depth=2
	v_cmp_ne_u16_sdwa s29, v17, v52 src0_sel:BYTE_0 src1_sel:DWORD
	v_mov_b32_e32 v80, 0
	s_andn2_b32 s13, s13, exec_lo
	s_and_b32 s29, s29, exec_lo
	s_or_b32 s13, s13, s29
	s_or_b32 exec_lo, exec_lo, s28
	s_and_saveexec_b32 s28, s13
	s_cbranch_execnz .LBB6_4318
	s_branch .LBB6_4319
.LBB6_4617:                             ;   in Loop: Header=BB6_3357 Depth=2
	s_or_saveexec_b32 s28, s28
	v_mov_b32_e32 v17, 0x7f800001
	s_xor_b32 exec_lo, exec_lo, s28
	s_cbranch_execz .LBB6_4323
.LBB6_4618:                             ;   in Loop: Header=BB6_3357 Depth=2
	v_cmp_ne_u16_sdwa s29, v66, v52 src0_sel:BYTE_0 src1_sel:DWORD
	v_mov_b32_e32 v17, 0
	s_andn2_b32 s13, s13, exec_lo
	s_and_b32 s29, s29, exec_lo
	s_or_b32 s13, s13, s29
	s_or_b32 exec_lo, exec_lo, s28
	s_and_saveexec_b32 s28, s13
	s_cbranch_execnz .LBB6_4324
	s_branch .LBB6_4325
.LBB6_4619:                             ;   in Loop: Header=BB6_3357 Depth=2
	s_or_saveexec_b32 s28, s28
	v_mov_b32_e32 v66, 0x7f800001
	s_xor_b32 exec_lo, exec_lo, s28
	s_cbranch_execz .LBB6_4337
.LBB6_4620:                             ;   in Loop: Header=BB6_3357 Depth=2
	v_cmp_ne_u16_sdwa s29, v16, v52 src0_sel:BYTE_0 src1_sel:DWORD
	v_mov_b32_e32 v66, 0
	s_andn2_b32 s13, s13, exec_lo
	s_and_b32 s29, s29, exec_lo
	s_or_b32 s13, s13, s29
	s_or_b32 exec_lo, exec_lo, s28
	s_and_saveexec_b32 s28, s13
	s_cbranch_execnz .LBB6_4338
	s_branch .LBB6_4339
.LBB6_4621:                             ;   in Loop: Header=BB6_3357 Depth=2
	s_or_saveexec_b32 s28, s28
	v_mov_b32_e32 v16, 0x7f800001
	s_xor_b32 exec_lo, exec_lo, s28
	s_cbranch_execz .LBB6_4343
.LBB6_4622:                             ;   in Loop: Header=BB6_3357 Depth=2
	v_cmp_ne_u16_sdwa s29, v37, v52 src0_sel:BYTE_0 src1_sel:DWORD
	v_mov_b32_e32 v16, 0
	s_andn2_b32 s13, s13, exec_lo
	s_and_b32 s29, s29, exec_lo
	s_or_b32 s13, s13, s29
	s_or_b32 exec_lo, exec_lo, s28
	s_and_saveexec_b32 s28, s13
	s_cbranch_execnz .LBB6_4344
	s_branch .LBB6_4345
.LBB6_4623:                             ;   in Loop: Header=BB6_3357 Depth=2
	s_or_saveexec_b32 s28, s28
	v_mov_b32_e32 v37, 0x7f800001
	s_xor_b32 exec_lo, exec_lo, s28
	s_cbranch_execz .LBB6_4357
.LBB6_4624:                             ;   in Loop: Header=BB6_3357 Depth=2
	v_cmp_ne_u16_sdwa s29, v9, v52 src0_sel:BYTE_0 src1_sel:DWORD
	v_mov_b32_e32 v37, 0
	s_andn2_b32 s13, s13, exec_lo
	s_and_b32 s29, s29, exec_lo
	s_or_b32 s13, s13, s29
	s_or_b32 exec_lo, exec_lo, s28
	s_and_saveexec_b32 s28, s13
	s_cbranch_execnz .LBB6_4358
	s_branch .LBB6_4359
.LBB6_4625:                             ;   in Loop: Header=BB6_3357 Depth=2
	s_or_saveexec_b32 s28, s28
	v_mov_b32_e32 v9, 0x7f800001
	s_xor_b32 exec_lo, exec_lo, s28
	s_cbranch_execz .LBB6_4363
.LBB6_4626:                             ;   in Loop: Header=BB6_3357 Depth=2
	v_cmp_ne_u16_sdwa s29, v32, v52 src0_sel:BYTE_0 src1_sel:DWORD
	v_mov_b32_e32 v9, 0
	s_andn2_b32 s13, s13, exec_lo
	s_and_b32 s29, s29, exec_lo
	s_or_b32 s13, s13, s29
	s_or_b32 exec_lo, exec_lo, s28
	s_and_saveexec_b32 s28, s13
	s_cbranch_execnz .LBB6_4364
	s_branch .LBB6_4365
.LBB6_4627:                             ;   in Loop: Header=BB6_3357 Depth=2
	s_or_saveexec_b32 s28, s28
	v_mov_b32_e32 v32, 0x7f800001
	s_xor_b32 exec_lo, exec_lo, s28
	s_cbranch_execz .LBB6_4377
.LBB6_4628:                             ;   in Loop: Header=BB6_3357 Depth=2
	v_cmp_ne_u16_sdwa s29, v7, v52 src0_sel:BYTE_0 src1_sel:DWORD
	v_mov_b32_e32 v32, 0
	s_andn2_b32 s13, s13, exec_lo
	s_and_b32 s29, s29, exec_lo
	s_or_b32 s13, s13, s29
	s_or_b32 exec_lo, exec_lo, s28
	s_and_saveexec_b32 s28, s13
	s_cbranch_execnz .LBB6_4378
	s_branch .LBB6_4379
.LBB6_4629:                             ;   in Loop: Header=BB6_3357 Depth=2
	s_or_saveexec_b32 s28, s28
	v_mov_b32_e32 v7, 0x7f800001
	s_xor_b32 exec_lo, exec_lo, s28
	s_cbranch_execz .LBB6_4383
.LBB6_4630:                             ;   in Loop: Header=BB6_3357 Depth=2
	v_cmp_ne_u16_sdwa s29, v26, v52 src0_sel:BYTE_0 src1_sel:DWORD
	v_mov_b32_e32 v7, 0
	s_andn2_b32 s13, s13, exec_lo
	s_and_b32 s29, s29, exec_lo
	s_or_b32 s13, s13, s29
	s_or_b32 exec_lo, exec_lo, s28
	s_and_saveexec_b32 s28, s13
	s_cbranch_execnz .LBB6_4384
	s_branch .LBB6_4385
.LBB6_4631:                             ;   in Loop: Header=BB6_3357 Depth=2
	s_or_saveexec_b32 s28, s28
	v_mov_b32_e32 v26, 0x7f800001
	s_xor_b32 exec_lo, exec_lo, s28
	s_cbranch_execz .LBB6_4397
.LBB6_4632:                             ;   in Loop: Header=BB6_3357 Depth=2
	v_cmp_ne_u16_sdwa s29, v5, v52 src0_sel:BYTE_0 src1_sel:DWORD
	v_mov_b32_e32 v26, 0
	s_andn2_b32 s13, s13, exec_lo
	s_and_b32 s29, s29, exec_lo
	s_or_b32 s13, s13, s29
	s_or_b32 exec_lo, exec_lo, s28
	s_and_saveexec_b32 s28, s13
	s_cbranch_execnz .LBB6_4398
	s_branch .LBB6_4399
.LBB6_4633:                             ;   in Loop: Header=BB6_3357 Depth=2
	s_or_saveexec_b32 s28, s28
	v_mov_b32_e32 v5, 0x7f800001
	s_xor_b32 exec_lo, exec_lo, s28
	s_cbranch_execz .LBB6_4403
.LBB6_4634:                             ;   in Loop: Header=BB6_3357 Depth=2
	v_cmp_ne_u16_sdwa s29, v22, v52 src0_sel:BYTE_0 src1_sel:DWORD
	v_mov_b32_e32 v5, 0
	s_andn2_b32 s13, s13, exec_lo
	s_and_b32 s29, s29, exec_lo
	s_or_b32 s13, s13, s29
	s_or_b32 exec_lo, exec_lo, s28
	s_and_saveexec_b32 s28, s13
	s_cbranch_execnz .LBB6_4404
	s_branch .LBB6_4405
.LBB6_4635:                             ;   in Loop: Header=BB6_3357 Depth=2
	s_or_saveexec_b32 s28, s28
	v_mov_b32_e32 v22, 0x7f800001
	s_xor_b32 exec_lo, exec_lo, s28
	s_cbranch_execz .LBB6_4417
.LBB6_4636:                             ;   in Loop: Header=BB6_3357 Depth=2
	v_cmp_ne_u16_sdwa s29, v4, v52 src0_sel:BYTE_0 src1_sel:DWORD
	v_mov_b32_e32 v22, 0
	s_andn2_b32 s13, s13, exec_lo
	s_and_b32 s29, s29, exec_lo
	s_or_b32 s13, s13, s29
	s_or_b32 exec_lo, exec_lo, s28
	s_and_saveexec_b32 s28, s13
	s_cbranch_execnz .LBB6_4418
	s_branch .LBB6_4419
.LBB6_4637:                             ;   in Loop: Header=BB6_3357 Depth=2
	s_or_saveexec_b32 s28, s28
	v_mov_b32_e32 v4, 0x7f800001
	s_xor_b32 exec_lo, exec_lo, s28
	s_cbranch_execz .LBB6_4423
.LBB6_4638:                             ;   in Loop: Header=BB6_3357 Depth=2
	v_cmp_ne_u16_sdwa s29, v8, v52 src0_sel:BYTE_0 src1_sel:DWORD
	v_mov_b32_e32 v4, 0
	s_andn2_b32 s13, s13, exec_lo
	s_and_b32 s29, s29, exec_lo
	s_or_b32 s13, s13, s29
	s_or_b32 exec_lo, exec_lo, s28
	s_and_saveexec_b32 s28, s13
	s_cbranch_execnz .LBB6_4424
	s_branch .LBB6_4425
.LBB6_4639:                             ;   in Loop: Header=BB6_3357 Depth=2
	s_or_saveexec_b32 s28, s28
	v_mov_b32_e32 v8, 0x7f800001
	s_xor_b32 exec_lo, exec_lo, s28
	s_cbranch_execz .LBB6_4437
.LBB6_4640:                             ;   in Loop: Header=BB6_3357 Depth=2
	v_cmp_ne_u16_sdwa s29, v1, v52 src0_sel:BYTE_0 src1_sel:DWORD
	v_mov_b32_e32 v8, 0
	s_andn2_b32 s13, s13, exec_lo
	s_and_b32 s29, s29, exec_lo
	s_or_b32 s13, s13, s29
	s_or_b32 exec_lo, exec_lo, s28
	s_and_saveexec_b32 s28, s13
	s_cbranch_execnz .LBB6_4438
	s_branch .LBB6_4439
.LBB6_4641:                             ;   in Loop: Header=BB6_3357 Depth=2
	s_or_saveexec_b32 s28, s28
	v_mov_b32_e32 v1, 0x7f800001
	s_xor_b32 exec_lo, exec_lo, s28
	s_cbranch_execz .LBB6_4443
.LBB6_4642:                             ;   in Loop: Header=BB6_3357 Depth=2
	v_cmp_ne_u16_sdwa s29, v0, v52 src0_sel:BYTE_0 src1_sel:DWORD
	v_mov_b32_e32 v1, 0
	s_andn2_b32 s13, s13, exec_lo
	s_and_b32 s29, s29, exec_lo
	s_or_b32 s13, s13, s29
	s_or_b32 exec_lo, exec_lo, s28
	s_and_saveexec_b32 s28, s13
	s_cbranch_execnz .LBB6_4444
	s_branch .LBB6_4445
.LBB6_4643:                             ;   in Loop: Header=BB6_49 Depth=1
	s_or_b32 exec_lo, exec_lo, s27
.LBB6_4644:                             ;   in Loop: Header=BB6_49 Depth=1
	s_or_b32 exec_lo, exec_lo, s26
	v_and_b32_e32 v1, 0xfffffc00, v3
	v_cmp_ne_u32_e32 vcc_lo, v3, v1
	s_and_b32 exec_lo, exec_lo, vcc_lo
	s_cbranch_execz .LBB6_4696
; %bb.4645:                             ;   in Loop: Header=BB6_49 Depth=1
	v_lshlrev_b32_e32 v0, 5, v19
	v_lshlrev_b32_e32 v4, 5, v20
	v_sub_nc_u32_e32 v0, v18, v0
	v_sub_nc_u32_e32 v4, v0, v4
	v_and_b32_e32 v0, 0x3ff, v3
	v_sub_nc_u32_e32 v0, v0, v4
	v_cmp_lt_i32_e32 vcc_lo, 0, v0
	s_and_b32 exec_lo, exec_lo, vcc_lo
	s_cbranch_execz .LBB6_4696
; %bb.4646:                             ;   in Loop: Header=BB6_49 Depth=1
	s_trap 2
	ds_read_b128 v[5:8], v0
	ds_read_b64 v[14:15], v0
	v_add3_u32 v1, v1, v2, v4
	s_mov_b32 s26, 0
	v_ashrrev_i32_e32 v2, 31, v1
	s_waitcnt lgkmcnt(1)
	v_add_co_u32 v10, vcc_lo, v5, v1
	v_add_co_ci_u32_e64 v11, null, v6, v2, vcc_lo
	v_add_co_u32 v12, vcc_lo, v7, v1
	v_add_co_ci_u32_e64 v13, null, v8, v2, vcc_lo
	s_waitcnt lgkmcnt(0)
	v_add_co_u32 v14, vcc_lo, v14, v1
	v_add_co_ci_u32_e64 v15, null, v15, v2, vcc_lo
	s_branch .LBB6_4650
.LBB6_4647:                             ;   in Loop: Header=BB6_4650 Depth=2
	s_or_b32 exec_lo, exec_lo, s13
	v_lshrrev_b32_e32 v3, 20, v3
	v_cmp_gt_i32_e32 vcc_lo, 16, v2
	v_min_i32_e32 v4, 15, v2
	v_and_b32_sdwa v1, v1, v114 dst_sel:DWORD dst_unused:UNUSED_PAD src0_sel:BYTE_3 src1_sel:DWORD
	v_cndmask_b32_e32 v3, 7, v3, vcc_lo
	v_lshlrev_b32_e32 v4, 3, v4
	v_and_b32_e32 v5, 7, v3
	v_or_b32_e32 v2, v2, v3
	v_or3_b32 v1, v4, v1, v5
	v_cmp_ne_u32_e32 vcc_lo, 0, v2
	v_cndmask_b32_e32 v2, 0, v1, vcc_lo
.LBB6_4648:                             ;   in Loop: Header=BB6_4650 Depth=2
	s_or_b32 exec_lo, exec_lo, s28
.LBB6_4649:                             ;   in Loop: Header=BB6_4650 Depth=2
	s_or_b32 exec_lo, exec_lo, s27
	v_sub_nc_u32_e32 v0, v0, v102
	v_add_co_u32 v10, vcc_lo, v10, v102
	v_add_co_ci_u32_e64 v11, null, 0, v11, vcc_lo
	v_add_co_u32 v12, vcc_lo, v12, v102
	flat_store_byte v[14:15], v2 glc slc
	v_add_co_ci_u32_e64 v13, null, 0, v13, vcc_lo
	v_cmp_gt_i32_e32 vcc_lo, 1, v0
	v_add_co_u32 v14, s13, v14, v102
	v_add_co_ci_u32_e64 v15, null, 0, v15, s13
	s_or_b32 s26, vcc_lo, s26
	s_andn2_b32 exec_lo, exec_lo, s26
	s_cbranch_execz .LBB6_4696
.LBB6_4650:                             ;   Parent Loop BB6_49 Depth=1
                                        ; =>  This Inner Loop Header: Depth=2
	s_trap 2
	ds_read_b64 v[16:17], v0
	s_waitcnt lgkmcnt(0)
	v_readfirstlane_b32 s13, v16
	s_and_b32 s27, s13, 0xff
	s_cmpk_lt_i32 s27, 0x80
	s_cbranch_scc1 .LBB6_4654
; %bb.4651:                             ;   in Loop: Header=BB6_4650 Depth=2
	s_and_b32 s28, 0xffff, s27
	s_cmpk_eq_i32 s28, 0x80
	s_mov_b32 s28, -1
	s_cbranch_scc0 .LBB6_4653
; %bb.4652:                             ;   in Loop: Header=BB6_4650 Depth=2
	s_mov_b32 s28, 0
.LBB6_4653:                             ;   in Loop: Header=BB6_4650 Depth=2
	s_mov_b32 s29, 0x7f800001
	s_branch .LBB6_4656
.LBB6_4654:                             ;   in Loop: Header=BB6_4650 Depth=2
	s_mov_b32 s28, 0
	s_mov_b32 s29, 0x7f800001
	s_cbranch_execz .LBB6_4656
; %bb.4655:                             ;   in Loop: Header=BB6_4650 Depth=2
	s_and_b32 s27, 0xffff, s27
	s_mov_b32 s29, 0
	s_cmp_lg_u32 s27, 0
	s_cselect_b32 s28, -1, 0
.LBB6_4656:                             ;   in Loop: Header=BB6_4650 Depth=2
	v_mov_b32_e32 v1, s29
	s_andn2_b32 vcc_lo, exec_lo, s28
	s_cbranch_vccnz .LBB6_4658
; %bb.4657:                             ;   in Loop: Header=BB6_4650 Depth=2
	s_and_b32 s27, s13, 7
	s_bfe_u32 s29, s13, 0x40003
	s_flbit_i32_b32 s28, s27
	v_lshlrev_b32_e32 v1, 24, v16
	s_min_u32 s28, s28, 32
	s_sub_i32 s40, s28, 28
	s_sub_i32 s28, 29, s28
	s_lshl_b32 s13, s13, s40
	v_and_b32_e32 v1, 0x80000000, v1
	s_and_b32 s13, s13, 7
	s_cmp_eq_u32 s29, 0
	s_cselect_b32 s28, s28, s29
	s_cselect_b32 s13, s13, s27
	s_lshl_b32 s27, s28, 23
	s_lshl_b32 s13, s13, 20
	s_add_i32 s27, s27, 0x3b800000
	v_or_b32_e32 v1, s27, v1
	v_or_b32_e32 v1, s13, v1
.LBB6_4658:                             ;   in Loop: Header=BB6_4650 Depth=2
	flat_load_ubyte v2, v[10:11] slc
	s_mov_b32 s13, 0
	s_mov_b32 s27, exec_lo
	s_waitcnt vmcnt(0) lgkmcnt(0)
	v_cmpx_lt_i16_e32 0x7f, v2
	s_xor_b32 s27, exec_lo, s27
	s_cbranch_execz .LBB6_4690
; %bb.4659:                             ;   in Loop: Header=BB6_4650 Depth=2
	s_mov_b32 s13, -1
	s_mov_b32 s28, exec_lo
	v_cmpx_eq_u16_e32 0x80, v2
; %bb.4660:                             ;   in Loop: Header=BB6_4650 Depth=2
	s_xor_b32 s13, exec_lo, -1
; %bb.4661:                             ;   in Loop: Header=BB6_4650 Depth=2
	s_or_b32 exec_lo, exec_lo, s28
	s_and_b32 s13, s13, exec_lo
	s_or_saveexec_b32 s27, s27
	v_mov_b32_e32 v3, 0x7f800001
	s_xor_b32 exec_lo, exec_lo, s27
	s_cbranch_execnz .LBB6_4691
.LBB6_4662:                             ;   in Loop: Header=BB6_4650 Depth=2
	s_or_b32 exec_lo, exec_lo, s27
	s_and_saveexec_b32 s27, s13
	s_cbranch_execz .LBB6_4664
.LBB6_4663:                             ;   in Loop: Header=BB6_4650 Depth=2
	v_and_b32_e32 v3, 0xffff, v2
	v_lshlrev_b32_e32 v2, 24, v2
	v_and_b32_e32 v4, 7, v3
	v_bfe_u32 v7, v3, 3, 4
	v_and_b32_e32 v2, 0x80000000, v2
	v_ffbh_u32_e32 v5, v4
	v_cmp_eq_u32_e32 vcc_lo, 0, v7
	v_min_u32_e32 v5, 32, v5
	v_subrev_nc_u32_e32 v6, 28, v5
	v_sub_nc_u32_e32 v5, 29, v5
	v_lshlrev_b32_e32 v3, v6, v3
	v_cndmask_b32_e32 v5, v7, v5, vcc_lo
	v_and_b32_e32 v3, 7, v3
	v_cndmask_b32_e32 v3, v4, v3, vcc_lo
	v_lshl_add_u32 v4, v5, 23, 0x3b800000
	v_lshlrev_b32_e32 v3, 20, v3
	v_or3_b32 v3, v2, v4, v3
.LBB6_4664:                             ;   in Loop: Header=BB6_4650 Depth=2
	s_or_b32 exec_lo, exec_lo, s27
	v_mul_f32_e32 v1, v1, v3
	v_mov_b32_e32 v3, 0x80
	s_mov_b32 s27, exec_lo
	v_and_b32_e32 v2, 0x7f800000, v1
	v_cmpx_ne_u32_e32 0x7f800000, v2
	s_cbranch_execz .LBB6_4672
; %bb.4665:                             ;   in Loop: Header=BB6_4650 Depth=2
	v_mov_b32_e32 v3, 0
	s_mov_b32 s28, exec_lo
	v_cmpx_ne_u32_e32 0, v1
	s_cbranch_execz .LBB6_4671
; %bb.4666:                             ;   in Loop: Header=BB6_4650 Depth=2
	v_bfe_u32 v2, v1, 23, 8
	v_and_b32_e32 v3, 0x7fffff, v1
	v_sub_nc_u32_e32 v4, 0x78, v2
	v_cmp_gt_u32_e32 vcc_lo, 0x79, v2
	v_or_b32_e32 v5, 0x800000, v3
	v_cndmask_b32_e32 v4, 0, v4, vcc_lo
	v_cmp_eq_u32_e32 vcc_lo, 0, v2
	v_add_nc_u32_e32 v2, 0xffffff89, v2
	v_cndmask_b32_e64 v4, v4, 0x77, vcc_lo
	v_cndmask_b32_e32 v3, v5, v3, vcc_lo
	v_cndmask_b32_e64 v2, v2, 0xffffff8a, vcc_lo
	v_lshl_add_u32 v5, 0x100000, v4, -1
	v_lshrrev_b32_e32 v6, v4, v3
	v_lshlrev_b32_e64 v8, v4, 0x80000
	v_add_nc_u32_e32 v4, v4, v2
	v_and_b32_e32 v3, v5, v3
	v_bfe_u32 v7, v6, 20, 1
	v_cmp_eq_u32_e64 s13, v3, v8
	v_add_nc_u32_e32 v5, -1, v7
	v_cndmask_b32_e64 v3, 0, v5, s13
	v_lshrrev_b32_e32 v5, 23, v6
	s_mov_b32 s13, exec_lo
	v_add_nc_u32_e32 v3, v3, v6
	v_xor_b32_e32 v5, 1, v5
	v_and_b32_e32 v2, 0xfffff, v3
	v_add_nc_u32_e32 v3, v2, v6
                                        ; implicit-def: $vgpr2
	v_cmpx_ne_u32_e64 v4, v5
	s_xor_b32 s13, exec_lo, s13
; %bb.4667:                             ;   in Loop: Header=BB6_4650 Depth=2
	v_cmp_lt_u32_e32 vcc_lo, 0xffffff, v3
	v_sub_nc_u32_e32 v2, v4, v5
	v_cndmask_b32_e64 v4, 0, 1, vcc_lo
	v_add_co_ci_u32_e64 v2, null, 0, v2, vcc_lo
	v_lshrrev_b32_e32 v3, v4, v3
; %bb.4668:                             ;   in Loop: Header=BB6_4650 Depth=2
	s_andn2_saveexec_b32 s13, s13
; %bb.4669:                             ;   in Loop: Header=BB6_4650 Depth=2
	v_bfe_u32 v2, v3, 23, 1
; %bb.4670:                             ;   in Loop: Header=BB6_4650 Depth=2
	s_or_b32 exec_lo, exec_lo, s13
	v_lshrrev_b32_e32 v3, 20, v3
	v_cmp_gt_i32_e32 vcc_lo, 16, v2
	v_min_i32_e32 v4, 15, v2
	v_and_b32_sdwa v1, v1, v114 dst_sel:DWORD dst_unused:UNUSED_PAD src0_sel:BYTE_3 src1_sel:DWORD
	v_cndmask_b32_e32 v3, 7, v3, vcc_lo
	v_lshlrev_b32_e32 v4, 3, v4
	v_and_b32_e32 v5, 7, v3
	v_or_b32_e32 v2, v2, v3
	v_or3_b32 v1, v4, v1, v5
	v_cmp_ne_u32_e32 vcc_lo, 0, v2
	v_cndmask_b32_e32 v3, 0, v1, vcc_lo
.LBB6_4671:                             ;   in Loop: Header=BB6_4650 Depth=2
	s_or_b32 exec_lo, exec_lo, s28
.LBB6_4672:                             ;   in Loop: Header=BB6_4650 Depth=2
	s_or_b32 exec_lo, exec_lo, s27
	flat_load_ubyte v1, v[12:13] slc
	v_cmp_gt_i16_sdwa s27, v3, v113 src0_sel:BYTE_0 src1_sel:DWORD
	s_mov_b32 s13, 0
	s_and_saveexec_b32 s28, s27
	s_xor_b32 s27, exec_lo, s28
	s_cbranch_execz .LBB6_4692
; %bb.4673:                             ;   in Loop: Header=BB6_4650 Depth=2
	v_cmp_eq_u16_sdwa s29, v3, v114 src0_sel:BYTE_0 src1_sel:DWORD
	s_mov_b32 s13, -1
	s_and_saveexec_b32 s28, s29
; %bb.4674:                             ;   in Loop: Header=BB6_4650 Depth=2
	s_xor_b32 s13, exec_lo, -1
; %bb.4675:                             ;   in Loop: Header=BB6_4650 Depth=2
	s_or_b32 exec_lo, exec_lo, s28
	s_and_b32 s13, s13, exec_lo
	s_or_saveexec_b32 s27, s27
	v_mov_b32_e32 v2, 0x7f800001
	s_xor_b32 exec_lo, exec_lo, s27
	s_cbranch_execnz .LBB6_4693
.LBB6_4676:                             ;   in Loop: Header=BB6_4650 Depth=2
	s_or_b32 exec_lo, exec_lo, s27
	s_and_saveexec_b32 s27, s13
	s_cbranch_execz .LBB6_4678
.LBB6_4677:                             ;   in Loop: Header=BB6_4650 Depth=2
	v_and_b32_e32 v2, 7, v3
	v_lshrrev_b16 v5, 3, v3
	v_ffbh_u32_e32 v4, v2
	v_and_b32_e32 v5, 15, v5
	v_min_u32_e32 v4, 32, v4
	v_cmp_eq_u32_e32 vcc_lo, 0, v5
	v_subrev_nc_u32_e32 v6, 28, v4
	v_sub_nc_u32_e32 v4, 29, v4
	v_lshlrev_b32_e32 v6, v6, v3
	v_lshlrev_b32_e32 v3, 24, v3
	v_cndmask_b32_e32 v4, v5, v4, vcc_lo
	v_and_b32_e32 v6, 7, v6
	v_and_b32_e32 v3, 0x80000000, v3
	v_lshl_add_u32 v4, v4, 23, 0x3b800000
	v_cndmask_b32_e32 v2, v2, v6, vcc_lo
	v_lshlrev_b32_e32 v2, 20, v2
	v_or3_b32 v2, v3, v4, v2
.LBB6_4678:                             ;   in Loop: Header=BB6_4650 Depth=2
	s_or_b32 exec_lo, exec_lo, s27
	s_waitcnt vmcnt(0) lgkmcnt(0)
	v_cmp_gt_i16_sdwa s27, v1, v113 src0_sel:BYTE_0 src1_sel:DWORD
	s_mov_b32 s13, 0
	s_and_saveexec_b32 s28, s27
	s_xor_b32 s27, exec_lo, s28
	s_cbranch_execz .LBB6_4694
; %bb.4679:                             ;   in Loop: Header=BB6_4650 Depth=2
	v_cmp_eq_u16_sdwa s29, v1, v114 src0_sel:BYTE_0 src1_sel:DWORD
	s_mov_b32 s13, -1
	s_and_saveexec_b32 s28, s29
; %bb.4680:                             ;   in Loop: Header=BB6_4650 Depth=2
	s_xor_b32 s13, exec_lo, -1
; %bb.4681:                             ;   in Loop: Header=BB6_4650 Depth=2
	s_or_b32 exec_lo, exec_lo, s28
	s_and_b32 s13, s13, exec_lo
	s_or_saveexec_b32 s27, s27
	v_mov_b32_e32 v3, 0x7f800001
	s_xor_b32 exec_lo, exec_lo, s27
	s_cbranch_execnz .LBB6_4695
.LBB6_4682:                             ;   in Loop: Header=BB6_4650 Depth=2
	s_or_b32 exec_lo, exec_lo, s27
	s_and_saveexec_b32 s27, s13
	s_cbranch_execz .LBB6_4684
.LBB6_4683:                             ;   in Loop: Header=BB6_4650 Depth=2
	v_and_b32_e32 v3, 7, v1
	v_lshrrev_b16 v5, 3, v1
	v_ffbh_u32_e32 v4, v3
	v_and_b32_e32 v5, 15, v5
	v_min_u32_e32 v4, 32, v4
	v_cmp_eq_u32_e32 vcc_lo, 0, v5
	v_subrev_nc_u32_e32 v6, 28, v4
	v_sub_nc_u32_e32 v4, 29, v4
	v_lshlrev_b32_e32 v6, v6, v1
	v_lshlrev_b32_e32 v1, 24, v1
	v_cndmask_b32_e32 v4, v5, v4, vcc_lo
	v_and_b32_e32 v6, 7, v6
	v_and_b32_e32 v1, 0x80000000, v1
	v_lshl_add_u32 v4, v4, 23, 0x3b800000
	v_cndmask_b32_e32 v3, v3, v6, vcc_lo
	v_lshlrev_b32_e32 v3, 20, v3
	v_or3_b32 v3, v1, v4, v3
.LBB6_4684:                             ;   in Loop: Header=BB6_4650 Depth=2
	s_or_b32 exec_lo, exec_lo, s27
	v_add_f32_e32 v1, v2, v3
	v_and_b32_e32 v2, 0x7f800000, v1
	v_cmp_ne_u32_e32 vcc_lo, 0x7f800000, v2
	v_mov_b32_e32 v2, 0x80
	s_and_saveexec_b32 s27, vcc_lo
	s_cbranch_execz .LBB6_4649
; %bb.4685:                             ;   in Loop: Header=BB6_4650 Depth=2
	v_mov_b32_e32 v2, 0
	s_mov_b32 s28, exec_lo
	v_cmpx_ne_u32_e32 0, v1
	s_cbranch_execz .LBB6_4648
; %bb.4686:                             ;   in Loop: Header=BB6_4650 Depth=2
	v_bfe_u32 v2, v1, 23, 8
	v_and_b32_e32 v3, 0x7fffff, v1
	v_sub_nc_u32_e32 v4, 0x78, v2
	v_cmp_gt_u32_e32 vcc_lo, 0x79, v2
	v_or_b32_e32 v5, 0x800000, v3
	v_cndmask_b32_e32 v4, 0, v4, vcc_lo
	v_cmp_eq_u32_e32 vcc_lo, 0, v2
	v_add_nc_u32_e32 v2, 0xffffff89, v2
	v_cndmask_b32_e64 v4, v4, 0x77, vcc_lo
	v_cndmask_b32_e32 v3, v5, v3, vcc_lo
	v_cndmask_b32_e64 v2, v2, 0xffffff8a, vcc_lo
	v_lshl_add_u32 v5, 0x100000, v4, -1
	v_lshrrev_b32_e32 v6, v4, v3
	v_lshlrev_b32_e64 v8, v4, 0x80000
	v_add_nc_u32_e32 v4, v4, v2
	v_and_b32_e32 v3, v5, v3
	v_bfe_u32 v7, v6, 20, 1
	v_cmp_eq_u32_e64 s13, v3, v8
	v_add_nc_u32_e32 v5, -1, v7
	v_cndmask_b32_e64 v3, 0, v5, s13
	v_lshrrev_b32_e32 v5, 23, v6
	s_mov_b32 s13, exec_lo
	v_add_nc_u32_e32 v3, v3, v6
	v_xor_b32_e32 v5, 1, v5
	v_and_b32_e32 v2, 0xfffff, v3
	v_add_nc_u32_e32 v3, v2, v6
                                        ; implicit-def: $vgpr2
	v_cmpx_ne_u32_e64 v4, v5
	s_xor_b32 s13, exec_lo, s13
; %bb.4687:                             ;   in Loop: Header=BB6_4650 Depth=2
	v_cmp_lt_u32_e32 vcc_lo, 0xffffff, v3
	v_sub_nc_u32_e32 v2, v4, v5
	v_cndmask_b32_e64 v4, 0, 1, vcc_lo
	v_add_co_ci_u32_e64 v2, null, 0, v2, vcc_lo
	v_lshrrev_b32_e32 v3, v4, v3
; %bb.4688:                             ;   in Loop: Header=BB6_4650 Depth=2
	s_andn2_saveexec_b32 s13, s13
	s_cbranch_execz .LBB6_4647
; %bb.4689:                             ;   in Loop: Header=BB6_4650 Depth=2
	v_bfe_u32 v2, v3, 23, 1
	s_branch .LBB6_4647
.LBB6_4690:                             ;   in Loop: Header=BB6_4650 Depth=2
	s_or_saveexec_b32 s27, s27
	v_mov_b32_e32 v3, 0x7f800001
	s_xor_b32 exec_lo, exec_lo, s27
	s_cbranch_execz .LBB6_4662
.LBB6_4691:                             ;   in Loop: Header=BB6_4650 Depth=2
	v_cmp_ne_u16_e32 vcc_lo, 0, v2
	v_mov_b32_e32 v3, 0
	s_andn2_b32 s13, s13, exec_lo
	s_and_b32 s28, vcc_lo, exec_lo
	s_or_b32 s13, s13, s28
	s_or_b32 exec_lo, exec_lo, s27
	s_and_saveexec_b32 s27, s13
	s_cbranch_execnz .LBB6_4663
	s_branch .LBB6_4664
.LBB6_4692:                             ;   in Loop: Header=BB6_4650 Depth=2
	s_or_saveexec_b32 s27, s27
	v_mov_b32_e32 v2, 0x7f800001
	s_xor_b32 exec_lo, exec_lo, s27
	s_cbranch_execz .LBB6_4676
.LBB6_4693:                             ;   in Loop: Header=BB6_4650 Depth=2
	v_cmp_ne_u16_sdwa s28, v3, v52 src0_sel:BYTE_0 src1_sel:DWORD
	v_mov_b32_e32 v2, 0
	s_andn2_b32 s13, s13, exec_lo
	s_and_b32 s28, s28, exec_lo
	s_or_b32 s13, s13, s28
	s_or_b32 exec_lo, exec_lo, s27
	s_and_saveexec_b32 s27, s13
	s_cbranch_execnz .LBB6_4677
	s_branch .LBB6_4678
.LBB6_4694:                             ;   in Loop: Header=BB6_4650 Depth=2
	s_or_saveexec_b32 s27, s27
	v_mov_b32_e32 v3, 0x7f800001
	s_xor_b32 exec_lo, exec_lo, s27
	s_cbranch_execz .LBB6_4682
.LBB6_4695:                             ;   in Loop: Header=BB6_4650 Depth=2
	v_cmp_ne_u16_sdwa s28, v1, v52 src0_sel:BYTE_0 src1_sel:DWORD
	v_mov_b32_e32 v3, 0
	s_andn2_b32 s13, s13, exec_lo
	s_and_b32 s28, s28, exec_lo
	s_or_b32 s13, s13, s28
	s_or_b32 exec_lo, exec_lo, s27
	s_and_saveexec_b32 s27, s13
	s_cbranch_execnz .LBB6_4683
	s_branch .LBB6_4684
.LBB6_4696:                             ;   in Loop: Header=BB6_49 Depth=1
	s_or_b32 exec_lo, exec_lo, s14
	s_clause 0x3
	buffer_load_dword v19, off, s[0:3], s33 offset:344
	buffer_load_dword v20, off, s[0:3], s33 offset:348
	;; [unrolled: 1-line block ×4, first 2 shown]
	v_cmp_ne_u32_e64 s13, 0, v53
	s_and_saveexec_b32 s14, s6
	s_cbranch_execz .LBB6_4715
.LBB6_4697:                             ;   in Loop: Header=BB6_49 Depth=1
	s_and_saveexec_b32 s26, s20
	s_xor_b32 s26, exec_lo, s26
	s_cbranch_execz .LBB6_4712
; %bb.4698:                             ;   in Loop: Header=BB6_49 Depth=1
	s_and_saveexec_b32 s27, s7
	s_cbranch_execz .LBB6_4711
; %bb.4699:                             ;   in Loop: Header=BB6_49 Depth=1
	s_mov_b32 s29, exec_lo
	s_mov_b32 s28, exec_lo
	v_mbcnt_lo_u32_b32 v0, s29, 0
	s_waitcnt vmcnt(0) lgkmcnt(0)
	s_waitcnt_vscnt null, 0x0
	buffer_gl1_inv
	buffer_gl0_inv
	v_cmpx_eq_u32_e32 0, v0
	s_cbranch_execz .LBB6_4701
; %bb.4700:                             ;   in Loop: Header=BB6_49 Depth=1
	s_bcnt1_i32_b32 s29, s29
	v_mov_b32_e32 v1, v52
	v_mov_b32_e32 v0, s29
	ds_add_u64 v0, v[0:1]
	s_trap 2
.LBB6_4701:                             ;   in Loop: Header=BB6_49 Depth=1
	s_or_b32 exec_lo, exec_lo, s28
	s_trap 2
	ds_read_b64 v[0:1], v0
	s_waitcnt lgkmcnt(0)
	buffer_gl0_inv
	s_clause 0x1
	buffer_load_dword v2, off, s[0:3], s33 offset:216
	buffer_load_dword v3, off, s[0:3], s33 offset:220
	s_mov_b32 s28, exec_lo
	s_waitcnt vmcnt(1)
	v_add_co_u32 v2, vcc_lo, v2, v97
	s_waitcnt vmcnt(0)
	v_add_co_ci_u32_e64 v3, null, 0, v3, vcc_lo
	buffer_store_dword v2, off, s[0:3], s33 offset:216 ; 4-byte Folded Spill
	buffer_store_dword v3, off, s[0:3], s33 offset:220 ; 4-byte Folded Spill
	v_cmpx_lt_u64_e64 v[0:1], v[2:3]
	s_cbranch_execz .LBB6_4710
; %bb.4702:                             ;   in Loop: Header=BB6_49 Depth=1
	s_mov_b32 s29, 0
	s_mov_b32 s42, 0
                                        ; implicit-def: $sgpr40
                                        ; implicit-def: $sgpr41
	s_inst_prefetch 0x1
	s_branch .LBB6_4704
	.p2align	6
.LBB6_4703:                             ;   in Loop: Header=BB6_4704 Depth=2
	s_or_b32 exec_lo, exec_lo, s44
	s_and_b32 s43, exec_lo, s45
	s_or_b32 s29, s43, s29
	s_andn2_b32 s40, s40, exec_lo
	s_and_b32 s43, s41, exec_lo
	s_or_b32 s40, s40, s43
	s_andn2_b32 exec_lo, exec_lo, s29
	s_cbranch_execz .LBB6_4708
.LBB6_4704:                             ;   Parent Loop BB6_49 Depth=1
                                        ; =>  This Inner Loop Header: Depth=2
	s_add_i32 s42, s42, 1
	s_cmpk_lg_i32 s42, 0x2710
	s_cselect_b32 s43, -1, 0
	s_and_b32 vcc_lo, exec_lo, s43
	s_cbranch_vccz .LBB6_4706
; %bb.4705:                             ;   in Loop: Header=BB6_4704 Depth=2
	s_mov_b32 s45, -1
	s_or_b32 s41, s41, exec_lo
	s_and_saveexec_b32 s44, s43
	s_cbranch_execz .LBB6_4703
	s_branch .LBB6_4707
.LBB6_4706:                             ;   in Loop: Header=BB6_4704 Depth=2
	s_trap 2
	ds_read_b64 v[0:1], v0
	s_andn2_b32 s43, s43, exec_lo
	s_mov_b32 s42, 0
	s_waitcnt lgkmcnt(0)
	s_waitcnt_vscnt null, 0x0
	flat_load_dword v0, v[0:1] glc dlc
	s_waitcnt vmcnt(0) lgkmcnt(0)
	buffer_gl1_inv
	buffer_gl0_inv
	v_cmp_eq_u32_e32 vcc_lo, 0, v0
	s_and_b32 s44, vcc_lo, exec_lo
	s_or_b32 s43, s43, s44
	s_mov_b32 s45, -1
	s_or_b32 s41, s41, exec_lo
	s_and_saveexec_b32 s44, s43
	s_cbranch_execz .LBB6_4703
.LBB6_4707:                             ;   in Loop: Header=BB6_4704 Depth=2
	s_sleep 1
	s_trap 2
	ds_read_b64 v[0:1], v0
	s_waitcnt lgkmcnt(0)
	buffer_gl0_inv
	s_clause 0x1
	buffer_load_dword v2, off, s[0:3], s33 offset:216
	buffer_load_dword v3, off, s[0:3], s33 offset:220
	s_andn2_b32 s41, s41, exec_lo
	s_waitcnt vmcnt(0)
	v_cmp_ge_u64_e32 vcc_lo, v[0:1], v[2:3]
	s_orn2_b32 s45, vcc_lo, exec_lo
	s_branch .LBB6_4703
.LBB6_4708:                             ;   in Loop: Header=BB6_49 Depth=1
	s_inst_prefetch 0x2
	s_or_b32 exec_lo, exec_lo, s29
	s_and_saveexec_b32 s29, s40
	s_xor_b32 s29, exec_lo, s29
	s_cbranch_execz .LBB6_4710
; %bb.4709:                             ;   in Loop: Header=BB6_49 Depth=1
	v_mov_b32_e32 v0, 1
	ds_write_b32 v0, v0
	s_trap 2
.LBB6_4710:                             ;   in Loop: Header=BB6_49 Depth=1
	s_or_b32 exec_lo, exec_lo, s28
	;;#ASMSTART
	s_wakeup
	;;#ASMEND
.LBB6_4711:                             ;   in Loop: Header=BB6_49 Depth=1
	s_or_b32 exec_lo, exec_lo, s27
.LBB6_4712:                             ;   in Loop: Header=BB6_49 Depth=1
	s_andn2_saveexec_b32 s26, s26
	s_cbranch_execz .LBB6_4714
; %bb.4713:                             ;   in Loop: Header=BB6_49 Depth=1
	s_waitcnt vmcnt(0) lgkmcnt(0)
	s_waitcnt_vscnt null, 0x0
	buffer_gl1_inv
	buffer_gl0_inv
	s_barrier
.LBB6_4714:                             ;   in Loop: Header=BB6_49 Depth=1
	s_or_b32 exec_lo, exec_lo, s26
.LBB6_4715:                             ;   in Loop: Header=BB6_49 Depth=1
	s_or_b32 exec_lo, exec_lo, s14
	buffer_load_dword v0, off, s[0:3], s33 offset:196 ; 4-byte Folded Reload
	s_waitcnt vmcnt(0)
	v_and_b32_e32 v0, 16, v0
	v_cmp_ne_u32_e32 vcc_lo, 0, v0
	s_and_b32 s14, vcc_lo, s13
	s_and_saveexec_b32 s13, s14
	s_cbranch_execz .LBB6_4717
; %bb.4716:                             ;   in Loop: Header=BB6_49 Depth=1
	s_waitcnt lgkmcnt(0)
	s_waitcnt_vscnt null, 0x0
	buffer_gl1_inv
	buffer_gl0_inv
.LBB6_4717:                             ;   in Loop: Header=BB6_49 Depth=1
	s_or_b32 exec_lo, exec_lo, s13
	v_cmp_ne_u32_e32 vcc_lo, 0, v0
	s_xor_b32 s13, s12, -1
	s_and_b32 s14, vcc_lo, s13
	s_and_saveexec_b32 s13, s14
	s_cbranch_execz .LBB6_4719
; %bb.4718:                             ;   in Loop: Header=BB6_49 Depth=1
	s_clause 0x1
	buffer_load_dword v0, off, s[0:3], s33 offset:400
	buffer_load_dword v1, off, s[0:3], s33 offset:404
	v_mov_b32_e32 v2, 1
	s_waitcnt vmcnt(0) lgkmcnt(0)
	s_waitcnt_vscnt null, 0x0
	flat_store_dword v[0:1], v2
.LBB6_4719:                             ;   in Loop: Header=BB6_49 Depth=1
	s_or_b32 exec_lo, exec_lo, s13
	buffer_load_dword v0, off, s[0:3], s33 offset:196 ; 4-byte Folded Reload
	s_mov_b32 s13, exec_lo
	s_waitcnt vmcnt(0)
	v_and_b32_e32 v0, 48, v0
	v_cmpx_ne_u32_e32 0, v0
	s_cbranch_execz .LBB6_4721
; %bb.4720:                             ;   in Loop: Header=BB6_49 Depth=1
	s_clause 0x3
	buffer_load_dword v0, off, s[0:3], s33 offset:200
	buffer_load_dword v1, off, s[0:3], s33 offset:204
	;; [unrolled: 1-line block ×4, first 2 shown]
	s_waitcnt vmcnt(1)
	v_add_co_u32 v2, vcc_lo, v2, 1
	s_waitcnt vmcnt(0)
	v_add_co_ci_u32_e64 v3, null, 0, v3, vcc_lo
	buffer_store_dword v0, off, s[0:3], s33 offset:200 ; 4-byte Folded Spill
	buffer_store_dword v1, off, s[0:3], s33 offset:204 ; 4-byte Folded Spill
	;; [unrolled: 1-line block ×4, first 2 shown]
	s_clause 0x1
	buffer_load_dword v0, off, s[0:3], s33 offset:188
	buffer_load_dword v1, off, s[0:3], s33 offset:192
	s_waitcnt vmcnt(0) lgkmcnt(0)
	s_waitcnt_vscnt null, 0x0
	flat_store_dwordx2 v[0:1], v[2:3]
.LBB6_4721:                             ;   in Loop: Header=BB6_49 Depth=1
	s_or_b32 exec_lo, exec_lo, s13
	v_mov_b32_e32 v0, v65
.LBB6_4722:                             ;   in Loop: Header=BB6_49 Depth=1
	s_or_b32 exec_lo, exec_lo, s25
	s_and_saveexec_b32 s14, s24
	s_cbranch_execnz .LBB6_4723
; %bb.12596:                            ;   in Loop: Header=BB6_49 Depth=1
	s_getpc_b64 s[34:35]
.Lpost_getpc17:
	s_add_u32 s34, s34, (.LBB6_48-.Lpost_getpc17)&4294967295
	s_addc_u32 s35, s35, (.LBB6_48-.Lpost_getpc17)>>32
	s_setpc_b64 s[34:35]
.LBB6_4723:                             ;   in Loop: Header=BB6_49 Depth=1
	buffer_load_dword v1, off, s[0:3], s33 offset:196 ; 4-byte Folded Reload
	v_sub_nc_u32_e32 v0, v64, v0
	s_mov_b32 s24, exec_lo
	v_min_i32_e32 v10, v65, v0
	s_waitcnt vmcnt(0)
	v_and_b32_e32 v1, 12, v1
	v_cmpx_ne_u32_e32 0, v1
	s_cbranch_execz .LBB6_4749
; %bb.4724:                             ;   in Loop: Header=BB6_49 Depth=1
	s_clause 0x4
	buffer_load_dword v0, off, s[0:3], s33 offset:196
	buffer_load_dword v3, off, s[0:3], s33 offset:200
	;; [unrolled: 1-line block ×5, first 2 shown]
	s_mov_b32 s25, exec_lo
	s_waitcnt vmcnt(4)
	v_and_b32_e32 v0, 8, v0
	v_add_co_u32 v1, vcc_lo, v38, v0
	v_add_co_ci_u32_e64 v2, null, 0, v39, vcc_lo
	s_waitcnt vmcnt(1)
	v_add_co_u32 v12, vcc_lo, v5, 1
	s_waitcnt vmcnt(0)
	v_add_co_ci_u32_e64 v13, null, 0, v6, vcc_lo
	v_cmpx_lt_u64_e64 v[1:2], v[12:13]
	s_cbranch_execz .LBB6_4736
; %bb.4725:                             ;   in Loop: Header=BB6_49 Depth=1
	buffer_load_dword v1, off, s[0:3], s33 offset:196 ; 4-byte Folded Reload
	s_mov_b32 s26, 0
	s_mov_b32 s40, 0
                                        ; implicit-def: $sgpr27
                                        ; implicit-def: $sgpr28
                                        ; implicit-def: $sgpr29
	s_waitcnt vmcnt(0)
	v_and_b32_e32 v1, 64, v1
	v_cmp_eq_u32_e32 vcc_lo, 0, v1
	s_branch .LBB6_4729
.LBB6_4726:                             ;   in Loop: Header=BB6_4729 Depth=2
	s_waitcnt vmcnt(0) lgkmcnt(0)
	v_add_co_u32 v2, s13, v38, v0
	v_add_co_ci_u32_e64 v3, null, 0, v39, s13
	s_or_b32 s43, s43, exec_lo
	v_cmp_ge_u64_e64 s13, v[2:3], v[12:13]
	s_orn2_b32 s42, s13, exec_lo
.LBB6_4727:                             ;   in Loop: Header=BB6_4729 Depth=2
	s_or_b32 exec_lo, exec_lo, s45
	s_andn2_b32 s13, s29, exec_lo
	s_and_b32 s29, s43, exec_lo
	s_andn2_b32 s28, s28, exec_lo
	s_and_b32 s42, s42, exec_lo
	s_or_b32 s29, s13, s29
	s_or_b32 s28, s28, s42
.LBB6_4728:                             ;   in Loop: Header=BB6_4729 Depth=2
	s_or_b32 exec_lo, exec_lo, s41
	s_and_b32 s13, exec_lo, s28
	s_or_b32 s26, s13, s26
	s_andn2_b32 s13, s27, exec_lo
	s_and_b32 s27, s29, exec_lo
	s_or_b32 s27, s13, s27
	s_andn2_b32 exec_lo, exec_lo, s26
	s_cbranch_execz .LBB6_4733
.LBB6_4729:                             ;   Parent Loop BB6_49 Depth=1
                                        ; =>  This Inner Loop Header: Depth=2
	s_sleep 1
	s_clause 0x1
	buffer_load_dword v1, off, s[0:3], s33 offset:188
	buffer_load_dword v2, off, s[0:3], s33 offset:192
	s_or_b32 s29, s29, exec_lo
	s_or_b32 s28, s28, exec_lo
	s_waitcnt vmcnt(0) lgkmcnt(0)
	flat_load_dwordx2 v[38:39], v[1:2] glc dlc
                                        ; implicit-def: $vgpr1
	s_and_saveexec_b32 s41, vcc_lo
	s_cbranch_execz .LBB6_4728
; %bb.4730:                             ;   in Loop: Header=BB6_4729 Depth=2
	s_cmpk_lt_i32 s40, 0x270f
	s_mov_b32 s42, -1
	s_cselect_b32 s44, -1, 0
	s_cmpk_gt_i32 s40, 0x270e
	s_cbranch_scc0 .LBB6_4732
; %bb.4731:                             ;   in Loop: Header=BB6_4729 Depth=2
	s_trap 2
	ds_read_b64 v[1:2], v0
	s_andn2_b32 s40, s44, exec_lo
	s_mov_b32 s43, 0
	s_waitcnt vmcnt(0) lgkmcnt(0)
	s_waitcnt_vscnt null, 0x0
	flat_load_dword v1, v[1:2] glc dlc
	s_waitcnt vmcnt(0) lgkmcnt(0)
	buffer_gl1_inv
	buffer_gl0_inv
	v_cmp_eq_u32_e64 s13, 0, v1
	s_and_b32 s13, s13, exec_lo
	s_or_b32 s44, s40, s13
	s_mov_b32 s40, 0
	s_and_saveexec_b32 s45, s44
	s_cbranch_execz .LBB6_4727
	s_branch .LBB6_4726
.LBB6_4732:                             ;   in Loop: Header=BB6_4729 Depth=2
	s_add_i32 s40, s40, 1
	s_mov_b32 s43, -1
                                        ; implicit-def: $vgpr1
	s_and_saveexec_b32 s45, s44
	s_cbranch_execz .LBB6_4727
	s_branch .LBB6_4726
.LBB6_4733:                             ;   in Loop: Header=BB6_49 Depth=1
	s_or_b32 exec_lo, exec_lo, s26
	s_xor_b32 s13, s27, -1
	s_and_saveexec_b32 s26, s13
	s_xor_b32 s13, exec_lo, s26
	s_cbranch_execz .LBB6_4735
; %bb.4734:                             ;   in Loop: Header=BB6_49 Depth=1
	buffer_load_dword v2, off, s[0:3], s33 offset:196 ; 4-byte Folded Reload
	s_waitcnt vmcnt(0)
	v_or_b32_e32 v2, 64, v2
	buffer_store_dword v2, off, s[0:3], s33 offset:196 ; 4-byte Folded Spill
	s_waitcnt lgkmcnt(0)
	s_waitcnt_vscnt null, 0x0
	ds_write_b32 v0, v1
	s_trap 2
.LBB6_4735:                             ;   in Loop: Header=BB6_49 Depth=1
	s_or_b32 exec_lo, exec_lo, s13
.LBB6_4736:                             ;   in Loop: Header=BB6_49 Depth=1
	s_or_b32 exec_lo, exec_lo, s25
	buffer_load_dword v1, off, s[0:3], s33 offset:196 ; 4-byte Folded Reload
	s_waitcnt vmcnt(0)
	v_and_b32_e32 v1, 0x108, v1
	v_cmp_ne_u32_e32 vcc_lo, 0x108, v1
	s_clause 0x3
	buffer_load_dword v1, off, s[0:3], s33 offset:200
	buffer_load_dword v2, off, s[0:3], s33 offset:204
	;; [unrolled: 1-line block ×4, first 2 shown]
	;;#ASMSTART
	s_wakeup
	;;#ASMEND
	s_waitcnt vmcnt(1)
	v_and_b32_e32 v1, 7, v3
	s_and_saveexec_b32 s13, vcc_lo
	s_xor_b32 s13, exec_lo, s13
                                        ; implicit-def: $vgpr2
; %bb.4737:                             ;   in Loop: Header=BB6_49 Depth=1
	v_mov_b32_e32 v2, v52
; %bb.4738:                             ;   in Loop: Header=BB6_49 Depth=1
	s_andn2_saveexec_b32 s13, s13
	s_cbranch_execz .LBB6_4740
; %bb.4739:                             ;   in Loop: Header=BB6_49 Depth=1
	s_clause 0x3
	buffer_load_dword v2, off, s[0:3], s33 offset:200
	buffer_load_dword v3, off, s[0:3], s33 offset:204
	buffer_load_dword v4, off, s[0:3], s33 offset:208
	buffer_load_dword v5, off, s[0:3], s33 offset:212
	v_ashrrev_i32_e32 v11, 31, v10
	s_waitcnt vmcnt(1)
	v_mad_u64_u32 v[3:4], null, v1, 24, v[2:3]
	v_mov_b32_e32 v2, v52
	flat_store_dwordx2 v[3:4], v[10:11] offset:8
.LBB6_4740:                             ;   in Loop: Header=BB6_49 Depth=1
	s_or_b32 exec_lo, exec_lo, s13
	buffer_load_dword v3, off, s[0:3], s33 offset:196 ; 4-byte Folded Reload
	s_mov_b32 s13, -1
	s_mov_b32 s25, exec_lo
                                        ; implicit-def: $vgpr8_vgpr9
	s_waitcnt vmcnt(0)
	v_and_b32_e32 v3, 0x100, v3
	v_cmpx_ne_u32_e32 0, v3
	s_cbranch_execz .LBB6_4744
; %bb.4741:                             ;   in Loop: Header=BB6_49 Depth=1
	s_clause 0x3
	buffer_load_dword v3, off, s[0:3], s33 offset:200
	buffer_load_dword v4, off, s[0:3], s33 offset:204
	;; [unrolled: 1-line block ×4, first 2 shown]
	s_mov_b32 s26, exec_lo
                                        ; implicit-def: $vgpr8_vgpr9
	s_waitcnt vmcnt(2)
	v_mad_u64_u32 v[14:15], null, v1, 24, v[3:4]
	v_mov_b32_e32 v3, v15
	v_mad_u64_u32 v[3:4], null, v2, 24, v[3:4]
	v_mov_b32_e32 v15, v3
	flat_load_dword v3, v[14:15]
	s_waitcnt vmcnt(0) lgkmcnt(0)
	v_cmp_ne_u32_e32 vcc_lo, 1, v3
	v_cmpx_eq_u32_e32 1, v3
	s_cbranch_execz .LBB6_4743
; %bb.4742:                             ;   in Loop: Header=BB6_49 Depth=1
	flat_load_dword v8, v[14:15] offset:4 glc dlc
	s_waitcnt vmcnt(0) lgkmcnt(0)
	v_ashrrev_i32_e32 v9, 31, v8
.LBB6_4743:                             ;   in Loop: Header=BB6_49 Depth=1
	s_or_b32 exec_lo, exec_lo, s26
	s_orn2_b32 s13, vcc_lo, exec_lo
.LBB6_4744:                             ;   in Loop: Header=BB6_49 Depth=1
	s_or_b32 exec_lo, exec_lo, s25
	s_and_saveexec_b32 s25, s13
	s_cbranch_execz .LBB6_4746
; %bb.4745:                             ;   in Loop: Header=BB6_49 Depth=1
	s_clause 0x1
	buffer_load_dword v4, off, s[0:3], s33 offset:396
	buffer_load_dword v3, off, s[0:3], s33 offset:224
	s_waitcnt vmcnt(1)
	v_mul_lo_u32 v2, v2, v4
	s_waitcnt vmcnt(0)
	v_mul_lo_u32 v3, v1, v3
	v_mad_u64_u32 v[8:9], null, v1, v4, 0
	v_add3_u32 v9, v9, v3, v2
.LBB6_4746:                             ;   in Loop: Header=BB6_49 Depth=1
	s_or_b32 exec_lo, exec_lo, s25
	v_cmp_eq_u32_e32 vcc_lo, 0, v0
	v_mov_b32_e32 v0, 0x90
	s_mov_b32 s13, exec_lo
	v_cndmask_b32_e32 v2, 0xc8, v0, vcc_lo
	buffer_load_dword v0, off, s[0:3], s33 offset:196 ; 4-byte Folded Reload
	s_waitcnt vmcnt(0)
	v_and_b32_e32 v3, 0x2000, v0
	s_clause 0x1
	buffer_load_dword v0, off, s[0:3], s33 offset:368
	buffer_load_dword v1, off, s[0:3], s33 offset:372
	s_waitcnt vmcnt(1)
	v_add_co_u32 v0, vcc_lo, v0, v8
	s_waitcnt vmcnt(0)
	v_add_co_ci_u32_e64 v1, null, v1, v9, vcc_lo
	v_add_nc_u32_e32 v2, v0, v2
	ds_write_b64 v2, v[0:1] offset:584
	v_cmpx_ne_u32_e32 0, v3
	s_cbranch_execz .LBB6_4748
; %bb.4747:                             ;   in Loop: Header=BB6_49 Depth=1
	ds_read_b64 v[0:1], v0 offset:872
	s_waitcnt lgkmcnt(0)
	v_add_co_u32 v0, vcc_lo, v0, 1
	v_add_co_ci_u32_e64 v1, null, 0, v1, vcc_lo
	ds_write_b64 v0, v[0:1] offset:872
.LBB6_4748:                             ;   in Loop: Header=BB6_49 Depth=1
	s_or_b32 exec_lo, exec_lo, s13
	s_clause 0x3
	buffer_load_dword v0, off, s[0:3], s33 offset:200
	buffer_load_dword v1, off, s[0:3], s33 offset:204
	;; [unrolled: 1-line block ×4, first 2 shown]
	s_waitcnt vmcnt(0)
	v_mov_b32_e32 v2, v12
	v_mov_b32_e32 v3, v13
	buffer_store_dword v0, off, s[0:3], s33 offset:200 ; 4-byte Folded Spill
	buffer_store_dword v1, off, s[0:3], s33 offset:204 ; 4-byte Folded Spill
	;; [unrolled: 1-line block ×4, first 2 shown]
.LBB6_4749:                             ;   in Loop: Header=BB6_49 Depth=1
	s_or_b32 exec_lo, exec_lo, s24
	s_and_saveexec_b32 s13, s6
	s_cbranch_execz .LBB6_4768
; %bb.4750:                             ;   in Loop: Header=BB6_49 Depth=1
	s_and_saveexec_b32 s24, s20
	s_xor_b32 s24, exec_lo, s24
	s_cbranch_execz .LBB6_4765
; %bb.4751:                             ;   in Loop: Header=BB6_49 Depth=1
	s_and_saveexec_b32 s25, s7
	s_cbranch_execz .LBB6_4764
; %bb.4752:                             ;   in Loop: Header=BB6_49 Depth=1
	s_mov_b32 s27, exec_lo
	s_mov_b32 s26, exec_lo
	v_mbcnt_lo_u32_b32 v0, s27, 0
	s_waitcnt lgkmcnt(0)
	s_waitcnt_vscnt null, 0x0
	buffer_gl1_inv
	buffer_gl0_inv
	v_cmpx_eq_u32_e32 0, v0
	s_cbranch_execz .LBB6_4754
; %bb.4753:                             ;   in Loop: Header=BB6_49 Depth=1
	s_bcnt1_i32_b32 s27, s27
	v_mov_b32_e32 v1, v52
	v_mov_b32_e32 v0, s27
	ds_add_u64 v0, v[0:1]
	s_trap 2
.LBB6_4754:                             ;   in Loop: Header=BB6_49 Depth=1
	s_or_b32 exec_lo, exec_lo, s26
	s_trap 2
	ds_read_b64 v[0:1], v0
	s_waitcnt lgkmcnt(0)
	buffer_gl0_inv
	s_clause 0x1
	buffer_load_dword v2, off, s[0:3], s33 offset:216
	buffer_load_dword v3, off, s[0:3], s33 offset:220
	s_mov_b32 s26, exec_lo
	s_waitcnt vmcnt(1)
	v_add_co_u32 v2, vcc_lo, v2, v97
	s_waitcnt vmcnt(0)
	v_add_co_ci_u32_e64 v3, null, 0, v3, vcc_lo
	buffer_store_dword v2, off, s[0:3], s33 offset:216 ; 4-byte Folded Spill
	buffer_store_dword v3, off, s[0:3], s33 offset:220 ; 4-byte Folded Spill
	v_cmpx_lt_u64_e64 v[0:1], v[2:3]
	s_cbranch_execz .LBB6_4763
; %bb.4755:                             ;   in Loop: Header=BB6_49 Depth=1
	s_mov_b32 s27, 0
	s_mov_b32 s40, 0
                                        ; implicit-def: $sgpr28
                                        ; implicit-def: $sgpr29
	s_inst_prefetch 0x1
	s_branch .LBB6_4757
	.p2align	6
.LBB6_4756:                             ;   in Loop: Header=BB6_4757 Depth=2
	s_or_b32 exec_lo, exec_lo, s42
	s_and_b32 s41, exec_lo, s43
	s_or_b32 s27, s41, s27
	s_andn2_b32 s28, s28, exec_lo
	s_and_b32 s41, s29, exec_lo
	s_or_b32 s28, s28, s41
	s_andn2_b32 exec_lo, exec_lo, s27
	s_cbranch_execz .LBB6_4761
.LBB6_4757:                             ;   Parent Loop BB6_49 Depth=1
                                        ; =>  This Inner Loop Header: Depth=2
	s_add_i32 s40, s40, 1
	s_cmpk_lg_i32 s40, 0x2710
	s_cselect_b32 s41, -1, 0
	s_and_b32 vcc_lo, exec_lo, s41
	s_cbranch_vccz .LBB6_4759
; %bb.4758:                             ;   in Loop: Header=BB6_4757 Depth=2
	s_mov_b32 s43, -1
	s_or_b32 s29, s29, exec_lo
	s_and_saveexec_b32 s42, s41
	s_cbranch_execz .LBB6_4756
	s_branch .LBB6_4760
.LBB6_4759:                             ;   in Loop: Header=BB6_4757 Depth=2
	s_trap 2
	ds_read_b64 v[0:1], v0
	s_andn2_b32 s41, s41, exec_lo
	s_mov_b32 s40, 0
	s_waitcnt lgkmcnt(0)
	s_waitcnt_vscnt null, 0x0
	flat_load_dword v0, v[0:1] glc dlc
	s_waitcnt vmcnt(0) lgkmcnt(0)
	buffer_gl1_inv
	buffer_gl0_inv
	v_cmp_eq_u32_e32 vcc_lo, 0, v0
	s_and_b32 s42, vcc_lo, exec_lo
	s_or_b32 s41, s41, s42
	s_mov_b32 s43, -1
	s_or_b32 s29, s29, exec_lo
	s_and_saveexec_b32 s42, s41
	s_cbranch_execz .LBB6_4756
.LBB6_4760:                             ;   in Loop: Header=BB6_4757 Depth=2
	s_sleep 1
	s_trap 2
	ds_read_b64 v[0:1], v0
	s_waitcnt lgkmcnt(0)
	buffer_gl0_inv
	s_clause 0x1
	buffer_load_dword v2, off, s[0:3], s33 offset:216
	buffer_load_dword v3, off, s[0:3], s33 offset:220
	s_andn2_b32 s29, s29, exec_lo
	s_waitcnt vmcnt(0)
	v_cmp_ge_u64_e32 vcc_lo, v[0:1], v[2:3]
	s_orn2_b32 s43, vcc_lo, exec_lo
	s_branch .LBB6_4756
.LBB6_4761:                             ;   in Loop: Header=BB6_49 Depth=1
	s_inst_prefetch 0x2
	s_or_b32 exec_lo, exec_lo, s27
	s_and_saveexec_b32 s27, s28
	s_xor_b32 s27, exec_lo, s27
	s_cbranch_execz .LBB6_4763
; %bb.4762:                             ;   in Loop: Header=BB6_49 Depth=1
	v_mov_b32_e32 v0, 1
	ds_write_b32 v0, v0
	s_trap 2
.LBB6_4763:                             ;   in Loop: Header=BB6_49 Depth=1
	s_or_b32 exec_lo, exec_lo, s26
	;;#ASMSTART
	s_wakeup
	;;#ASMEND
.LBB6_4764:                             ;   in Loop: Header=BB6_49 Depth=1
	s_or_b32 exec_lo, exec_lo, s25
.LBB6_4765:                             ;   in Loop: Header=BB6_49 Depth=1
	s_andn2_saveexec_b32 s24, s24
	s_cbranch_execz .LBB6_4767
; %bb.4766:                             ;   in Loop: Header=BB6_49 Depth=1
	s_waitcnt lgkmcnt(0)
	s_waitcnt_vscnt null, 0x0
	buffer_gl1_inv
	buffer_gl0_inv
	s_barrier
.LBB6_4767:                             ;   in Loop: Header=BB6_49 Depth=1
	s_or_b32 exec_lo, exec_lo, s24
.LBB6_4768:                             ;   in Loop: Header=BB6_49 Depth=1
	s_or_b32 exec_lo, exec_lo, s13
	s_trap 2
	ds_read_b32 v0, v0
	v_cmp_lt_i32_e32 vcc_lo, 0, v10
	s_waitcnt lgkmcnt(0)
	v_readfirstlane_b32 s13, v0
	buffer_load_dword v0, off, s[0:3], s33 offset:196 ; 4-byte Folded Reload
	s_cmp_eq_u32 s13, 0
	s_cselect_b32 s24, -1, 0
	s_and_b32 s24, vcc_lo, s24
	s_waitcnt vmcnt(0)
	v_and_b32_e32 v0, 16, v0
	v_cmp_ne_u32_e64 s13, 0, v0
	s_and_b32 s24, s13, s24
	s_and_saveexec_b32 s13, s24
	s_cbranch_execz .LBB6_4770
; %bb.4769:                             ;   in Loop: Header=BB6_49 Depth=1
	s_waitcnt_vscnt null, 0x0
	buffer_gl1_inv
	buffer_gl0_inv
.LBB6_4770:                             ;   in Loop: Header=BB6_49 Depth=1
	s_or_b32 exec_lo, exec_lo, s13
	v_cmp_ne_u32_e32 vcc_lo, 0, v0
	s_xor_b32 s13, s12, -1
	s_and_b32 s24, vcc_lo, s13
	s_and_saveexec_b32 s13, s24
	s_cbranch_execz .LBB6_4772
; %bb.4771:                             ;   in Loop: Header=BB6_49 Depth=1
	s_clause 0x1
	buffer_load_dword v0, off, s[0:3], s33 offset:400
	buffer_load_dword v1, off, s[0:3], s33 offset:404
	v_mov_b32_e32 v2, 1
	s_waitcnt vmcnt(0)
	s_waitcnt_vscnt null, 0x0
	flat_store_dword v[0:1], v2
.LBB6_4772:                             ;   in Loop: Header=BB6_49 Depth=1
	s_or_b32 exec_lo, exec_lo, s13
	buffer_load_dword v0, off, s[0:3], s33 offset:196 ; 4-byte Folded Reload
	s_mov_b32 s13, exec_lo
	s_waitcnt vmcnt(0)
	v_and_b32_e32 v0, 48, v0
	v_cmpx_ne_u32_e32 0, v0
	s_cbranch_execnz .LBB6_4773
; %bb.12598:                            ;   in Loop: Header=BB6_49 Depth=1
	s_getpc_b64 s[34:35]
.Lpost_getpc18:
	s_add_u32 s34, s34, (.LBB6_47-.Lpost_getpc18)&4294967295
	s_addc_u32 s35, s35, (.LBB6_47-.Lpost_getpc18)>>32
	s_setpc_b64 s[34:35]
.LBB6_4773:                             ;   in Loop: Header=BB6_49 Depth=1
	s_clause 0x3
	buffer_load_dword v0, off, s[0:3], s33 offset:200
	buffer_load_dword v1, off, s[0:3], s33 offset:204
	;; [unrolled: 1-line block ×4, first 2 shown]
	s_waitcnt vmcnt(1)
	v_add_co_u32 v2, vcc_lo, v2, 1
	s_waitcnt vmcnt(0)
	v_add_co_ci_u32_e64 v3, null, 0, v3, vcc_lo
	buffer_store_dword v0, off, s[0:3], s33 offset:200 ; 4-byte Folded Spill
	buffer_store_dword v1, off, s[0:3], s33 offset:204 ; 4-byte Folded Spill
	;; [unrolled: 1-line block ×4, first 2 shown]
	s_clause 0x1
	buffer_load_dword v0, off, s[0:3], s33 offset:188
	buffer_load_dword v1, off, s[0:3], s33 offset:192
	s_waitcnt vmcnt(0) lgkmcnt(0)
	s_waitcnt_vscnt null, 0x0
	flat_store_dwordx2 v[0:1], v[2:3]
; %bb.12574:                            ;   in Loop: Header=BB6_49 Depth=1
	s_getpc_b64 s[34:35]
.Lpost_getpc6:
	s_add_u32 s34, s34, (.LBB6_47-.Lpost_getpc6)&4294967295
	s_addc_u32 s35, s35, (.LBB6_47-.Lpost_getpc6)>>32
	s_setpc_b64 s[34:35]
.LBB6_4774:
	s_or_b32 exec_lo, exec_lo, s21
.LBB6_4775:
	s_or_b32 exec_lo, exec_lo, s19
                                        ; implicit-def: $vgpr0
                                        ; kill: killed $vgpr0
                                        ; implicit-def: $vgpr96_vgpr97
                                        ; implicit-def: $vgpr19_vgpr20
                                        ; implicit-def: $vgpr38_vgpr39
                                        ; implicit-def: $vgpr0_vgpr1
                                        ; kill: killed $vgpr0_vgpr1
                                        ; implicit-def: $vgpr0_vgpr1
                                        ; kill: killed $vgpr0_vgpr1
                                        ; implicit-def: $vgpr0
                                        ; implicit-def: $vgpr1
                                        ; kill: killed $vgpr0
                                        ; implicit-def: $vgpr0
	buffer_store_dword v1, off, s[0:3], s33 offset:336 ; 4-byte Folded Spill
	buffer_store_dword v2, off, s[0:3], s33 offset:340 ; 4-byte Folded Spill
.LBB6_4776:
	s_andn2_saveexec_b32 s14, s18
	s_cbranch_execnz .LBB6_4777
; %bb.12600:
	s_getpc_b64 s[34:35]
.Lpost_getpc19:
	s_add_u32 s34, s34, (.LBB6_9496-.Lpost_getpc19)&4294967295
	s_addc_u32 s35, s35, (.LBB6_9496-.Lpost_getpc19)>>32
	s_setpc_b64 s[34:35]
.LBB6_4777:
	v_mov_b32_e32 v1, 0
	v_mov_b32_e32 v2, 0
	s_mov_b32 s18, exec_lo
	buffer_store_dword v1, off, s[0:3], s33 offset:216 ; 4-byte Folded Spill
	buffer_store_dword v2, off, s[0:3], s33 offset:220 ; 4-byte Folded Spill
	s_waitcnt vmcnt(2)
	v_cmpx_ne_u64_e32 0, v[19:20]
	s_cbranch_execnz .LBB6_4778
; %bb.12602:
	s_getpc_b64 s[34:35]
.Lpost_getpc20:
	s_add_u32 s34, s34, (.LBB6_9495-.Lpost_getpc20)&4294967295
	s_addc_u32 s35, s35, (.LBB6_9495-.Lpost_getpc20)>>32
	s_setpc_b64 s[34:35]
.LBB6_4778:
	buffer_store_dword v96, off, s[0:3], s33 offset:408 ; 4-byte Folded Spill
	buffer_store_dword v97, off, s[0:3], s33 offset:412 ; 4-byte Folded Spill
	s_clause 0x3
	buffer_load_dword v2, off, s[0:3], s33 offset:384
	buffer_load_dword v4, off, s[0:3], s33 offset:376
	;; [unrolled: 1-line block ×4, first 2 shown]
	s_ashr_i32 s6, s16, 31
	v_mov_b32_e32 v52, 0
	s_lshr_b32 s6, s6, 24
	v_mov_b32_e32 v51, 0
	s_add_i32 s12, s16, s6
	v_mov_b32_e32 v53, 0
	v_mov_b32_e32 v101, 0x7f
	;; [unrolled: 1-line block ×7, first 2 shown]
	s_ashr_i32 s21, s12, 8
	s_mov_b32 s20, 0
	s_waitcnt vmcnt(3)
	v_cmp_eq_u32_e32 vcc_lo, 32, v2
	s_waitcnt vmcnt(2)
	v_lshrrev_b32_e32 v5, 5, v4
	s_waitcnt vmcnt(1)
	v_and_b32_e32 v1, 31, v1
	s_waitcnt vmcnt(0)
	v_cmp_ne_u32_sdwa s19, v2, v3 src0_sel:DWORD src1_sel:WORD_0
	v_and_b32_e32 v3, 31, v4
	v_cmp_ge_u32_e64 s5, v4, v2
	v_cmp_ne_u32_e64 s6, 32, v2
	v_cmp_eq_u32_e64 s7, 0, v1
	v_lshlrev_b32_e32 v1, 11, v5
	v_cmp_le_u32_e64 s10, v3, v0
	buffer_store_dword v5, off, s[0:3], s33 offset:224 ; 4-byte Folded Spill
	v_lshrrev_b32_e32 v86, 5, v2
	v_cmp_eq_u32_e64 s11, 0, v3
	v_lshl_or_b32 v87, v3, 4, v1
	v_mov_b32_e32 v0, 0
	v_mov_b32_e32 v1, 0
	buffer_store_dword v3, off, s[0:3], s33 offset:228 ; 4-byte Folded Spill
	v_and_b32_e32 v99, 0x1fe0, v2
	buffer_store_dword v0, off, s[0:3], s33 offset:216 ; 4-byte Folded Spill
	buffer_store_dword v1, off, s[0:3], s33 offset:220 ; 4-byte Folded Spill
	s_trap 2
	s_clause 0x1
	buffer_load_dword v2, off, s[0:3], s33 offset:336
	buffer_load_dword v3, off, s[0:3], s33 offset:340
	v_lshlrev_b32_e32 v96, 11, v86
	v_lshlrev_b32_e32 v97, 9, v86
	;; [unrolled: 1-line block ×3, first 2 shown]
	s_xor_b32 s22, vcc_lo, -1
	buffer_store_dword v19, off, s[0:3], s33 offset:344 ; 4-byte Folded Spill
	buffer_store_dword v20, off, s[0:3], s33 offset:348 ; 4-byte Folded Spill
	;; [unrolled: 1-line block ×4, first 2 shown]
	s_branch .LBB6_4781
.LBB6_4779:                             ;   in Loop: Header=BB6_4781 Depth=1
	s_or_b32 exec_lo, exec_lo, s12
.LBB6_4780:                             ;   in Loop: Header=BB6_4781 Depth=1
	s_or_b32 exec_lo, exec_lo, s13
	s_clause 0x1
	buffer_load_dword v2, off, s[0:3], s33 offset:336
	buffer_load_dword v3, off, s[0:3], s33 offset:340
	s_waitcnt vmcnt(1)
	v_add_co_u32 v52, vcc_lo, v52, v2
	v_add_co_ci_u32_e64 v53, null, 0, v53, vcc_lo
	v_cmp_ge_u64_e32 vcc_lo, v[52:53], v[19:20]
	s_or_b32 s20, vcc_lo, s20
	s_andn2_b32 exec_lo, exec_lo, s20
	s_cbranch_execnz .LBB6_4781
; %bb.12604:
	s_getpc_b64 s[34:35]
.Lpost_getpc21:
	s_add_u32 s34, s34, (.LBB6_9494-.Lpost_getpc21)&4294967295
	s_addc_u32 s35, s35, (.LBB6_9494-.Lpost_getpc21)>>32
	s_setpc_b64 s[34:35]
.LBB6_4781:                             ; =>This Loop Header: Depth=1
                                        ;     Child Loop BB6_4790 Depth 2
                                        ;     Child Loop BB6_4814 Depth 2
	;; [unrolled: 1-line block ×10, first 2 shown]
	v_sub_co_u32 v0, vcc_lo, v19, v52
	v_sub_co_ci_u32_e64 v1, null, v20, v53, vcc_lo
	s_waitcnt vmcnt(0)
	v_cmp_lt_u64_e32 vcc_lo, v[2:3], v[0:1]
	v_cndmask_b32_e32 v54, v0, v2, vcc_lo
	v_cndmask_b32_e64 v55, v1, 0, vcc_lo
	v_add_nc_u32_e32 v0, 15, v54
	v_cmp_eq_u64_e32 vcc_lo, 0, v[54:55]
	v_and_b32_e32 v0, 0x7ffffff0, v0
	s_or_b32 s23, s5, vcc_lo
	s_xor_b32 s12, s23, -1
	v_max_i32_e32 v55, s21, v0
	v_mov_b32_e32 v0, 0
	s_and_saveexec_b32 s24, s12
	s_cbranch_execnz .LBB6_4782
; %bb.12606:                            ;   in Loop: Header=BB6_4781 Depth=1
	s_getpc_b64 s[34:35]
.Lpost_getpc22:
	s_add_u32 s34, s34, (.LBB6_9448-.Lpost_getpc22)&4294967295
	s_addc_u32 s35, s35, (.LBB6_9448-.Lpost_getpc22)>>32
	s_setpc_b64 s[34:35]
.LBB6_4782:                             ;   in Loop: Header=BB6_4781 Depth=1
	s_and_saveexec_b32 s13, s4
	s_cbranch_execz .LBB6_4784
; %bb.4783:                             ;   in Loop: Header=BB6_4781 Depth=1
	s_trap 2
	ds_read2_b64 v[0:3], v0 offset1:1
	s_waitcnt lgkmcnt(0)
	ds_read_b64 v[4:5], v0
	s_clause 0x1
	buffer_load_dword v6, off, s[0:3], s33 offset:408
	buffer_load_dword v7, off, s[0:3], s33 offset:412
	s_waitcnt vmcnt(1)
	v_add_co_u32 v6, vcc_lo, v52, v6
	s_waitcnt vmcnt(0)
	v_add_co_ci_u32_e64 v7, null, v53, v7, vcc_lo
	v_add_co_u32 v0, vcc_lo, v0, v6
	v_add_co_ci_u32_e64 v1, null, v1, v7, vcc_lo
	s_waitcnt lgkmcnt(0)
	v_add_co_u32 v8, vcc_lo, v4, v6
	v_add_co_ci_u32_e64 v9, null, v5, v7, vcc_lo
	v_cmp_ne_u64_e32 vcc_lo, 0, v[4:5]
	v_add_co_u32 v2, s12, v2, v6
	v_add_co_ci_u32_e64 v3, null, v3, v7, s12
	v_cndmask_b32_e32 v5, 0, v9, vcc_lo
	v_cndmask_b32_e32 v4, 0, v8, vcc_lo
	ds_write_b64 v0, v[0:1]
	ds_write_b64 v0, v[2:3]
	;; [unrolled: 1-line block ×3, first 2 shown]
.LBB6_4784:                             ;   in Loop: Header=BB6_4781 Depth=1
	s_or_b32 exec_lo, exec_lo, s13
	buffer_load_dword v0, off, s[0:3], s33 offset:196 ; 4-byte Folded Reload
	s_mov_b32 s13, exec_lo
	s_waitcnt vmcnt(0)
	v_and_b32_e32 v0, 4, v0
	v_cmpx_ne_u32_e32 0, v0
	s_cbranch_execz .LBB6_4806
; %bb.4785:                             ;   in Loop: Header=BB6_4781 Depth=1
	s_clause 0x3
	buffer_load_dword v0, off, s[0:3], s33 offset:200
	buffer_load_dword v1, off, s[0:3], s33 offset:204
	;; [unrolled: 1-line block ×4, first 2 shown]
	s_mov_b32 s25, exec_lo
	s_waitcnt vmcnt(1)
	v_add_co_u32 v10, vcc_lo, v2, 1
	s_waitcnt vmcnt(0)
	v_add_co_ci_u32_e64 v11, null, 0, v3, vcc_lo
	v_cmpx_lt_u64_e64 v[38:39], v[10:11]
	s_cbranch_execz .LBB6_4797
; %bb.4786:                             ;   in Loop: Header=BB6_4781 Depth=1
	buffer_load_dword v0, off, s[0:3], s33 offset:196 ; 4-byte Folded Reload
	s_mov_b32 s26, 0
	s_mov_b32 s40, 0
                                        ; implicit-def: $sgpr27
                                        ; implicit-def: $sgpr28
                                        ; implicit-def: $sgpr29
	s_waitcnt vmcnt(0)
	v_and_b32_e32 v0, 64, v0
	v_cmp_eq_u32_e32 vcc_lo, 0, v0
	s_branch .LBB6_4790
.LBB6_4787:                             ;   in Loop: Header=BB6_4790 Depth=2
	s_waitcnt vmcnt(0) lgkmcnt(0)
	v_cmp_ge_u64_e64 s12, v[38:39], v[10:11]
	s_or_b32 s43, s43, exec_lo
	s_orn2_b32 s42, s12, exec_lo
.LBB6_4788:                             ;   in Loop: Header=BB6_4790 Depth=2
	s_or_b32 exec_lo, exec_lo, s45
	s_andn2_b32 s12, s29, exec_lo
	s_and_b32 s29, s43, exec_lo
	s_andn2_b32 s28, s28, exec_lo
	s_and_b32 s42, s42, exec_lo
	s_or_b32 s29, s12, s29
	s_or_b32 s28, s28, s42
.LBB6_4789:                             ;   in Loop: Header=BB6_4790 Depth=2
	s_or_b32 exec_lo, exec_lo, s41
	s_and_b32 s12, exec_lo, s28
	s_or_b32 s26, s12, s26
	s_andn2_b32 s12, s27, exec_lo
	s_and_b32 s27, s29, exec_lo
	s_or_b32 s27, s12, s27
	s_andn2_b32 exec_lo, exec_lo, s26
	s_cbranch_execz .LBB6_4794
.LBB6_4790:                             ;   Parent Loop BB6_4781 Depth=1
                                        ; =>  This Inner Loop Header: Depth=2
	s_sleep 1
	s_clause 0x1
	buffer_load_dword v0, off, s[0:3], s33 offset:188
	buffer_load_dword v1, off, s[0:3], s33 offset:192
	s_or_b32 s29, s29, exec_lo
	s_or_b32 s28, s28, exec_lo
	s_waitcnt vmcnt(0) lgkmcnt(0)
	flat_load_dwordx2 v[38:39], v[0:1] glc dlc
                                        ; implicit-def: $vgpr0
	s_and_saveexec_b32 s41, vcc_lo
	s_cbranch_execz .LBB6_4789
; %bb.4791:                             ;   in Loop: Header=BB6_4790 Depth=2
	s_cmpk_lt_i32 s40, 0x270f
	s_mov_b32 s42, -1
	s_cselect_b32 s44, -1, 0
	s_cmpk_gt_i32 s40, 0x270e
	s_cbranch_scc0 .LBB6_4793
; %bb.4792:                             ;   in Loop: Header=BB6_4790 Depth=2
	s_trap 2
	ds_read_b64 v[0:1], v0
	s_andn2_b32 s40, s44, exec_lo
	s_mov_b32 s43, 0
	s_waitcnt vmcnt(0) lgkmcnt(0)
	s_waitcnt_vscnt null, 0x0
	flat_load_dword v0, v[0:1] glc dlc
	s_waitcnt vmcnt(0) lgkmcnt(0)
	buffer_gl1_inv
	buffer_gl0_inv
	v_cmp_eq_u32_e64 s12, 0, v0
	s_and_b32 s12, s12, exec_lo
	s_or_b32 s44, s40, s12
	s_mov_b32 s40, 0
	s_and_saveexec_b32 s45, s44
	s_cbranch_execz .LBB6_4788
	s_branch .LBB6_4787
.LBB6_4793:                             ;   in Loop: Header=BB6_4790 Depth=2
	s_add_i32 s40, s40, 1
	s_mov_b32 s43, -1
                                        ; implicit-def: $vgpr0
	s_and_saveexec_b32 s45, s44
	s_cbranch_execz .LBB6_4788
	s_branch .LBB6_4787
.LBB6_4794:                             ;   in Loop: Header=BB6_4781 Depth=1
	s_or_b32 exec_lo, exec_lo, s26
	s_xor_b32 s12, s27, -1
	s_and_saveexec_b32 s26, s12
	s_xor_b32 s12, exec_lo, s26
	s_cbranch_execz .LBB6_4796
; %bb.4795:                             ;   in Loop: Header=BB6_4781 Depth=1
	buffer_load_dword v1, off, s[0:3], s33 offset:196 ; 4-byte Folded Reload
	s_waitcnt vmcnt(0)
	v_or_b32_e32 v1, 64, v1
	buffer_store_dword v1, off, s[0:3], s33 offset:196 ; 4-byte Folded Spill
	s_waitcnt lgkmcnt(0)
	s_waitcnt_vscnt null, 0x0
	ds_write_b32 v0, v0
	s_trap 2
.LBB6_4796:                             ;   in Loop: Header=BB6_4781 Depth=1
	s_or_b32 exec_lo, exec_lo, s12
.LBB6_4797:                             ;   in Loop: Header=BB6_4781 Depth=1
	s_or_b32 exec_lo, exec_lo, s25
	buffer_load_dword v0, off, s[0:3], s33 offset:196 ; 4-byte Folded Reload
	s_mov_b32 s12, -1
                                        ; implicit-def: $vgpr8_vgpr9
	s_waitcnt vmcnt(0)
	v_and_b32_e32 v0, 0x100, v0
	v_cmp_ne_u32_e32 vcc_lo, 0, v0
	s_clause 0x3
	buffer_load_dword v0, off, s[0:3], s33 offset:200
	buffer_load_dword v1, off, s[0:3], s33 offset:204
	;; [unrolled: 1-line block ×4, first 2 shown]
	;;#ASMSTART
	s_wakeup
	;;#ASMEND
	s_waitcnt vmcnt(1)
	v_and_b32_e32 v0, 7, v2
	s_and_saveexec_b32 s25, vcc_lo
	s_cbranch_execz .LBB6_4801
; %bb.4798:                             ;   in Loop: Header=BB6_4781 Depth=1
	s_clause 0x3
	buffer_load_dword v1, off, s[0:3], s33 offset:200
	buffer_load_dword v2, off, s[0:3], s33 offset:204
	;; [unrolled: 1-line block ×4, first 2 shown]
	s_mov_b32 s26, exec_lo
                                        ; implicit-def: $vgpr8_vgpr9
	s_waitcnt vmcnt(2)
	v_mad_u64_u32 v[12:13], null, v0, 24, v[1:2]
	flat_load_dword v1, v[12:13]
	s_waitcnt vmcnt(0) lgkmcnt(0)
	v_cmp_ne_u32_e32 vcc_lo, 1, v1
	v_cmpx_eq_u32_e32 1, v1
	s_cbranch_execz .LBB6_4800
; %bb.4799:                             ;   in Loop: Header=BB6_4781 Depth=1
	flat_load_dword v8, v[12:13] offset:4 glc dlc
	s_waitcnt vmcnt(0) lgkmcnt(0)
	v_ashrrev_i32_e32 v9, 31, v8
.LBB6_4800:                             ;   in Loop: Header=BB6_4781 Depth=1
	s_or_b32 exec_lo, exec_lo, s26
	s_orn2_b32 s12, vcc_lo, exec_lo
.LBB6_4801:                             ;   in Loop: Header=BB6_4781 Depth=1
	s_or_b32 exec_lo, exec_lo, s25
	s_and_saveexec_b32 s25, s12
	s_cbranch_execz .LBB6_4803
; %bb.4802:                             ;   in Loop: Header=BB6_4781 Depth=1
	buffer_load_dword v1, off, s[0:3], s33 offset:396 ; 4-byte Folded Reload
	s_waitcnt vmcnt(0)
	v_mad_i64_i32 v[8:9], null, v0, v1, 0
.LBB6_4803:                             ;   in Loop: Header=BB6_4781 Depth=1
	s_or_b32 exec_lo, exec_lo, s25
	buffer_load_dword v0, off, s[0:3], s33 offset:196 ; 4-byte Folded Reload
	s_mov_b32 s12, exec_lo
	s_waitcnt vmcnt(0)
	v_and_b32_e32 v2, 0x2000, v0
	s_clause 0x1
	buffer_load_dword v0, off, s[0:3], s33 offset:368
	buffer_load_dword v1, off, s[0:3], s33 offset:372
	s_waitcnt vmcnt(1)
	v_add_co_u32 v0, vcc_lo, v0, v8
	s_waitcnt vmcnt(0)
	v_add_co_ci_u32_e64 v1, null, v1, v9, vcc_lo
	ds_write_b64 v0, v[0:1] offset:728
	v_cmpx_ne_u32_e32 0, v2
	s_cbranch_execz .LBB6_4805
; %bb.4804:                             ;   in Loop: Header=BB6_4781 Depth=1
	ds_read_b64 v[0:1], v0 offset:872
	s_waitcnt lgkmcnt(0)
	v_add_co_u32 v0, vcc_lo, v0, 1
	v_add_co_ci_u32_e64 v1, null, 0, v1, vcc_lo
	ds_write_b64 v0, v[0:1] offset:872
.LBB6_4805:                             ;   in Loop: Header=BB6_4781 Depth=1
	s_or_b32 exec_lo, exec_lo, s12
	s_clause 0x3
	buffer_load_dword v0, off, s[0:3], s33 offset:200
	buffer_load_dword v1, off, s[0:3], s33 offset:204
	;; [unrolled: 1-line block ×4, first 2 shown]
	s_waitcnt vmcnt(0)
	v_mov_b32_e32 v2, v10
	v_mov_b32_e32 v3, v11
	buffer_store_dword v0, off, s[0:3], s33 offset:200 ; 4-byte Folded Spill
	buffer_store_dword v1, off, s[0:3], s33 offset:204 ; 4-byte Folded Spill
	;; [unrolled: 1-line block ×4, first 2 shown]
.LBB6_4806:                             ;   in Loop: Header=BB6_4781 Depth=1
	s_or_b32 exec_lo, exec_lo, s13
	s_and_saveexec_b32 s12, s6
	s_cbranch_execz .LBB6_4825
; %bb.4807:                             ;   in Loop: Header=BB6_4781 Depth=1
	s_and_saveexec_b32 s13, s19
	s_xor_b32 s13, exec_lo, s13
	s_cbranch_execz .LBB6_4822
; %bb.4808:                             ;   in Loop: Header=BB6_4781 Depth=1
	s_and_saveexec_b32 s25, s7
	s_cbranch_execz .LBB6_4821
; %bb.4809:                             ;   in Loop: Header=BB6_4781 Depth=1
	s_mov_b32 s27, exec_lo
	s_mov_b32 s26, exec_lo
	v_mbcnt_lo_u32_b32 v0, s27, 0
	s_waitcnt lgkmcnt(0)
	s_waitcnt_vscnt null, 0x0
	buffer_gl1_inv
	buffer_gl0_inv
	v_cmpx_eq_u32_e32 0, v0
	s_cbranch_execz .LBB6_4811
; %bb.4810:                             ;   in Loop: Header=BB6_4781 Depth=1
	s_bcnt1_i32_b32 s27, s27
	v_mov_b32_e32 v50, s27
	ds_add_u64 v0, v[50:51]
	s_trap 2
.LBB6_4811:                             ;   in Loop: Header=BB6_4781 Depth=1
	s_or_b32 exec_lo, exec_lo, s26
	s_trap 2
	ds_read_b64 v[0:1], v0
	s_waitcnt lgkmcnt(0)
	buffer_gl0_inv
	s_clause 0x1
	buffer_load_dword v2, off, s[0:3], s33 offset:216
	buffer_load_dword v3, off, s[0:3], s33 offset:220
	s_mov_b32 s26, exec_lo
	s_waitcnt vmcnt(1)
	v_add_co_u32 v2, vcc_lo, v2, v86
	s_waitcnt vmcnt(0)
	v_add_co_ci_u32_e64 v3, null, 0, v3, vcc_lo
	buffer_store_dword v2, off, s[0:3], s33 offset:216 ; 4-byte Folded Spill
	buffer_store_dword v3, off, s[0:3], s33 offset:220 ; 4-byte Folded Spill
	v_cmpx_lt_u64_e64 v[0:1], v[2:3]
	s_cbranch_execz .LBB6_4820
; %bb.4812:                             ;   in Loop: Header=BB6_4781 Depth=1
	s_mov_b32 s27, 0
	s_mov_b32 s40, 0
                                        ; implicit-def: $sgpr28
                                        ; implicit-def: $sgpr29
	s_inst_prefetch 0x1
	s_branch .LBB6_4814
	.p2align	6
.LBB6_4813:                             ;   in Loop: Header=BB6_4814 Depth=2
	s_or_b32 exec_lo, exec_lo, s42
	s_and_b32 s41, exec_lo, s43
	s_or_b32 s27, s41, s27
	s_andn2_b32 s28, s28, exec_lo
	s_and_b32 s41, s29, exec_lo
	s_or_b32 s28, s28, s41
	s_andn2_b32 exec_lo, exec_lo, s27
	s_cbranch_execz .LBB6_4818
.LBB6_4814:                             ;   Parent Loop BB6_4781 Depth=1
                                        ; =>  This Inner Loop Header: Depth=2
	s_add_i32 s40, s40, 1
	s_cmpk_lg_i32 s40, 0x2710
	s_cselect_b32 s41, -1, 0
	s_and_b32 vcc_lo, exec_lo, s41
	s_cbranch_vccz .LBB6_4816
; %bb.4815:                             ;   in Loop: Header=BB6_4814 Depth=2
	s_mov_b32 s43, -1
	s_or_b32 s29, s29, exec_lo
	s_and_saveexec_b32 s42, s41
	s_cbranch_execz .LBB6_4813
	s_branch .LBB6_4817
.LBB6_4816:                             ;   in Loop: Header=BB6_4814 Depth=2
	s_trap 2
	ds_read_b64 v[0:1], v0
	s_andn2_b32 s41, s41, exec_lo
	s_mov_b32 s40, 0
	s_waitcnt lgkmcnt(0)
	s_waitcnt_vscnt null, 0x0
	flat_load_dword v0, v[0:1] glc dlc
	s_waitcnt vmcnt(0) lgkmcnt(0)
	buffer_gl1_inv
	buffer_gl0_inv
	v_cmp_eq_u32_e32 vcc_lo, 0, v0
	s_and_b32 s42, vcc_lo, exec_lo
	s_or_b32 s41, s41, s42
	s_mov_b32 s43, -1
	s_or_b32 s29, s29, exec_lo
	s_and_saveexec_b32 s42, s41
	s_cbranch_execz .LBB6_4813
.LBB6_4817:                             ;   in Loop: Header=BB6_4814 Depth=2
	s_sleep 1
	s_trap 2
	ds_read_b64 v[0:1], v0
	s_waitcnt lgkmcnt(0)
	buffer_gl0_inv
	s_clause 0x1
	buffer_load_dword v2, off, s[0:3], s33 offset:216
	buffer_load_dword v3, off, s[0:3], s33 offset:220
	s_andn2_b32 s29, s29, exec_lo
	s_waitcnt vmcnt(0)
	v_cmp_ge_u64_e32 vcc_lo, v[0:1], v[2:3]
	s_orn2_b32 s43, vcc_lo, exec_lo
	s_branch .LBB6_4813
.LBB6_4818:                             ;   in Loop: Header=BB6_4781 Depth=1
	s_inst_prefetch 0x2
	s_or_b32 exec_lo, exec_lo, s27
	s_and_saveexec_b32 s27, s28
	s_xor_b32 s27, exec_lo, s27
	s_cbranch_execz .LBB6_4820
; %bb.4819:                             ;   in Loop: Header=BB6_4781 Depth=1
	v_mov_b32_e32 v0, 1
	ds_write_b32 v0, v0
	s_trap 2
.LBB6_4820:                             ;   in Loop: Header=BB6_4781 Depth=1
	s_or_b32 exec_lo, exec_lo, s26
	;;#ASMSTART
	s_wakeup
	;;#ASMEND
.LBB6_4821:                             ;   in Loop: Header=BB6_4781 Depth=1
	s_or_b32 exec_lo, exec_lo, s25
.LBB6_4822:                             ;   in Loop: Header=BB6_4781 Depth=1
	s_andn2_saveexec_b32 s13, s13
	s_cbranch_execz .LBB6_4824
; %bb.4823:                             ;   in Loop: Header=BB6_4781 Depth=1
	s_waitcnt lgkmcnt(0)
	s_waitcnt_vscnt null, 0x0
	buffer_gl1_inv
	buffer_gl0_inv
	s_barrier
.LBB6_4824:                             ;   in Loop: Header=BB6_4781 Depth=1
	s_or_b32 exec_lo, exec_lo, s13
.LBB6_4825:                             ;   in Loop: Header=BB6_4781 Depth=1
	s_or_b32 exec_lo, exec_lo, s12
	s_trap 2
	buffer_load_dword v1, off, s[0:3], s33 offset:196 ; 4-byte Folded Reload
	ds_read_b32 v0, v0
	s_waitcnt vmcnt(0)
	v_and_b32_e32 v1, 0x4000, v1
	v_cmp_ne_u32_e32 vcc_lo, 0, v1
	s_and_b32 s13, s22, vcc_lo
	s_and_saveexec_b32 s12, s13
	s_cbranch_execz .LBB6_4844
; %bb.4826:                             ;   in Loop: Header=BB6_4781 Depth=1
	s_and_saveexec_b32 s13, s19
	s_xor_b32 s13, exec_lo, s13
	s_cbranch_execz .LBB6_4841
; %bb.4827:                             ;   in Loop: Header=BB6_4781 Depth=1
	s_and_saveexec_b32 s25, s7
	s_cbranch_execz .LBB6_4840
; %bb.4828:                             ;   in Loop: Header=BB6_4781 Depth=1
	s_mov_b32 s27, exec_lo
	s_mov_b32 s26, exec_lo
	v_mbcnt_lo_u32_b32 v1, s27, 0
	s_waitcnt lgkmcnt(0)
	s_waitcnt_vscnt null, 0x0
	buffer_gl1_inv
	buffer_gl0_inv
	v_cmpx_eq_u32_e32 0, v1
	s_cbranch_execz .LBB6_4830
; %bb.4829:                             ;   in Loop: Header=BB6_4781 Depth=1
	s_bcnt1_i32_b32 s27, s27
	v_mov_b32_e32 v50, s27
	ds_add_u64 v0, v[50:51]
	s_trap 2
.LBB6_4830:                             ;   in Loop: Header=BB6_4781 Depth=1
	s_or_b32 exec_lo, exec_lo, s26
	s_trap 2
	ds_read_b64 v[1:2], v0
	s_waitcnt lgkmcnt(0)
	buffer_gl0_inv
	s_clause 0x1
	buffer_load_dword v3, off, s[0:3], s33 offset:216
	buffer_load_dword v4, off, s[0:3], s33 offset:220
	s_mov_b32 s26, exec_lo
	s_waitcnt vmcnt(1)
	v_add_co_u32 v3, vcc_lo, v3, v86
	s_waitcnt vmcnt(0)
	v_add_co_ci_u32_e64 v4, null, 0, v4, vcc_lo
	buffer_store_dword v3, off, s[0:3], s33 offset:216 ; 4-byte Folded Spill
	buffer_store_dword v4, off, s[0:3], s33 offset:220 ; 4-byte Folded Spill
	v_cmpx_lt_u64_e64 v[1:2], v[3:4]
	s_cbranch_execz .LBB6_4839
; %bb.4831:                             ;   in Loop: Header=BB6_4781 Depth=1
	s_mov_b32 s27, 0
	s_mov_b32 s40, 0
                                        ; implicit-def: $sgpr28
                                        ; implicit-def: $sgpr29
	s_inst_prefetch 0x1
	s_branch .LBB6_4833
	.p2align	6
.LBB6_4832:                             ;   in Loop: Header=BB6_4833 Depth=2
	s_or_b32 exec_lo, exec_lo, s42
	s_and_b32 s41, exec_lo, s43
	s_or_b32 s27, s41, s27
	s_andn2_b32 s28, s28, exec_lo
	s_and_b32 s41, s29, exec_lo
	s_or_b32 s28, s28, s41
	s_andn2_b32 exec_lo, exec_lo, s27
	s_cbranch_execz .LBB6_4837
.LBB6_4833:                             ;   Parent Loop BB6_4781 Depth=1
                                        ; =>  This Inner Loop Header: Depth=2
	s_add_i32 s40, s40, 1
	s_cmpk_lg_i32 s40, 0x2710
	s_cselect_b32 s41, -1, 0
	s_and_b32 vcc_lo, exec_lo, s41
	s_cbranch_vccz .LBB6_4835
; %bb.4834:                             ;   in Loop: Header=BB6_4833 Depth=2
	s_mov_b32 s43, -1
	s_or_b32 s29, s29, exec_lo
	s_and_saveexec_b32 s42, s41
	s_cbranch_execz .LBB6_4832
	s_branch .LBB6_4836
.LBB6_4835:                             ;   in Loop: Header=BB6_4833 Depth=2
	s_trap 2
	ds_read_b64 v[1:2], v0
	s_andn2_b32 s41, s41, exec_lo
	s_mov_b32 s40, 0
	s_waitcnt lgkmcnt(0)
	s_waitcnt_vscnt null, 0x0
	flat_load_dword v1, v[1:2] glc dlc
	s_waitcnt vmcnt(0) lgkmcnt(0)
	buffer_gl1_inv
	buffer_gl0_inv
	v_cmp_eq_u32_e32 vcc_lo, 0, v1
	s_and_b32 s42, vcc_lo, exec_lo
	s_or_b32 s41, s41, s42
	s_mov_b32 s43, -1
	s_or_b32 s29, s29, exec_lo
	s_and_saveexec_b32 s42, s41
	s_cbranch_execz .LBB6_4832
.LBB6_4836:                             ;   in Loop: Header=BB6_4833 Depth=2
	s_sleep 1
	s_trap 2
	ds_read_b64 v[1:2], v0
	s_waitcnt lgkmcnt(0)
	buffer_gl0_inv
	s_clause 0x1
	buffer_load_dword v3, off, s[0:3], s33 offset:216
	buffer_load_dword v4, off, s[0:3], s33 offset:220
	s_andn2_b32 s29, s29, exec_lo
	s_waitcnt vmcnt(0)
	v_cmp_ge_u64_e32 vcc_lo, v[1:2], v[3:4]
	s_orn2_b32 s43, vcc_lo, exec_lo
	s_branch .LBB6_4832
.LBB6_4837:                             ;   in Loop: Header=BB6_4781 Depth=1
	s_inst_prefetch 0x2
	s_or_b32 exec_lo, exec_lo, s27
	s_and_saveexec_b32 s27, s28
	s_xor_b32 s27, exec_lo, s27
	s_cbranch_execz .LBB6_4839
; %bb.4838:                             ;   in Loop: Header=BB6_4781 Depth=1
	v_mov_b32_e32 v1, 1
	ds_write_b32 v0, v1
	s_trap 2
.LBB6_4839:                             ;   in Loop: Header=BB6_4781 Depth=1
	s_or_b32 exec_lo, exec_lo, s26
	;;#ASMSTART
	s_wakeup
	;;#ASMEND
.LBB6_4840:                             ;   in Loop: Header=BB6_4781 Depth=1
	s_or_b32 exec_lo, exec_lo, s25
.LBB6_4841:                             ;   in Loop: Header=BB6_4781 Depth=1
	s_andn2_saveexec_b32 s13, s13
	s_cbranch_execz .LBB6_4843
; %bb.4842:                             ;   in Loop: Header=BB6_4781 Depth=1
	s_waitcnt lgkmcnt(0)
	s_waitcnt_vscnt null, 0x0
	buffer_gl1_inv
	buffer_gl0_inv
	s_barrier
.LBB6_4843:                             ;   in Loop: Header=BB6_4781 Depth=1
	s_or_b32 exec_lo, exec_lo, s13
.LBB6_4844:                             ;   in Loop: Header=BB6_4781 Depth=1
	s_or_b32 exec_lo, exec_lo, s12
	s_trap 2
	s_waitcnt lgkmcnt(0)
	ds_read_b64 v[64:65], v0
	v_min_u32_e32 v55, v55, v54
	s_waitcnt lgkmcnt(0)
	v_cmp_eq_u64_e32 vcc_lo, 0, v[64:65]
	s_cbranch_vccnz .LBB6_4852
; %bb.4845:                             ;   in Loop: Header=BB6_4781 Depth=1
	s_trap 2
	ds_read_b64 v[66:67], v0
	s_waitcnt lgkmcnt(0)
	v_cmp_eq_u64_e32 vcc_lo, 0, v[66:67]
	s_cbranch_vccnz .LBB6_4852
; %bb.4846:                             ;   in Loop: Header=BB6_4781 Depth=1
	s_mov_b32 s12, -1
	s_and_saveexec_b32 s13, s10
	s_cbranch_execz .LBB6_4848
; %bb.4847:                             ;   in Loop: Header=BB6_4781 Depth=1
	ds_read_b32 v1, v0 offset:720
	s_waitcnt lgkmcnt(0)
	v_and_b32_e32 v1, 15, v1
	v_cmp_eq_u32_e32 vcc_lo, 0, v1
	s_orn2_b32 s12, vcc_lo, exec_lo
.LBB6_4848:                             ;   in Loop: Header=BB6_4781 Depth=1
	s_or_b32 exec_lo, exec_lo, s13
	s_and_saveexec_b32 s13, s11
	s_cbranch_execz .LBB6_4850
; %bb.4849:                             ;   in Loop: Header=BB6_4781 Depth=1
	ds_read_b32 v1, v0 offset:784
	s_waitcnt lgkmcnt(0)
	v_and_b32_e32 v1, 15, v1
	v_cmp_eq_u32_e32 vcc_lo, 0, v1
	s_and_b32 s25, s12, vcc_lo
	s_andn2_b32 s12, s12, exec_lo
	s_and_b32 s25, s25, exec_lo
	s_or_b32 s12, s12, s25
.LBB6_4850:                             ;   in Loop: Header=BB6_4781 Depth=1
	s_or_b32 exec_lo, exec_lo, s13
	buffer_load_dword v18, off, s[0:3], s33 offset:376 ; 4-byte Folded Reload
	v_cmp_eq_u32_e32 vcc_lo, 0, v0
	s_xor_b32 s12, s12, -1
	v_mov_b32_e32 v2, 0
	v_cndmask_b32_e64 v1, 0, 1, s12
	s_mov_b32 s12, -1
	v_cndmask_b32_e32 v50, 0, v55, vcc_lo
	v_cmp_ne_u32_e32 vcc_lo, 0, v1
	v_mov_b32_e32 v3, v50
	s_cbranch_vccz .LBB6_4853
; %bb.4851:                             ;   in Loop: Header=BB6_4781 Depth=1
	s_and_saveexec_b32 s13, s12
	s_cbranch_execnz .LBB6_8080
; %bb.12576:                            ;   in Loop: Header=BB6_4781 Depth=1
	s_getpc_b64 s[34:35]
.Lpost_getpc7:
	s_add_u32 s34, s34, (.LBB6_9424-.Lpost_getpc7)&4294967295
	s_addc_u32 s35, s35, (.LBB6_9424-.Lpost_getpc7)>>32
	s_setpc_b64 s[34:35]
.LBB6_4852:                             ;   in Loop: Header=BB6_4781 Depth=1
	s_mov_b32 s12, 0
	s_and_saveexec_b32 s13, s6
	s_cbranch_execz .LBB6_12578
; %bb.12608:                            ;   in Loop: Header=BB6_4781 Depth=1
	s_getpc_b64 s[34:35]
.Lpost_getpc23:
	s_add_u32 s34, s34, (.LBB6_9425-.Lpost_getpc23)&4294967295
	s_addc_u32 s35, s35, (.LBB6_9425-.Lpost_getpc23)>>32
	s_setpc_b64 s[34:35]
.LBB6_12578:                            ;   in Loop: Header=BB6_4781 Depth=1
	s_getpc_b64 s[34:35]
.Lpost_getpc8:
	s_add_u32 s34, s34, (.LBB6_9443-.Lpost_getpc8)&4294967295
	s_addc_u32 s35, s35, (.LBB6_9443-.Lpost_getpc8)>>32
	s_setpc_b64 s[34:35]
.LBB6_4853:                             ;   in Loop: Header=BB6_4781 Depth=1
	buffer_load_dword v1, off, s[0:3], s33 offset:224 ; 4-byte Folded Reload
	v_lshrrev_b32_e32 v0, 11, v50
	s_mov_b32 s13, exec_lo
	s_waitcnt vmcnt(0)
	v_sub_nc_u32_e32 v115, v0, v1
	v_cmpx_lt_i32_e32 0, v115
	s_cbranch_execz .LBB6_7425
; %bb.4854:                             ;   in Loop: Header=BB6_4781 Depth=1
	s_trap 2
	ds_read_b64 v[0:1], v0
	v_add_co_u32 v68, vcc_lo, v64, v87
	v_add_co_ci_u32_e64 v69, null, 0, v65, vcc_lo
	v_add_co_u32 v70, vcc_lo, v66, v87
	v_add_co_ci_u32_e64 v71, null, 0, v67, vcc_lo
	s_waitcnt lgkmcnt(0)
	v_readfirstlane_b32 s12, v0
	v_add_co_u32 v80, vcc_lo, v0, v87
	v_add_co_ci_u32_e64 v81, null, 0, v1, vcc_lo
	s_and_b32 s26, s12, 7
	s_bfe_u32 s29, s12, 0x40003
	s_flbit_i32_b32 s25, s26
	s_min_u32 s27, s25, 32
	s_mov_b32 s25, 0
	s_sub_i32 s28, s27, 28
	s_sub_i32 s27, 29, s27
	s_lshl_b32 s28, s12, s28
	s_and_b32 s28, s28, 7
	s_cmp_eq_u32 s29, 0
	s_cselect_b32 s27, s27, s29
	s_cselect_b32 s26, s28, s26
	s_lshl_b32 s28, s12, 24
	s_lshl_b32 s27, s27, 23
	s_and_b32 s28, s28, 0x80000000
	s_add_i32 s27, s27, 0x3b800000
	s_lshl_b32 s29, s26, 20
	s_or_b32 s27, s28, s27
	s_and_b32 s26, s12, 0xff
	s_or_b32 s27, s27, s29
	s_and_b32 s28, 0xffff, s26
	s_branch .LBB6_4858
.LBB6_4855:                             ;   in Loop: Header=BB6_4858 Depth=2
	s_or_b32 exec_lo, exec_lo, s12
	v_lshrrev_b32_e32 v117, 20, v45
	v_min_i32_e32 v44, 15, v46
	v_cmp_gt_i32_e32 vcc_lo, 16, v46
	v_and_b32_sdwa v13, v13, v102 dst_sel:DWORD dst_unused:UNUSED_PAD src0_sel:BYTE_3 src1_sel:DWORD
	v_lshlrev_b32_e32 v44, 3, v44
	v_cndmask_b32_e32 v117, 7, v117, vcc_lo
	v_and_b32_e32 v44, 0xf8, v44
	v_or_b32_e32 v45, v46, v117
	v_and_b32_e32 v117, 7, v117
	v_cmp_ne_u32_e32 vcc_lo, 0, v45
	v_or3_b32 v13, v13, v44, v117
	v_lshlrev_b32_e32 v13, 8, v13
	v_cndmask_b32_e32 v117, 0, v13, vcc_lo
.LBB6_4856:                             ;   in Loop: Header=BB6_4858 Depth=2
	s_or_b32 exec_lo, exec_lo, s40
.LBB6_4857:                             ;   in Loop: Header=BB6_4858 Depth=2
	s_or_b32 exec_lo, exec_lo, s29
	v_or_b32_sdwa v4, v5, v4 dst_sel:WORD_1 dst_unused:UNUSED_PAD src0_sel:DWORD src1_sel:DWORD
	v_or_b32_sdwa v6, v6, v34 dst_sel:WORD_1 dst_unused:UNUSED_PAD src0_sel:DWORD src1_sel:DWORD
	;; [unrolled: 1-line block ×5, first 2 shown]
	v_or3_b32 v4, v30, v2, v4
	v_or_b32_sdwa v2, v21, v3 dst_sel:WORD_1 dst_unused:UNUSED_PAD src0_sel:DWORD src1_sel:DWORD
	v_or_b32_sdwa v3, v23, v63 dst_sel:WORD_1 dst_unused:UNUSED_PAD src0_sel:DWORD src1_sel:DWORD
	v_or3_b32 v5, v31, v14, v6
	v_or3_b32 v6, v8, v7, v9
	v_or_b32_sdwa v8, v22, v43 dst_sel:WORD_1 dst_unused:UNUSED_PAD src0_sel:DWORD src1_sel:DWORD
	v_or_b32_sdwa v13, v17, v33 dst_sel:WORD_1 dst_unused:UNUSED_PAD src0_sel:DWORD src1_sel:DWORD
	v_or3_b32 v14, v85, v100, v15
	v_or_b32_sdwa v9, v24, v90 dst_sel:WORD_1 dst_unused:UNUSED_PAD src0_sel:DWORD src1_sel:DWORD
	v_or3_b32 v15, v0, v26, v1
	v_or3_b32 v1, v60, v57, v3
	v_or_b32_sdwa v3, v25, v110 dst_sel:WORD_1 dst_unused:UNUSED_PAD src0_sel:DWORD src1_sel:DWORD
	v_or_b32_sdwa v17, v18, v125 dst_sel:WORD_1 dst_unused:UNUSED_PAD src0_sel:DWORD src1_sel:DWORD
	v_or3_b32 v0, v119, v116, v8
	v_or_b32_sdwa v8, v11, v82 dst_sel:WORD_1 dst_unused:UNUSED_PAD src0_sel:DWORD src1_sel:DWORD
	v_or_b32_sdwa v10, v10, v37 dst_sel:WORD_1 dst_unused:UNUSED_PAD src0_sel:DWORD src1_sel:DWORD
	;; [unrolled: 1-line block ×4, first 2 shown]
	v_or3_b32 v7, v32, v16, v13
	v_or3_b32 v16, v29, v27, v2
	;; [unrolled: 1-line block ×4, first 2 shown]
	v_sub_nc_u32_e32 v115, v115, v86
	v_or3_b32 v13, v123, v120, v17
	v_add_co_u32 v68, vcc_lo, v68, v96
	v_or3_b32 v9, v49, v48, v8
	v_or3_b32 v8, v36, v35, v10
	;; [unrolled: 1-line block ×4, first 2 shown]
	v_add_co_ci_u32_e64 v69, null, 0, v69, vcc_lo
	v_add_co_u32 v80, vcc_lo, v80, v96
	global_store_dwordx4 v[70:71], v[0:3], off glc slc
	global_store_dwordx4 v[70:71], v[13:16], off offset:512 glc slc
	global_store_dwordx4 v[70:71], v[4:7], off offset:1024 glc slc
	;; [unrolled: 1-line block ×3, first 2 shown]
	v_add_co_ci_u32_e64 v81, null, 0, v81, vcc_lo
	v_cmp_gt_i32_e32 vcc_lo, 1, v115
	v_add_co_u32 v70, s12, v70, v96
	v_add_co_ci_u32_e64 v71, null, 0, v71, s12
	s_or_b32 s25, vcc_lo, s25
	s_andn2_b32 exec_lo, exec_lo, s25
	s_cbranch_execz .LBB6_7424
.LBB6_4858:                             ;   Parent Loop BB6_4781 Depth=1
                                        ; =>  This Inner Loop Header: Depth=2
	s_cmpk_lt_i32 s26, 0x80
	s_cbranch_scc1 .LBB6_4862
; %bb.4859:                             ;   in Loop: Header=BB6_4858 Depth=2
	s_cmpk_eq_i32 s28, 0x80
	s_mov_b32 s12, -1
	s_cbranch_scc0 .LBB6_4861
; %bb.4860:                             ;   in Loop: Header=BB6_4858 Depth=2
	s_mov_b32 s12, 0
.LBB6_4861:                             ;   in Loop: Header=BB6_4858 Depth=2
	s_mov_b32 s29, 0x7f800001
	s_branch .LBB6_4864
.LBB6_4862:                             ;   in Loop: Header=BB6_4858 Depth=2
	s_mov_b32 s12, 0
	s_mov_b32 s29, 0x7f800001
	s_cbranch_execz .LBB6_4864
; %bb.4863:                             ;   in Loop: Header=BB6_4858 Depth=2
	s_cmp_lg_u32 s28, 0
	s_mov_b32 s29, 0
	s_cselect_b32 s12, -1, 0
.LBB6_4864:                             ;   in Loop: Header=BB6_4858 Depth=2
	s_andn2_b32 vcc_lo, exec_lo, s12
	s_cbranch_vccnz .LBB6_4866
; %bb.4865:                             ;   in Loop: Header=BB6_4858 Depth=2
	s_mov_b32 s29, s27
.LBB6_4866:                             ;   in Loop: Header=BB6_4858 Depth=2
	global_load_dwordx4 v[10:13], v[68:69], off slc
	s_mov_b32 s12, 0
	s_waitcnt vmcnt(0)
	v_cmp_gt_i16_sdwa s40, v10, v101 src0_sel:BYTE_0 src1_sel:DWORD
	s_and_saveexec_b32 s41, s40
	s_xor_b32 s40, exec_lo, s41
	s_cbranch_execz .LBB6_7040
; %bb.4867:                             ;   in Loop: Header=BB6_4858 Depth=2
	v_cmp_eq_u16_sdwa s42, v10, v102 src0_sel:BYTE_0 src1_sel:DWORD
	s_mov_b32 s12, -1
	s_and_saveexec_b32 s41, s42
; %bb.4868:                             ;   in Loop: Header=BB6_4858 Depth=2
	s_xor_b32 s12, exec_lo, -1
; %bb.4869:                             ;   in Loop: Header=BB6_4858 Depth=2
	s_or_b32 exec_lo, exec_lo, s41
	s_and_b32 s12, s12, exec_lo
	s_or_saveexec_b32 s40, s40
	v_mov_b32_e32 v0, 0x7f800001
	s_xor_b32 exec_lo, exec_lo, s40
	s_cbranch_execnz .LBB6_7041
.LBB6_4870:                             ;   in Loop: Header=BB6_4858 Depth=2
	s_or_b32 exec_lo, exec_lo, s40
	s_and_saveexec_b32 s40, s12
	s_cbranch_execz .LBB6_4872
.LBB6_4871:                             ;   in Loop: Header=BB6_4858 Depth=2
	v_and_b32_e32 v0, 7, v10
	v_bfe_u32 v3, v10, 3, 4
	v_lshlrev_b32_e32 v4, 24, v10
	v_ffbh_u32_e32 v1, v0
	v_cmp_eq_u32_e32 vcc_lo, 0, v3
	v_min_u32_e32 v1, 32, v1
	v_subrev_nc_u32_e32 v2, 28, v1
	v_sub_nc_u32_e32 v1, 29, v1
	v_lshlrev_b32_e32 v2, v2, v10
	v_cndmask_b32_e32 v1, v3, v1, vcc_lo
	v_and_b32_e32 v2, 7, v2
	v_lshl_add_u32 v1, v1, 23, 0x3b800000
	v_cndmask_b32_e32 v0, v0, v2, vcc_lo
	v_and_b32_e32 v2, 0x80000000, v4
	v_lshlrev_b32_e32 v0, 20, v0
	v_or3_b32 v0, v2, v1, v0
.LBB6_4872:                             ;   in Loop: Header=BB6_4858 Depth=2
	s_or_b32 exec_lo, exec_lo, s40
	v_mul_f32_e32 v0, s29, v0
	v_mov_b32_e32 v14, 0x80
	s_mov_b32 s40, exec_lo
	v_and_b32_e32 v1, 0x7f800000, v0
	v_cmpx_ne_u32_e32 0x7f800000, v1
	s_cbranch_execz .LBB6_4880
; %bb.4873:                             ;   in Loop: Header=BB6_4858 Depth=2
	v_mov_b32_e32 v14, 0
	s_mov_b32 s41, exec_lo
	v_cmpx_ne_u32_e32 0, v0
	s_cbranch_execz .LBB6_4879
; %bb.4874:                             ;   in Loop: Header=BB6_4858 Depth=2
	v_bfe_u32 v1, v0, 23, 8
	v_and_b32_e32 v2, 0x7fffff, v0
	v_sub_nc_u32_e32 v3, 0x78, v1
	v_cmp_gt_u32_e32 vcc_lo, 0x79, v1
	v_or_b32_e32 v4, 0x800000, v2
	v_cndmask_b32_e32 v3, 0, v3, vcc_lo
	v_cmp_eq_u32_e32 vcc_lo, 0, v1
	v_add_nc_u32_e32 v1, 0xffffff89, v1
	v_cndmask_b32_e64 v3, v3, 0x77, vcc_lo
	v_cndmask_b32_e32 v2, v4, v2, vcc_lo
	v_cndmask_b32_e64 v1, v1, 0xffffff8a, vcc_lo
	v_lshl_add_u32 v4, 0x100000, v3, -1
	v_lshrrev_b32_e32 v5, v3, v2
	v_lshlrev_b32_e64 v7, v3, 0x80000
	v_add_nc_u32_e32 v3, v3, v1
	v_and_b32_e32 v2, v4, v2
	v_bfe_u32 v6, v5, 20, 1
	v_cmp_eq_u32_e64 s12, v2, v7
	v_add_nc_u32_e32 v4, -1, v6
	v_cndmask_b32_e64 v2, 0, v4, s12
	v_lshrrev_b32_e32 v4, 23, v5
	s_mov_b32 s12, exec_lo
	v_add_nc_u32_e32 v2, v2, v5
	v_xor_b32_e32 v4, 1, v4
	v_and_b32_e32 v1, 0xfffff, v2
	v_add_nc_u32_e32 v2, v1, v5
                                        ; implicit-def: $vgpr1
	v_cmpx_ne_u32_e64 v3, v4
	s_xor_b32 s12, exec_lo, s12
; %bb.4875:                             ;   in Loop: Header=BB6_4858 Depth=2
	v_cmp_lt_u32_e32 vcc_lo, 0xffffff, v2
	v_sub_nc_u32_e32 v1, v3, v4
	v_cndmask_b32_e64 v3, 0, 1, vcc_lo
	v_add_co_ci_u32_e64 v1, null, 0, v1, vcc_lo
	v_lshrrev_b32_e32 v2, v3, v2
; %bb.4876:                             ;   in Loop: Header=BB6_4858 Depth=2
	s_andn2_saveexec_b32 s12, s12
; %bb.4877:                             ;   in Loop: Header=BB6_4858 Depth=2
	v_bfe_u32 v1, v2, 23, 1
; %bb.4878:                             ;   in Loop: Header=BB6_4858 Depth=2
	s_or_b32 exec_lo, exec_lo, s12
	v_lshrrev_b32_e32 v2, 20, v2
	v_min_i32_e32 v3, 15, v1
	v_cmp_gt_i32_e32 vcc_lo, 16, v1
	v_and_b32_sdwa v0, v0, v102 dst_sel:DWORD dst_unused:UNUSED_PAD src0_sel:BYTE_3 src1_sel:DWORD
	v_lshlrev_b32_e32 v3, 3, v3
	v_cndmask_b32_e32 v2, 7, v2, vcc_lo
	v_and_b32_e32 v3, 0xf8, v3
	v_and_b32_e32 v4, 7, v2
	v_or_b32_e32 v1, v1, v2
	v_or3_b32 v0, v3, v0, v4
	v_cmp_ne_u32_e32 vcc_lo, 0, v1
	v_cndmask_b32_e32 v14, 0, v0, vcc_lo
.LBB6_4879:                             ;   in Loop: Header=BB6_4858 Depth=2
	s_or_b32 exec_lo, exec_lo, s41
.LBB6_4880:                             ;   in Loop: Header=BB6_4858 Depth=2
	s_or_b32 exec_lo, exec_lo, s40
	v_cmp_gt_i16_sdwa s40, v10, v101 src0_sel:BYTE_1 src1_sel:DWORD
	s_mov_b32 s12, 0
	s_and_saveexec_b32 s41, s40
	s_xor_b32 s40, exec_lo, s41
	s_cbranch_execz .LBB6_7042
; %bb.4881:                             ;   in Loop: Header=BB6_4858 Depth=2
	v_cmp_eq_u16_sdwa s42, v10, v102 src0_sel:BYTE_1 src1_sel:DWORD
	s_mov_b32 s12, -1
	s_and_saveexec_b32 s41, s42
; %bb.4882:                             ;   in Loop: Header=BB6_4858 Depth=2
	s_xor_b32 s12, exec_lo, -1
; %bb.4883:                             ;   in Loop: Header=BB6_4858 Depth=2
	s_or_b32 exec_lo, exec_lo, s41
	s_and_b32 s12, s12, exec_lo
	s_or_saveexec_b32 s40, s40
	v_mov_b32_e32 v0, 0x7f800001
	s_xor_b32 exec_lo, exec_lo, s40
	s_cbranch_execnz .LBB6_7043
.LBB6_4884:                             ;   in Loop: Header=BB6_4858 Depth=2
	s_or_b32 exec_lo, exec_lo, s40
	s_and_saveexec_b32 s40, s12
	s_cbranch_execz .LBB6_4886
.LBB6_4885:                             ;   in Loop: Header=BB6_4858 Depth=2
	v_and_b32_sdwa v0, v103, v10 dst_sel:DWORD dst_unused:UNUSED_PAD src0_sel:DWORD src1_sel:BYTE_1
	v_and_b32_e32 v1, 7, v0
	v_bfe_u32 v4, v0, 3, 4
	v_ffbh_u32_e32 v2, v1
	v_cmp_eq_u32_e32 vcc_lo, 0, v4
	v_min_u32_e32 v2, 32, v2
	v_subrev_nc_u32_e32 v3, 28, v2
	v_sub_nc_u32_e32 v2, 29, v2
	v_lshlrev_b32_e32 v0, v3, v0
	v_lshlrev_b32_sdwa v3, v112, v10 dst_sel:DWORD dst_unused:UNUSED_PAD src0_sel:DWORD src1_sel:BYTE_1
	v_cndmask_b32_e32 v2, v4, v2, vcc_lo
	v_and_b32_e32 v0, 7, v0
	v_lshl_add_u32 v2, v2, 23, 0x3b800000
	v_cndmask_b32_e32 v0, v1, v0, vcc_lo
	v_and_b32_e32 v1, 0x80000000, v3
	v_lshlrev_b32_e32 v0, 20, v0
	v_or3_b32 v0, v1, v2, v0
.LBB6_4886:                             ;   in Loop: Header=BB6_4858 Depth=2
	s_or_b32 exec_lo, exec_lo, s40
	v_mul_f32_e32 v0, s29, v0
	v_mov_b32_e32 v15, 0x8000
	s_mov_b32 s40, exec_lo
	v_and_b32_e32 v1, 0x7f800000, v0
	v_cmpx_ne_u32_e32 0x7f800000, v1
	s_cbranch_execz .LBB6_4894
; %bb.4887:                             ;   in Loop: Header=BB6_4858 Depth=2
	v_mov_b32_e32 v15, 0
	s_mov_b32 s41, exec_lo
	v_cmpx_ne_u32_e32 0, v0
	s_cbranch_execz .LBB6_4893
; %bb.4888:                             ;   in Loop: Header=BB6_4858 Depth=2
	v_bfe_u32 v1, v0, 23, 8
	v_and_b32_e32 v2, 0x7fffff, v0
	v_sub_nc_u32_e32 v3, 0x78, v1
	v_cmp_gt_u32_e32 vcc_lo, 0x79, v1
	v_or_b32_e32 v4, 0x800000, v2
	v_cndmask_b32_e32 v3, 0, v3, vcc_lo
	v_cmp_eq_u32_e32 vcc_lo, 0, v1
	v_add_nc_u32_e32 v1, 0xffffff89, v1
	v_cndmask_b32_e64 v3, v3, 0x77, vcc_lo
	v_cndmask_b32_e32 v2, v4, v2, vcc_lo
	v_cndmask_b32_e64 v1, v1, 0xffffff8a, vcc_lo
	v_lshl_add_u32 v4, 0x100000, v3, -1
	v_lshrrev_b32_e32 v5, v3, v2
	v_lshlrev_b32_e64 v7, v3, 0x80000
	v_add_nc_u32_e32 v3, v3, v1
	v_and_b32_e32 v2, v4, v2
	v_bfe_u32 v6, v5, 20, 1
	v_cmp_eq_u32_e64 s12, v2, v7
	v_add_nc_u32_e32 v4, -1, v6
	v_cndmask_b32_e64 v2, 0, v4, s12
	v_lshrrev_b32_e32 v4, 23, v5
	s_mov_b32 s12, exec_lo
	v_add_nc_u32_e32 v2, v2, v5
	v_xor_b32_e32 v4, 1, v4
	v_and_b32_e32 v1, 0xfffff, v2
	v_add_nc_u32_e32 v2, v1, v5
                                        ; implicit-def: $vgpr1
	v_cmpx_ne_u32_e64 v3, v4
	s_xor_b32 s12, exec_lo, s12
; %bb.4889:                             ;   in Loop: Header=BB6_4858 Depth=2
	v_cmp_lt_u32_e32 vcc_lo, 0xffffff, v2
	v_sub_nc_u32_e32 v1, v3, v4
	v_cndmask_b32_e64 v3, 0, 1, vcc_lo
	v_add_co_ci_u32_e64 v1, null, 0, v1, vcc_lo
	v_lshrrev_b32_e32 v2, v3, v2
; %bb.4890:                             ;   in Loop: Header=BB6_4858 Depth=2
	s_andn2_saveexec_b32 s12, s12
; %bb.4891:                             ;   in Loop: Header=BB6_4858 Depth=2
	v_bfe_u32 v1, v2, 23, 1
; %bb.4892:                             ;   in Loop: Header=BB6_4858 Depth=2
	s_or_b32 exec_lo, exec_lo, s12
	v_lshrrev_b32_e32 v2, 20, v2
	v_min_i32_e32 v3, 15, v1
	v_cmp_gt_i32_e32 vcc_lo, 16, v1
	v_and_b32_sdwa v0, v0, v102 dst_sel:DWORD dst_unused:UNUSED_PAD src0_sel:BYTE_3 src1_sel:DWORD
	v_lshlrev_b32_e32 v3, 3, v3
	v_cndmask_b32_e32 v2, 7, v2, vcc_lo
	v_and_b32_e32 v3, 0xf8, v3
	v_and_b32_e32 v4, 7, v2
	v_or_b32_e32 v1, v1, v2
	v_or3_b32 v0, v0, v3, v4
	v_cmp_ne_u32_e32 vcc_lo, 0, v1
	v_lshlrev_b32_e32 v0, 8, v0
	v_cndmask_b32_e32 v15, 0, v0, vcc_lo
.LBB6_4893:                             ;   in Loop: Header=BB6_4858 Depth=2
	s_or_b32 exec_lo, exec_lo, s41
.LBB6_4894:                             ;   in Loop: Header=BB6_4858 Depth=2
	s_or_b32 exec_lo, exec_lo, s40
	v_and_b32_sdwa v1, v10, v113 dst_sel:DWORD dst_unused:UNUSED_PAD src0_sel:WORD_1 src1_sel:DWORD
	s_mov_b32 s12, 0
	s_mov_b32 s40, exec_lo
	v_cmpx_lt_i16_e32 0x7f, v1
	s_xor_b32 s40, exec_lo, s40
	s_cbranch_execz .LBB6_7044
; %bb.4895:                             ;   in Loop: Header=BB6_4858 Depth=2
	s_mov_b32 s12, -1
	s_mov_b32 s41, exec_lo
	v_cmpx_eq_u16_e32 0x80, v1
; %bb.4896:                             ;   in Loop: Header=BB6_4858 Depth=2
	s_xor_b32 s12, exec_lo, -1
; %bb.4897:                             ;   in Loop: Header=BB6_4858 Depth=2
	s_or_b32 exec_lo, exec_lo, s41
	s_and_b32 s12, s12, exec_lo
                                        ; implicit-def: $vgpr1
	s_or_saveexec_b32 s40, s40
	v_mov_b32_e32 v0, 0x7f800001
	s_xor_b32 exec_lo, exec_lo, s40
	s_cbranch_execnz .LBB6_7045
.LBB6_4898:                             ;   in Loop: Header=BB6_4858 Depth=2
	s_or_b32 exec_lo, exec_lo, s40
	s_and_saveexec_b32 s40, s12
	s_cbranch_execz .LBB6_4900
.LBB6_4899:                             ;   in Loop: Header=BB6_4858 Depth=2
	v_bfe_u32 v0, v10, 16, 3
	v_bfe_u32 v3, v10, 19, 4
	v_lshlrev_b32_e32 v4, 8, v10
	v_ffbh_u32_e32 v1, v0
	v_cmp_eq_u32_e32 vcc_lo, 0, v3
	v_min_u32_e32 v1, 32, v1
	v_subrev_nc_u32_e32 v2, 28, v1
	v_sub_nc_u32_e32 v1, 29, v1
	v_lshlrev_b32_sdwa v2, v2, v10 dst_sel:DWORD dst_unused:UNUSED_PAD src0_sel:DWORD src1_sel:WORD_1
	v_cndmask_b32_e32 v1, v3, v1, vcc_lo
	v_and_b32_e32 v2, 7, v2
	v_lshl_add_u32 v1, v1, 23, 0x3b800000
	v_cndmask_b32_e32 v0, v0, v2, vcc_lo
	v_and_b32_e32 v2, 0x80000000, v4
	v_lshlrev_b32_e32 v0, 20, v0
	v_or3_b32 v0, v2, v1, v0
.LBB6_4900:                             ;   in Loop: Header=BB6_4858 Depth=2
	s_or_b32 exec_lo, exec_lo, s40
	v_mul_f32_e32 v0, s29, v0
	v_mov_b32_e32 v43, 0x80
	s_mov_b32 s40, exec_lo
	v_and_b32_e32 v1, 0x7f800000, v0
	v_cmpx_ne_u32_e32 0x7f800000, v1
	s_cbranch_execz .LBB6_4908
; %bb.4901:                             ;   in Loop: Header=BB6_4858 Depth=2
	v_mov_b32_e32 v43, 0
	s_mov_b32 s41, exec_lo
	v_cmpx_ne_u32_e32 0, v0
	s_cbranch_execz .LBB6_4907
; %bb.4902:                             ;   in Loop: Header=BB6_4858 Depth=2
	v_bfe_u32 v1, v0, 23, 8
	v_and_b32_e32 v2, 0x7fffff, v0
	v_sub_nc_u32_e32 v3, 0x78, v1
	v_cmp_gt_u32_e32 vcc_lo, 0x79, v1
	v_or_b32_e32 v4, 0x800000, v2
	v_cndmask_b32_e32 v3, 0, v3, vcc_lo
	v_cmp_eq_u32_e32 vcc_lo, 0, v1
	v_add_nc_u32_e32 v1, 0xffffff89, v1
	v_cndmask_b32_e64 v3, v3, 0x77, vcc_lo
	v_cndmask_b32_e32 v2, v4, v2, vcc_lo
	v_cndmask_b32_e64 v1, v1, 0xffffff8a, vcc_lo
	v_lshl_add_u32 v4, 0x100000, v3, -1
	v_lshrrev_b32_e32 v5, v3, v2
	v_lshlrev_b32_e64 v7, v3, 0x80000
	v_add_nc_u32_e32 v3, v3, v1
	v_and_b32_e32 v2, v4, v2
	v_bfe_u32 v6, v5, 20, 1
	v_cmp_eq_u32_e64 s12, v2, v7
	v_add_nc_u32_e32 v4, -1, v6
	v_cndmask_b32_e64 v2, 0, v4, s12
	v_lshrrev_b32_e32 v4, 23, v5
	s_mov_b32 s12, exec_lo
	v_add_nc_u32_e32 v2, v2, v5
	v_xor_b32_e32 v4, 1, v4
	v_and_b32_e32 v1, 0xfffff, v2
	v_add_nc_u32_e32 v2, v1, v5
                                        ; implicit-def: $vgpr1
	v_cmpx_ne_u32_e64 v3, v4
	s_xor_b32 s12, exec_lo, s12
; %bb.4903:                             ;   in Loop: Header=BB6_4858 Depth=2
	v_cmp_lt_u32_e32 vcc_lo, 0xffffff, v2
	v_sub_nc_u32_e32 v1, v3, v4
	v_cndmask_b32_e64 v3, 0, 1, vcc_lo
	v_add_co_ci_u32_e64 v1, null, 0, v1, vcc_lo
	v_lshrrev_b32_e32 v2, v3, v2
; %bb.4904:                             ;   in Loop: Header=BB6_4858 Depth=2
	s_andn2_saveexec_b32 s12, s12
; %bb.4905:                             ;   in Loop: Header=BB6_4858 Depth=2
	v_bfe_u32 v1, v2, 23, 1
; %bb.4906:                             ;   in Loop: Header=BB6_4858 Depth=2
	s_or_b32 exec_lo, exec_lo, s12
	v_lshrrev_b32_e32 v2, 20, v2
	v_min_i32_e32 v3, 15, v1
	v_cmp_gt_i32_e32 vcc_lo, 16, v1
	v_and_b32_sdwa v0, v0, v102 dst_sel:DWORD dst_unused:UNUSED_PAD src0_sel:BYTE_3 src1_sel:DWORD
	v_lshlrev_b32_e32 v3, 3, v3
	v_cndmask_b32_e32 v2, 7, v2, vcc_lo
	v_and_b32_e32 v3, 0xf8, v3
	v_and_b32_e32 v4, 7, v2
	v_or_b32_e32 v1, v1, v2
	v_or3_b32 v0, v3, v0, v4
	v_cmp_ne_u32_e32 vcc_lo, 0, v1
	v_cndmask_b32_e32 v43, 0, v0, vcc_lo
.LBB6_4907:                             ;   in Loop: Header=BB6_4858 Depth=2
	s_or_b32 exec_lo, exec_lo, s41
.LBB6_4908:                             ;   in Loop: Header=BB6_4858 Depth=2
	s_or_b32 exec_lo, exec_lo, s40
	v_cmp_gt_i16_sdwa s40, v10, v101 src0_sel:BYTE_3 src1_sel:DWORD
	s_mov_b32 s12, 0
	s_and_saveexec_b32 s41, s40
	s_xor_b32 s40, exec_lo, s41
	s_cbranch_execz .LBB6_7046
; %bb.4909:                             ;   in Loop: Header=BB6_4858 Depth=2
	v_cmp_eq_u16_sdwa s42, v10, v102 src0_sel:BYTE_3 src1_sel:DWORD
	s_mov_b32 s12, -1
	s_and_saveexec_b32 s41, s42
; %bb.4910:                             ;   in Loop: Header=BB6_4858 Depth=2
	s_xor_b32 s12, exec_lo, -1
; %bb.4911:                             ;   in Loop: Header=BB6_4858 Depth=2
	s_or_b32 exec_lo, exec_lo, s41
	s_and_b32 s12, s12, exec_lo
	s_or_saveexec_b32 s40, s40
	v_mov_b32_e32 v0, 0x7f800001
	s_xor_b32 exec_lo, exec_lo, s40
	s_cbranch_execnz .LBB6_7047
.LBB6_4912:                             ;   in Loop: Header=BB6_4858 Depth=2
	s_or_b32 exec_lo, exec_lo, s40
	s_and_saveexec_b32 s40, s12
	s_cbranch_execz .LBB6_4914
.LBB6_4913:                             ;   in Loop: Header=BB6_4858 Depth=2
	v_bfe_u32 v0, v10, 24, 3
	v_bfe_u32 v3, v10, 27, 4
	v_ffbh_u32_e32 v1, v0
	v_cmp_eq_u32_e32 vcc_lo, 0, v3
	v_min_u32_e32 v1, 32, v1
	v_subrev_nc_u32_e32 v2, 28, v1
	v_sub_nc_u32_e32 v1, 29, v1
	v_lshlrev_b32_sdwa v2, v2, v10 dst_sel:DWORD dst_unused:UNUSED_PAD src0_sel:DWORD src1_sel:BYTE_3
	v_cndmask_b32_e32 v1, v3, v1, vcc_lo
	v_and_b32_e32 v2, 7, v2
	v_lshl_add_u32 v1, v1, 23, 0x3b800000
	v_cndmask_b32_e32 v0, v0, v2, vcc_lo
	v_and_b32_e32 v2, 0x80000000, v10
	v_lshlrev_b32_e32 v0, 20, v0
	v_or3_b32 v0, v2, v1, v0
.LBB6_4914:                             ;   in Loop: Header=BB6_4858 Depth=2
	s_or_b32 exec_lo, exec_lo, s40
	v_mul_f32_e32 v0, s29, v0
	v_mov_b32_e32 v63, 0x8000
	s_mov_b32 s40, exec_lo
	v_and_b32_e32 v1, 0x7f800000, v0
	v_cmpx_ne_u32_e32 0x7f800000, v1
	s_cbranch_execz .LBB6_4922
; %bb.4915:                             ;   in Loop: Header=BB6_4858 Depth=2
	v_mov_b32_e32 v63, 0
	s_mov_b32 s41, exec_lo
	v_cmpx_ne_u32_e32 0, v0
	s_cbranch_execz .LBB6_4921
; %bb.4916:                             ;   in Loop: Header=BB6_4858 Depth=2
	v_bfe_u32 v1, v0, 23, 8
	v_and_b32_e32 v2, 0x7fffff, v0
	v_sub_nc_u32_e32 v3, 0x78, v1
	v_cmp_gt_u32_e32 vcc_lo, 0x79, v1
	v_or_b32_e32 v4, 0x800000, v2
	v_cndmask_b32_e32 v3, 0, v3, vcc_lo
	v_cmp_eq_u32_e32 vcc_lo, 0, v1
	v_add_nc_u32_e32 v1, 0xffffff89, v1
	v_cndmask_b32_e64 v3, v3, 0x77, vcc_lo
	v_cndmask_b32_e32 v2, v4, v2, vcc_lo
	v_cndmask_b32_e64 v1, v1, 0xffffff8a, vcc_lo
	v_lshl_add_u32 v4, 0x100000, v3, -1
	v_lshrrev_b32_e32 v5, v3, v2
	v_lshlrev_b32_e64 v7, v3, 0x80000
	v_add_nc_u32_e32 v3, v3, v1
	v_and_b32_e32 v2, v4, v2
	v_bfe_u32 v6, v5, 20, 1
	v_cmp_eq_u32_e64 s12, v2, v7
	v_add_nc_u32_e32 v4, -1, v6
	v_cndmask_b32_e64 v2, 0, v4, s12
	v_lshrrev_b32_e32 v4, 23, v5
	s_mov_b32 s12, exec_lo
	v_add_nc_u32_e32 v2, v2, v5
	v_xor_b32_e32 v4, 1, v4
	v_and_b32_e32 v1, 0xfffff, v2
	v_add_nc_u32_e32 v2, v1, v5
                                        ; implicit-def: $vgpr1
	v_cmpx_ne_u32_e64 v3, v4
	s_xor_b32 s12, exec_lo, s12
; %bb.4917:                             ;   in Loop: Header=BB6_4858 Depth=2
	v_cmp_lt_u32_e32 vcc_lo, 0xffffff, v2
	v_sub_nc_u32_e32 v1, v3, v4
	v_cndmask_b32_e64 v3, 0, 1, vcc_lo
	v_add_co_ci_u32_e64 v1, null, 0, v1, vcc_lo
	v_lshrrev_b32_e32 v2, v3, v2
; %bb.4918:                             ;   in Loop: Header=BB6_4858 Depth=2
	s_andn2_saveexec_b32 s12, s12
; %bb.4919:                             ;   in Loop: Header=BB6_4858 Depth=2
	v_bfe_u32 v1, v2, 23, 1
; %bb.4920:                             ;   in Loop: Header=BB6_4858 Depth=2
	s_or_b32 exec_lo, exec_lo, s12
	v_lshrrev_b32_e32 v2, 20, v2
	v_min_i32_e32 v3, 15, v1
	v_cmp_gt_i32_e32 vcc_lo, 16, v1
	v_and_b32_sdwa v0, v0, v102 dst_sel:DWORD dst_unused:UNUSED_PAD src0_sel:BYTE_3 src1_sel:DWORD
	v_lshlrev_b32_e32 v3, 3, v3
	v_cndmask_b32_e32 v2, 7, v2, vcc_lo
	v_and_b32_e32 v3, 0xf8, v3
	v_and_b32_e32 v4, 7, v2
	v_or_b32_e32 v1, v1, v2
	v_or3_b32 v0, v0, v3, v4
	v_cmp_ne_u32_e32 vcc_lo, 0, v1
	v_lshlrev_b32_e32 v0, 8, v0
	v_cndmask_b32_e32 v63, 0, v0, vcc_lo
.LBB6_4921:                             ;   in Loop: Header=BB6_4858 Depth=2
	s_or_b32 exec_lo, exec_lo, s41
.LBB6_4922:                             ;   in Loop: Header=BB6_4858 Depth=2
	s_or_b32 exec_lo, exec_lo, s40
	v_cmp_gt_i16_sdwa s40, v11, v101 src0_sel:BYTE_0 src1_sel:DWORD
	s_mov_b32 s12, 0
	s_and_saveexec_b32 s41, s40
	s_xor_b32 s40, exec_lo, s41
	s_cbranch_execz .LBB6_7048
; %bb.4923:                             ;   in Loop: Header=BB6_4858 Depth=2
	v_cmp_eq_u16_sdwa s42, v11, v102 src0_sel:BYTE_0 src1_sel:DWORD
	s_mov_b32 s12, -1
	s_and_saveexec_b32 s41, s42
; %bb.4924:                             ;   in Loop: Header=BB6_4858 Depth=2
	s_xor_b32 s12, exec_lo, -1
; %bb.4925:                             ;   in Loop: Header=BB6_4858 Depth=2
	s_or_b32 exec_lo, exec_lo, s41
	s_and_b32 s12, s12, exec_lo
	s_or_saveexec_b32 s40, s40
	v_mov_b32_e32 v0, 0x7f800001
	s_xor_b32 exec_lo, exec_lo, s40
	s_cbranch_execnz .LBB6_7049
.LBB6_4926:                             ;   in Loop: Header=BB6_4858 Depth=2
	s_or_b32 exec_lo, exec_lo, s40
	s_and_saveexec_b32 s40, s12
	s_cbranch_execz .LBB6_4928
.LBB6_4927:                             ;   in Loop: Header=BB6_4858 Depth=2
	v_and_b32_e32 v0, 7, v11
	v_bfe_u32 v3, v11, 3, 4
	v_lshlrev_b32_e32 v4, 24, v11
	v_ffbh_u32_e32 v1, v0
	v_cmp_eq_u32_e32 vcc_lo, 0, v3
	v_min_u32_e32 v1, 32, v1
	v_subrev_nc_u32_e32 v2, 28, v1
	v_sub_nc_u32_e32 v1, 29, v1
	v_lshlrev_b32_e32 v2, v2, v11
	v_cndmask_b32_e32 v1, v3, v1, vcc_lo
	v_and_b32_e32 v2, 7, v2
	v_lshl_add_u32 v1, v1, 23, 0x3b800000
	v_cndmask_b32_e32 v0, v0, v2, vcc_lo
	v_and_b32_e32 v2, 0x80000000, v4
	v_lshlrev_b32_e32 v0, 20, v0
	v_or3_b32 v0, v2, v1, v0
.LBB6_4928:                             ;   in Loop: Header=BB6_4858 Depth=2
	s_or_b32 exec_lo, exec_lo, s40
	v_mul_f32_e32 v0, s29, v0
	v_mov_b32_e32 v57, 0x80
	s_mov_b32 s40, exec_lo
	v_and_b32_e32 v1, 0x7f800000, v0
	v_cmpx_ne_u32_e32 0x7f800000, v1
	s_cbranch_execz .LBB6_4936
; %bb.4929:                             ;   in Loop: Header=BB6_4858 Depth=2
	v_mov_b32_e32 v57, 0
	s_mov_b32 s41, exec_lo
	v_cmpx_ne_u32_e32 0, v0
	s_cbranch_execz .LBB6_4935
; %bb.4930:                             ;   in Loop: Header=BB6_4858 Depth=2
	v_bfe_u32 v1, v0, 23, 8
	v_and_b32_e32 v2, 0x7fffff, v0
	v_sub_nc_u32_e32 v3, 0x78, v1
	v_cmp_gt_u32_e32 vcc_lo, 0x79, v1
	v_or_b32_e32 v4, 0x800000, v2
	v_cndmask_b32_e32 v3, 0, v3, vcc_lo
	v_cmp_eq_u32_e32 vcc_lo, 0, v1
	v_add_nc_u32_e32 v1, 0xffffff89, v1
	v_cndmask_b32_e64 v3, v3, 0x77, vcc_lo
	v_cndmask_b32_e32 v2, v4, v2, vcc_lo
	v_cndmask_b32_e64 v1, v1, 0xffffff8a, vcc_lo
	v_lshl_add_u32 v4, 0x100000, v3, -1
	v_lshrrev_b32_e32 v5, v3, v2
	v_lshlrev_b32_e64 v7, v3, 0x80000
	v_add_nc_u32_e32 v3, v3, v1
	v_and_b32_e32 v2, v4, v2
	v_bfe_u32 v6, v5, 20, 1
	v_cmp_eq_u32_e64 s12, v2, v7
	v_add_nc_u32_e32 v4, -1, v6
	v_cndmask_b32_e64 v2, 0, v4, s12
	v_lshrrev_b32_e32 v4, 23, v5
	s_mov_b32 s12, exec_lo
	v_add_nc_u32_e32 v2, v2, v5
	v_xor_b32_e32 v4, 1, v4
	v_and_b32_e32 v1, 0xfffff, v2
	v_add_nc_u32_e32 v2, v1, v5
                                        ; implicit-def: $vgpr1
	v_cmpx_ne_u32_e64 v3, v4
	s_xor_b32 s12, exec_lo, s12
; %bb.4931:                             ;   in Loop: Header=BB6_4858 Depth=2
	v_cmp_lt_u32_e32 vcc_lo, 0xffffff, v2
	v_sub_nc_u32_e32 v1, v3, v4
	v_cndmask_b32_e64 v3, 0, 1, vcc_lo
	v_add_co_ci_u32_e64 v1, null, 0, v1, vcc_lo
	v_lshrrev_b32_e32 v2, v3, v2
; %bb.4932:                             ;   in Loop: Header=BB6_4858 Depth=2
	s_andn2_saveexec_b32 s12, s12
; %bb.4933:                             ;   in Loop: Header=BB6_4858 Depth=2
	v_bfe_u32 v1, v2, 23, 1
; %bb.4934:                             ;   in Loop: Header=BB6_4858 Depth=2
	s_or_b32 exec_lo, exec_lo, s12
	v_lshrrev_b32_e32 v2, 20, v2
	v_min_i32_e32 v3, 15, v1
	v_cmp_gt_i32_e32 vcc_lo, 16, v1
	v_and_b32_sdwa v0, v0, v102 dst_sel:DWORD dst_unused:UNUSED_PAD src0_sel:BYTE_3 src1_sel:DWORD
	v_lshlrev_b32_e32 v3, 3, v3
	v_cndmask_b32_e32 v2, 7, v2, vcc_lo
	v_and_b32_e32 v3, 0xf8, v3
	v_and_b32_e32 v4, 7, v2
	v_or_b32_e32 v1, v1, v2
	v_or3_b32 v0, v3, v0, v4
	v_cmp_ne_u32_e32 vcc_lo, 0, v1
	v_cndmask_b32_e32 v57, 0, v0, vcc_lo
.LBB6_4935:                             ;   in Loop: Header=BB6_4858 Depth=2
	s_or_b32 exec_lo, exec_lo, s41
.LBB6_4936:                             ;   in Loop: Header=BB6_4858 Depth=2
	s_or_b32 exec_lo, exec_lo, s40
	v_cmp_gt_i16_sdwa s40, v11, v101 src0_sel:BYTE_1 src1_sel:DWORD
	s_mov_b32 s12, 0
	s_and_saveexec_b32 s41, s40
	s_xor_b32 s40, exec_lo, s41
	s_cbranch_execz .LBB6_7050
; %bb.4937:                             ;   in Loop: Header=BB6_4858 Depth=2
	v_cmp_eq_u16_sdwa s42, v11, v102 src0_sel:BYTE_1 src1_sel:DWORD
	s_mov_b32 s12, -1
	s_and_saveexec_b32 s41, s42
; %bb.4938:                             ;   in Loop: Header=BB6_4858 Depth=2
	s_xor_b32 s12, exec_lo, -1
; %bb.4939:                             ;   in Loop: Header=BB6_4858 Depth=2
	s_or_b32 exec_lo, exec_lo, s41
	s_and_b32 s12, s12, exec_lo
	s_or_saveexec_b32 s40, s40
	v_mov_b32_e32 v0, 0x7f800001
	s_xor_b32 exec_lo, exec_lo, s40
	s_cbranch_execnz .LBB6_7051
.LBB6_4940:                             ;   in Loop: Header=BB6_4858 Depth=2
	s_or_b32 exec_lo, exec_lo, s40
	s_and_saveexec_b32 s40, s12
	s_cbranch_execz .LBB6_4942
.LBB6_4941:                             ;   in Loop: Header=BB6_4858 Depth=2
	v_and_b32_sdwa v0, v103, v11 dst_sel:DWORD dst_unused:UNUSED_PAD src0_sel:DWORD src1_sel:BYTE_1
	v_and_b32_e32 v1, 7, v0
	v_bfe_u32 v4, v0, 3, 4
	v_ffbh_u32_e32 v2, v1
	v_cmp_eq_u32_e32 vcc_lo, 0, v4
	v_min_u32_e32 v2, 32, v2
	v_subrev_nc_u32_e32 v3, 28, v2
	v_sub_nc_u32_e32 v2, 29, v2
	v_lshlrev_b32_e32 v0, v3, v0
	v_lshlrev_b32_sdwa v3, v112, v11 dst_sel:DWORD dst_unused:UNUSED_PAD src0_sel:DWORD src1_sel:BYTE_1
	v_cndmask_b32_e32 v2, v4, v2, vcc_lo
	v_and_b32_e32 v0, 7, v0
	v_lshl_add_u32 v2, v2, 23, 0x3b800000
	v_cndmask_b32_e32 v0, v1, v0, vcc_lo
	v_and_b32_e32 v1, 0x80000000, v3
	v_lshlrev_b32_e32 v0, 20, v0
	v_or3_b32 v0, v1, v2, v0
.LBB6_4942:                             ;   in Loop: Header=BB6_4858 Depth=2
	s_or_b32 exec_lo, exec_lo, s40
	v_mul_f32_e32 v0, s29, v0
	v_mov_b32_e32 v60, 0x8000
	s_mov_b32 s40, exec_lo
	v_and_b32_e32 v1, 0x7f800000, v0
	v_cmpx_ne_u32_e32 0x7f800000, v1
	s_cbranch_execz .LBB6_4950
; %bb.4943:                             ;   in Loop: Header=BB6_4858 Depth=2
	v_mov_b32_e32 v60, 0
	s_mov_b32 s41, exec_lo
	v_cmpx_ne_u32_e32 0, v0
	s_cbranch_execz .LBB6_4949
; %bb.4944:                             ;   in Loop: Header=BB6_4858 Depth=2
	v_bfe_u32 v1, v0, 23, 8
	v_and_b32_e32 v2, 0x7fffff, v0
	v_sub_nc_u32_e32 v3, 0x78, v1
	v_cmp_gt_u32_e32 vcc_lo, 0x79, v1
	v_or_b32_e32 v4, 0x800000, v2
	v_cndmask_b32_e32 v3, 0, v3, vcc_lo
	v_cmp_eq_u32_e32 vcc_lo, 0, v1
	v_add_nc_u32_e32 v1, 0xffffff89, v1
	v_cndmask_b32_e64 v3, v3, 0x77, vcc_lo
	v_cndmask_b32_e32 v2, v4, v2, vcc_lo
	v_cndmask_b32_e64 v1, v1, 0xffffff8a, vcc_lo
	v_lshl_add_u32 v4, 0x100000, v3, -1
	v_lshrrev_b32_e32 v5, v3, v2
	v_lshlrev_b32_e64 v7, v3, 0x80000
	v_add_nc_u32_e32 v3, v3, v1
	v_and_b32_e32 v2, v4, v2
	v_bfe_u32 v6, v5, 20, 1
	v_cmp_eq_u32_e64 s12, v2, v7
	v_add_nc_u32_e32 v4, -1, v6
	v_cndmask_b32_e64 v2, 0, v4, s12
	v_lshrrev_b32_e32 v4, 23, v5
	s_mov_b32 s12, exec_lo
	v_add_nc_u32_e32 v2, v2, v5
	v_xor_b32_e32 v4, 1, v4
	v_and_b32_e32 v1, 0xfffff, v2
	v_add_nc_u32_e32 v2, v1, v5
                                        ; implicit-def: $vgpr1
	v_cmpx_ne_u32_e64 v3, v4
	s_xor_b32 s12, exec_lo, s12
; %bb.4945:                             ;   in Loop: Header=BB6_4858 Depth=2
	v_cmp_lt_u32_e32 vcc_lo, 0xffffff, v2
	v_sub_nc_u32_e32 v1, v3, v4
	v_cndmask_b32_e64 v3, 0, 1, vcc_lo
	v_add_co_ci_u32_e64 v1, null, 0, v1, vcc_lo
	v_lshrrev_b32_e32 v2, v3, v2
; %bb.4946:                             ;   in Loop: Header=BB6_4858 Depth=2
	s_andn2_saveexec_b32 s12, s12
; %bb.4947:                             ;   in Loop: Header=BB6_4858 Depth=2
	v_bfe_u32 v1, v2, 23, 1
; %bb.4948:                             ;   in Loop: Header=BB6_4858 Depth=2
	s_or_b32 exec_lo, exec_lo, s12
	v_lshrrev_b32_e32 v2, 20, v2
	v_min_i32_e32 v3, 15, v1
	v_cmp_gt_i32_e32 vcc_lo, 16, v1
	v_and_b32_sdwa v0, v0, v102 dst_sel:DWORD dst_unused:UNUSED_PAD src0_sel:BYTE_3 src1_sel:DWORD
	v_lshlrev_b32_e32 v3, 3, v3
	v_cndmask_b32_e32 v2, 7, v2, vcc_lo
	v_and_b32_e32 v3, 0xf8, v3
	v_and_b32_e32 v4, 7, v2
	v_or_b32_e32 v1, v1, v2
	v_or3_b32 v0, v0, v3, v4
	v_cmp_ne_u32_e32 vcc_lo, 0, v1
	v_lshlrev_b32_e32 v0, 8, v0
	v_cndmask_b32_e32 v60, 0, v0, vcc_lo
.LBB6_4949:                             ;   in Loop: Header=BB6_4858 Depth=2
	s_or_b32 exec_lo, exec_lo, s41
.LBB6_4950:                             ;   in Loop: Header=BB6_4858 Depth=2
	s_or_b32 exec_lo, exec_lo, s40
	v_and_b32_sdwa v1, v11, v113 dst_sel:DWORD dst_unused:UNUSED_PAD src0_sel:WORD_1 src1_sel:DWORD
	s_mov_b32 s12, 0
	s_mov_b32 s40, exec_lo
	v_cmpx_lt_i16_e32 0x7f, v1
	s_xor_b32 s40, exec_lo, s40
	s_cbranch_execz .LBB6_7052
; %bb.4951:                             ;   in Loop: Header=BB6_4858 Depth=2
	s_mov_b32 s12, -1
	s_mov_b32 s41, exec_lo
	v_cmpx_eq_u16_e32 0x80, v1
; %bb.4952:                             ;   in Loop: Header=BB6_4858 Depth=2
	s_xor_b32 s12, exec_lo, -1
; %bb.4953:                             ;   in Loop: Header=BB6_4858 Depth=2
	s_or_b32 exec_lo, exec_lo, s41
	s_and_b32 s12, s12, exec_lo
                                        ; implicit-def: $vgpr1
	s_or_saveexec_b32 s40, s40
	v_mov_b32_e32 v0, 0x7f800001
	s_xor_b32 exec_lo, exec_lo, s40
	s_cbranch_execnz .LBB6_7053
.LBB6_4954:                             ;   in Loop: Header=BB6_4858 Depth=2
	s_or_b32 exec_lo, exec_lo, s40
	s_and_saveexec_b32 s40, s12
	s_cbranch_execz .LBB6_4956
.LBB6_4955:                             ;   in Loop: Header=BB6_4858 Depth=2
	v_bfe_u32 v0, v11, 16, 3
	v_bfe_u32 v3, v11, 19, 4
	v_lshlrev_b32_e32 v4, 8, v11
	v_ffbh_u32_e32 v1, v0
	v_cmp_eq_u32_e32 vcc_lo, 0, v3
	v_min_u32_e32 v1, 32, v1
	v_subrev_nc_u32_e32 v2, 28, v1
	v_sub_nc_u32_e32 v1, 29, v1
	v_lshlrev_b32_sdwa v2, v2, v11 dst_sel:DWORD dst_unused:UNUSED_PAD src0_sel:DWORD src1_sel:WORD_1
	v_cndmask_b32_e32 v1, v3, v1, vcc_lo
	v_and_b32_e32 v2, 7, v2
	v_lshl_add_u32 v1, v1, 23, 0x3b800000
	v_cndmask_b32_e32 v0, v0, v2, vcc_lo
	v_and_b32_e32 v2, 0x80000000, v4
	v_lshlrev_b32_e32 v0, 20, v0
	v_or3_b32 v0, v2, v1, v0
.LBB6_4956:                             ;   in Loop: Header=BB6_4858 Depth=2
	s_or_b32 exec_lo, exec_lo, s40
	v_mul_f32_e32 v0, s29, v0
	v_mov_b32_e32 v34, 0x80
	s_mov_b32 s40, exec_lo
	v_and_b32_e32 v1, 0x7f800000, v0
	v_cmpx_ne_u32_e32 0x7f800000, v1
	s_cbranch_execz .LBB6_4964
; %bb.4957:                             ;   in Loop: Header=BB6_4858 Depth=2
	v_mov_b32_e32 v34, 0
	s_mov_b32 s41, exec_lo
	v_cmpx_ne_u32_e32 0, v0
	s_cbranch_execz .LBB6_4963
; %bb.4958:                             ;   in Loop: Header=BB6_4858 Depth=2
	v_bfe_u32 v1, v0, 23, 8
	v_and_b32_e32 v2, 0x7fffff, v0
	v_sub_nc_u32_e32 v3, 0x78, v1
	v_cmp_gt_u32_e32 vcc_lo, 0x79, v1
	v_or_b32_e32 v4, 0x800000, v2
	v_cndmask_b32_e32 v3, 0, v3, vcc_lo
	v_cmp_eq_u32_e32 vcc_lo, 0, v1
	v_add_nc_u32_e32 v1, 0xffffff89, v1
	v_cndmask_b32_e64 v3, v3, 0x77, vcc_lo
	v_cndmask_b32_e32 v2, v4, v2, vcc_lo
	v_cndmask_b32_e64 v1, v1, 0xffffff8a, vcc_lo
	v_lshl_add_u32 v4, 0x100000, v3, -1
	v_lshrrev_b32_e32 v5, v3, v2
	v_lshlrev_b32_e64 v7, v3, 0x80000
	v_add_nc_u32_e32 v3, v3, v1
	v_and_b32_e32 v2, v4, v2
	v_bfe_u32 v6, v5, 20, 1
	v_cmp_eq_u32_e64 s12, v2, v7
	v_add_nc_u32_e32 v4, -1, v6
	v_cndmask_b32_e64 v2, 0, v4, s12
	v_lshrrev_b32_e32 v4, 23, v5
	s_mov_b32 s12, exec_lo
	v_add_nc_u32_e32 v2, v2, v5
	v_xor_b32_e32 v4, 1, v4
	v_and_b32_e32 v1, 0xfffff, v2
	v_add_nc_u32_e32 v2, v1, v5
                                        ; implicit-def: $vgpr1
	v_cmpx_ne_u32_e64 v3, v4
	s_xor_b32 s12, exec_lo, s12
; %bb.4959:                             ;   in Loop: Header=BB6_4858 Depth=2
	v_cmp_lt_u32_e32 vcc_lo, 0xffffff, v2
	v_sub_nc_u32_e32 v1, v3, v4
	v_cndmask_b32_e64 v3, 0, 1, vcc_lo
	v_add_co_ci_u32_e64 v1, null, 0, v1, vcc_lo
	v_lshrrev_b32_e32 v2, v3, v2
; %bb.4960:                             ;   in Loop: Header=BB6_4858 Depth=2
	s_andn2_saveexec_b32 s12, s12
; %bb.4961:                             ;   in Loop: Header=BB6_4858 Depth=2
	v_bfe_u32 v1, v2, 23, 1
; %bb.4962:                             ;   in Loop: Header=BB6_4858 Depth=2
	s_or_b32 exec_lo, exec_lo, s12
	v_lshrrev_b32_e32 v2, 20, v2
	v_min_i32_e32 v3, 15, v1
	v_cmp_gt_i32_e32 vcc_lo, 16, v1
	v_and_b32_sdwa v0, v0, v102 dst_sel:DWORD dst_unused:UNUSED_PAD src0_sel:BYTE_3 src1_sel:DWORD
	v_lshlrev_b32_e32 v3, 3, v3
	v_cndmask_b32_e32 v2, 7, v2, vcc_lo
	v_and_b32_e32 v3, 0xf8, v3
	v_and_b32_e32 v4, 7, v2
	v_or_b32_e32 v1, v1, v2
	v_or3_b32 v0, v3, v0, v4
	v_cmp_ne_u32_e32 vcc_lo, 0, v1
	v_cndmask_b32_e32 v34, 0, v0, vcc_lo
.LBB6_4963:                             ;   in Loop: Header=BB6_4858 Depth=2
	s_or_b32 exec_lo, exec_lo, s41
.LBB6_4964:                             ;   in Loop: Header=BB6_4858 Depth=2
	s_or_b32 exec_lo, exec_lo, s40
	v_cmp_gt_i16_sdwa s40, v11, v101 src0_sel:BYTE_3 src1_sel:DWORD
	s_mov_b32 s12, 0
	s_and_saveexec_b32 s41, s40
	s_xor_b32 s40, exec_lo, s41
	s_cbranch_execz .LBB6_7054
; %bb.4965:                             ;   in Loop: Header=BB6_4858 Depth=2
	v_cmp_eq_u16_sdwa s42, v11, v102 src0_sel:BYTE_3 src1_sel:DWORD
	s_mov_b32 s12, -1
	s_and_saveexec_b32 s41, s42
; %bb.4966:                             ;   in Loop: Header=BB6_4858 Depth=2
	s_xor_b32 s12, exec_lo, -1
; %bb.4967:                             ;   in Loop: Header=BB6_4858 Depth=2
	s_or_b32 exec_lo, exec_lo, s41
	s_and_b32 s12, s12, exec_lo
	s_or_saveexec_b32 s40, s40
	v_mov_b32_e32 v0, 0x7f800001
	s_xor_b32 exec_lo, exec_lo, s40
	s_cbranch_execnz .LBB6_7055
.LBB6_4968:                             ;   in Loop: Header=BB6_4858 Depth=2
	s_or_b32 exec_lo, exec_lo, s40
	s_and_saveexec_b32 s40, s12
	s_cbranch_execz .LBB6_4970
.LBB6_4969:                             ;   in Loop: Header=BB6_4858 Depth=2
	v_bfe_u32 v0, v11, 24, 3
	v_bfe_u32 v3, v11, 27, 4
	v_ffbh_u32_e32 v1, v0
	v_cmp_eq_u32_e32 vcc_lo, 0, v3
	v_min_u32_e32 v1, 32, v1
	v_subrev_nc_u32_e32 v2, 28, v1
	v_sub_nc_u32_e32 v1, 29, v1
	v_lshlrev_b32_sdwa v2, v2, v11 dst_sel:DWORD dst_unused:UNUSED_PAD src0_sel:DWORD src1_sel:BYTE_3
	v_cndmask_b32_e32 v1, v3, v1, vcc_lo
	v_and_b32_e32 v2, 7, v2
	v_lshl_add_u32 v1, v1, 23, 0x3b800000
	v_cndmask_b32_e32 v0, v0, v2, vcc_lo
	v_and_b32_e32 v2, 0x80000000, v11
	v_lshlrev_b32_e32 v0, 20, v0
	v_or3_b32 v0, v2, v1, v0
.LBB6_4970:                             ;   in Loop: Header=BB6_4858 Depth=2
	s_or_b32 exec_lo, exec_lo, s40
	v_mul_f32_e32 v0, s29, v0
	v_mov_b32_e32 v35, 0x8000
	s_mov_b32 s40, exec_lo
	v_and_b32_e32 v1, 0x7f800000, v0
	v_cmpx_ne_u32_e32 0x7f800000, v1
	s_cbranch_execz .LBB6_4978
; %bb.4971:                             ;   in Loop: Header=BB6_4858 Depth=2
	v_mov_b32_e32 v35, 0
	s_mov_b32 s41, exec_lo
	v_cmpx_ne_u32_e32 0, v0
	s_cbranch_execz .LBB6_4977
; %bb.4972:                             ;   in Loop: Header=BB6_4858 Depth=2
	v_bfe_u32 v1, v0, 23, 8
	v_and_b32_e32 v2, 0x7fffff, v0
	v_sub_nc_u32_e32 v3, 0x78, v1
	v_cmp_gt_u32_e32 vcc_lo, 0x79, v1
	v_or_b32_e32 v4, 0x800000, v2
	v_cndmask_b32_e32 v3, 0, v3, vcc_lo
	v_cmp_eq_u32_e32 vcc_lo, 0, v1
	v_add_nc_u32_e32 v1, 0xffffff89, v1
	v_cndmask_b32_e64 v3, v3, 0x77, vcc_lo
	v_cndmask_b32_e32 v2, v4, v2, vcc_lo
	v_cndmask_b32_e64 v1, v1, 0xffffff8a, vcc_lo
	v_lshl_add_u32 v4, 0x100000, v3, -1
	v_lshrrev_b32_e32 v5, v3, v2
	v_lshlrev_b32_e64 v7, v3, 0x80000
	v_add_nc_u32_e32 v3, v3, v1
	v_and_b32_e32 v2, v4, v2
	v_bfe_u32 v6, v5, 20, 1
	v_cmp_eq_u32_e64 s12, v2, v7
	v_add_nc_u32_e32 v4, -1, v6
	v_cndmask_b32_e64 v2, 0, v4, s12
	v_lshrrev_b32_e32 v4, 23, v5
	s_mov_b32 s12, exec_lo
	v_add_nc_u32_e32 v2, v2, v5
	v_xor_b32_e32 v4, 1, v4
	v_and_b32_e32 v1, 0xfffff, v2
	v_add_nc_u32_e32 v2, v1, v5
                                        ; implicit-def: $vgpr1
	v_cmpx_ne_u32_e64 v3, v4
	s_xor_b32 s12, exec_lo, s12
; %bb.4973:                             ;   in Loop: Header=BB6_4858 Depth=2
	v_cmp_lt_u32_e32 vcc_lo, 0xffffff, v2
	v_sub_nc_u32_e32 v1, v3, v4
	v_cndmask_b32_e64 v3, 0, 1, vcc_lo
	v_add_co_ci_u32_e64 v1, null, 0, v1, vcc_lo
	v_lshrrev_b32_e32 v2, v3, v2
; %bb.4974:                             ;   in Loop: Header=BB6_4858 Depth=2
	s_andn2_saveexec_b32 s12, s12
; %bb.4975:                             ;   in Loop: Header=BB6_4858 Depth=2
	v_bfe_u32 v1, v2, 23, 1
; %bb.4976:                             ;   in Loop: Header=BB6_4858 Depth=2
	s_or_b32 exec_lo, exec_lo, s12
	v_lshrrev_b32_e32 v2, 20, v2
	v_min_i32_e32 v3, 15, v1
	v_cmp_gt_i32_e32 vcc_lo, 16, v1
	v_and_b32_sdwa v0, v0, v102 dst_sel:DWORD dst_unused:UNUSED_PAD src0_sel:BYTE_3 src1_sel:DWORD
	v_lshlrev_b32_e32 v3, 3, v3
	v_cndmask_b32_e32 v2, 7, v2, vcc_lo
	v_and_b32_e32 v3, 0xf8, v3
	v_and_b32_e32 v4, 7, v2
	v_or_b32_e32 v1, v1, v2
	v_or3_b32 v0, v0, v3, v4
	v_cmp_ne_u32_e32 vcc_lo, 0, v1
	v_lshlrev_b32_e32 v0, 8, v0
	v_cndmask_b32_e32 v35, 0, v0, vcc_lo
.LBB6_4977:                             ;   in Loop: Header=BB6_4858 Depth=2
	s_or_b32 exec_lo, exec_lo, s41
.LBB6_4978:                             ;   in Loop: Header=BB6_4858 Depth=2
	s_or_b32 exec_lo, exec_lo, s40
	v_cmp_gt_i16_sdwa s40, v12, v101 src0_sel:BYTE_0 src1_sel:DWORD
	s_mov_b32 s12, 0
	s_and_saveexec_b32 s41, s40
	s_xor_b32 s40, exec_lo, s41
	s_cbranch_execz .LBB6_7056
; %bb.4979:                             ;   in Loop: Header=BB6_4858 Depth=2
	v_cmp_eq_u16_sdwa s42, v12, v102 src0_sel:BYTE_0 src1_sel:DWORD
	s_mov_b32 s12, -1
	s_and_saveexec_b32 s41, s42
; %bb.4980:                             ;   in Loop: Header=BB6_4858 Depth=2
	s_xor_b32 s12, exec_lo, -1
; %bb.4981:                             ;   in Loop: Header=BB6_4858 Depth=2
	s_or_b32 exec_lo, exec_lo, s41
	s_and_b32 s12, s12, exec_lo
	s_or_saveexec_b32 s40, s40
	v_mov_b32_e32 v0, 0x7f800001
	s_xor_b32 exec_lo, exec_lo, s40
	s_cbranch_execnz .LBB6_7057
.LBB6_4982:                             ;   in Loop: Header=BB6_4858 Depth=2
	s_or_b32 exec_lo, exec_lo, s40
	s_and_saveexec_b32 s40, s12
	s_cbranch_execz .LBB6_4984
.LBB6_4983:                             ;   in Loop: Header=BB6_4858 Depth=2
	v_and_b32_e32 v0, 7, v12
	v_bfe_u32 v3, v12, 3, 4
	v_lshlrev_b32_e32 v4, 24, v12
	v_ffbh_u32_e32 v1, v0
	v_cmp_eq_u32_e32 vcc_lo, 0, v3
	v_min_u32_e32 v1, 32, v1
	v_subrev_nc_u32_e32 v2, 28, v1
	v_sub_nc_u32_e32 v1, 29, v1
	v_lshlrev_b32_e32 v2, v2, v12
	v_cndmask_b32_e32 v1, v3, v1, vcc_lo
	v_and_b32_e32 v2, 7, v2
	v_lshl_add_u32 v1, v1, 23, 0x3b800000
	v_cndmask_b32_e32 v0, v0, v2, vcc_lo
	v_and_b32_e32 v2, 0x80000000, v4
	v_lshlrev_b32_e32 v0, 20, v0
	v_or3_b32 v0, v2, v1, v0
.LBB6_4984:                             ;   in Loop: Header=BB6_4858 Depth=2
	s_or_b32 exec_lo, exec_lo, s40
	v_mul_f32_e32 v0, s29, v0
	v_and_b32_e32 v1, 0x7f800000, v0
	v_cmp_ne_u32_e32 vcc_lo, 0x7f800000, v1
	v_mov_b32_e32 v1, 0x80
	s_and_saveexec_b32 s40, vcc_lo
	s_cbranch_execz .LBB6_4992
; %bb.4985:                             ;   in Loop: Header=BB6_4858 Depth=2
	v_mov_b32_e32 v1, 0
	s_mov_b32 s41, exec_lo
	v_cmpx_ne_u32_e32 0, v0
	s_cbranch_execz .LBB6_4991
; %bb.4986:                             ;   in Loop: Header=BB6_4858 Depth=2
	v_bfe_u32 v1, v0, 23, 8
	v_and_b32_e32 v2, 0x7fffff, v0
	v_sub_nc_u32_e32 v3, 0x78, v1
	v_cmp_gt_u32_e32 vcc_lo, 0x79, v1
	v_or_b32_e32 v4, 0x800000, v2
	v_cndmask_b32_e32 v3, 0, v3, vcc_lo
	v_cmp_eq_u32_e32 vcc_lo, 0, v1
	v_add_nc_u32_e32 v1, 0xffffff89, v1
	v_cndmask_b32_e64 v3, v3, 0x77, vcc_lo
	v_cndmask_b32_e32 v2, v4, v2, vcc_lo
	v_cndmask_b32_e64 v1, v1, 0xffffff8a, vcc_lo
	v_lshl_add_u32 v4, 0x100000, v3, -1
	v_lshrrev_b32_e32 v5, v3, v2
	v_lshlrev_b32_e64 v7, v3, 0x80000
	v_add_nc_u32_e32 v3, v3, v1
	v_and_b32_e32 v2, v4, v2
	v_bfe_u32 v6, v5, 20, 1
	v_cmp_eq_u32_e64 s12, v2, v7
	v_add_nc_u32_e32 v4, -1, v6
	v_cndmask_b32_e64 v2, 0, v4, s12
	v_lshrrev_b32_e32 v4, 23, v5
	s_mov_b32 s12, exec_lo
	v_add_nc_u32_e32 v2, v2, v5
	v_xor_b32_e32 v4, 1, v4
	v_and_b32_e32 v1, 0xfffff, v2
	v_add_nc_u32_e32 v2, v1, v5
                                        ; implicit-def: $vgpr1
	v_cmpx_ne_u32_e64 v3, v4
	s_xor_b32 s12, exec_lo, s12
; %bb.4987:                             ;   in Loop: Header=BB6_4858 Depth=2
	v_cmp_lt_u32_e32 vcc_lo, 0xffffff, v2
	v_sub_nc_u32_e32 v1, v3, v4
	v_cndmask_b32_e64 v3, 0, 1, vcc_lo
	v_add_co_ci_u32_e64 v1, null, 0, v1, vcc_lo
	v_lshrrev_b32_e32 v2, v3, v2
; %bb.4988:                             ;   in Loop: Header=BB6_4858 Depth=2
	s_andn2_saveexec_b32 s12, s12
; %bb.4989:                             ;   in Loop: Header=BB6_4858 Depth=2
	v_bfe_u32 v1, v2, 23, 1
; %bb.4990:                             ;   in Loop: Header=BB6_4858 Depth=2
	s_or_b32 exec_lo, exec_lo, s12
	v_lshrrev_b32_e32 v2, 20, v2
	v_min_i32_e32 v3, 15, v1
	v_cmp_gt_i32_e32 vcc_lo, 16, v1
	v_and_b32_sdwa v0, v0, v102 dst_sel:DWORD dst_unused:UNUSED_PAD src0_sel:BYTE_3 src1_sel:DWORD
	v_lshlrev_b32_e32 v3, 3, v3
	v_cndmask_b32_e32 v2, 7, v2, vcc_lo
	v_and_b32_e32 v3, 0xf8, v3
	v_and_b32_e32 v4, 7, v2
	v_or_b32_e32 v1, v1, v2
	v_or3_b32 v0, v3, v0, v4
	v_cmp_ne_u32_e32 vcc_lo, 0, v1
	v_cndmask_b32_e32 v1, 0, v0, vcc_lo
.LBB6_4991:                             ;   in Loop: Header=BB6_4858 Depth=2
	s_or_b32 exec_lo, exec_lo, s41
.LBB6_4992:                             ;   in Loop: Header=BB6_4858 Depth=2
	s_or_b32 exec_lo, exec_lo, s40
	v_cmp_gt_i16_sdwa s40, v12, v101 src0_sel:BYTE_1 src1_sel:DWORD
	s_mov_b32 s12, 0
	s_and_saveexec_b32 s41, s40
	s_xor_b32 s40, exec_lo, s41
	s_cbranch_execz .LBB6_7058
; %bb.4993:                             ;   in Loop: Header=BB6_4858 Depth=2
	v_cmp_eq_u16_sdwa s42, v12, v102 src0_sel:BYTE_1 src1_sel:DWORD
	s_mov_b32 s12, -1
	s_and_saveexec_b32 s41, s42
; %bb.4994:                             ;   in Loop: Header=BB6_4858 Depth=2
	s_xor_b32 s12, exec_lo, -1
; %bb.4995:                             ;   in Loop: Header=BB6_4858 Depth=2
	s_or_b32 exec_lo, exec_lo, s41
	s_and_b32 s12, s12, exec_lo
	s_or_saveexec_b32 s40, s40
	v_mov_b32_e32 v0, 0x7f800001
	s_xor_b32 exec_lo, exec_lo, s40
	s_cbranch_execnz .LBB6_7059
.LBB6_4996:                             ;   in Loop: Header=BB6_4858 Depth=2
	s_or_b32 exec_lo, exec_lo, s40
	s_and_saveexec_b32 s40, s12
	s_cbranch_execz .LBB6_4998
.LBB6_4997:                             ;   in Loop: Header=BB6_4858 Depth=2
	v_and_b32_sdwa v0, v103, v12 dst_sel:DWORD dst_unused:UNUSED_PAD src0_sel:DWORD src1_sel:BYTE_1
	v_and_b32_e32 v2, 7, v0
	v_bfe_u32 v5, v0, 3, 4
	v_ffbh_u32_e32 v3, v2
	v_cmp_eq_u32_e32 vcc_lo, 0, v5
	v_min_u32_e32 v3, 32, v3
	v_subrev_nc_u32_e32 v4, 28, v3
	v_sub_nc_u32_e32 v3, 29, v3
	v_lshlrev_b32_e32 v0, v4, v0
	v_lshlrev_b32_sdwa v4, v112, v12 dst_sel:DWORD dst_unused:UNUSED_PAD src0_sel:DWORD src1_sel:BYTE_1
	v_cndmask_b32_e32 v3, v5, v3, vcc_lo
	v_and_b32_e32 v0, 7, v0
	v_lshl_add_u32 v3, v3, 23, 0x3b800000
	v_cndmask_b32_e32 v0, v2, v0, vcc_lo
	v_and_b32_e32 v2, 0x80000000, v4
	v_lshlrev_b32_e32 v0, 20, v0
	v_or3_b32 v0, v2, v3, v0
.LBB6_4998:                             ;   in Loop: Header=BB6_4858 Depth=2
	s_or_b32 exec_lo, exec_lo, s40
	v_mul_f32_e32 v0, s29, v0
	v_mov_b32_e32 v76, 0x8000
	s_mov_b32 s40, exec_lo
	v_and_b32_e32 v2, 0x7f800000, v0
	v_cmpx_ne_u32_e32 0x7f800000, v2
	s_cbranch_execz .LBB6_5006
; %bb.4999:                             ;   in Loop: Header=BB6_4858 Depth=2
	v_mov_b32_e32 v76, 0
	s_mov_b32 s41, exec_lo
	v_cmpx_ne_u32_e32 0, v0
	s_cbranch_execz .LBB6_5005
; %bb.5000:                             ;   in Loop: Header=BB6_4858 Depth=2
	v_bfe_u32 v2, v0, 23, 8
	v_and_b32_e32 v3, 0x7fffff, v0
	v_sub_nc_u32_e32 v4, 0x78, v2
	v_cmp_gt_u32_e32 vcc_lo, 0x79, v2
	v_or_b32_e32 v5, 0x800000, v3
	v_cndmask_b32_e32 v4, 0, v4, vcc_lo
	v_cmp_eq_u32_e32 vcc_lo, 0, v2
	v_add_nc_u32_e32 v2, 0xffffff89, v2
	v_cndmask_b32_e64 v4, v4, 0x77, vcc_lo
	v_cndmask_b32_e32 v3, v5, v3, vcc_lo
	v_cndmask_b32_e64 v2, v2, 0xffffff8a, vcc_lo
	v_lshl_add_u32 v5, 0x100000, v4, -1
	v_lshrrev_b32_e32 v6, v4, v3
	v_lshlrev_b32_e64 v8, v4, 0x80000
	v_add_nc_u32_e32 v4, v4, v2
	v_and_b32_e32 v3, v5, v3
	v_bfe_u32 v7, v6, 20, 1
	v_cmp_eq_u32_e64 s12, v3, v8
	v_add_nc_u32_e32 v5, -1, v7
	v_cndmask_b32_e64 v3, 0, v5, s12
	v_lshrrev_b32_e32 v5, 23, v6
	s_mov_b32 s12, exec_lo
	v_add_nc_u32_e32 v3, v3, v6
	v_xor_b32_e32 v5, 1, v5
	v_and_b32_e32 v2, 0xfffff, v3
	v_add_nc_u32_e32 v3, v2, v6
                                        ; implicit-def: $vgpr2
	v_cmpx_ne_u32_e64 v4, v5
	s_xor_b32 s12, exec_lo, s12
; %bb.5001:                             ;   in Loop: Header=BB6_4858 Depth=2
	v_cmp_lt_u32_e32 vcc_lo, 0xffffff, v3
	v_sub_nc_u32_e32 v2, v4, v5
	v_cndmask_b32_e64 v4, 0, 1, vcc_lo
	v_add_co_ci_u32_e64 v2, null, 0, v2, vcc_lo
	v_lshrrev_b32_e32 v3, v4, v3
; %bb.5002:                             ;   in Loop: Header=BB6_4858 Depth=2
	s_andn2_saveexec_b32 s12, s12
; %bb.5003:                             ;   in Loop: Header=BB6_4858 Depth=2
	v_bfe_u32 v2, v3, 23, 1
; %bb.5004:                             ;   in Loop: Header=BB6_4858 Depth=2
	s_or_b32 exec_lo, exec_lo, s12
	v_lshrrev_b32_e32 v3, 20, v3
	v_min_i32_e32 v4, 15, v2
	v_cmp_gt_i32_e32 vcc_lo, 16, v2
	v_and_b32_sdwa v0, v0, v102 dst_sel:DWORD dst_unused:UNUSED_PAD src0_sel:BYTE_3 src1_sel:DWORD
	v_lshlrev_b32_e32 v4, 3, v4
	v_cndmask_b32_e32 v3, 7, v3, vcc_lo
	v_and_b32_e32 v4, 0xf8, v4
	v_and_b32_e32 v5, 7, v3
	v_or_b32_e32 v2, v2, v3
	v_or3_b32 v0, v0, v4, v5
	v_cmp_ne_u32_e32 vcc_lo, 0, v2
	v_lshlrev_b32_e32 v0, 8, v0
	v_cndmask_b32_e32 v76, 0, v0, vcc_lo
.LBB6_5005:                             ;   in Loop: Header=BB6_4858 Depth=2
	s_or_b32 exec_lo, exec_lo, s41
.LBB6_5006:                             ;   in Loop: Header=BB6_4858 Depth=2
	s_or_b32 exec_lo, exec_lo, s40
	v_and_b32_sdwa v2, v12, v113 dst_sel:DWORD dst_unused:UNUSED_PAD src0_sel:WORD_1 src1_sel:DWORD
	s_mov_b32 s12, 0
	s_mov_b32 s40, exec_lo
	v_cmpx_lt_i16_e32 0x7f, v2
	s_xor_b32 s40, exec_lo, s40
	s_cbranch_execz .LBB6_7060
; %bb.5007:                             ;   in Loop: Header=BB6_4858 Depth=2
	s_mov_b32 s12, -1
	s_mov_b32 s41, exec_lo
	v_cmpx_eq_u16_e32 0x80, v2
; %bb.5008:                             ;   in Loop: Header=BB6_4858 Depth=2
	s_xor_b32 s12, exec_lo, -1
; %bb.5009:                             ;   in Loop: Header=BB6_4858 Depth=2
	s_or_b32 exec_lo, exec_lo, s41
	s_and_b32 s12, s12, exec_lo
                                        ; implicit-def: $vgpr2
	s_or_saveexec_b32 s40, s40
	v_mov_b32_e32 v0, 0x7f800001
	s_xor_b32 exec_lo, exec_lo, s40
	s_cbranch_execnz .LBB6_7061
.LBB6_5010:                             ;   in Loop: Header=BB6_4858 Depth=2
	s_or_b32 exec_lo, exec_lo, s40
	s_and_saveexec_b32 s40, s12
	s_cbranch_execz .LBB6_5012
.LBB6_5011:                             ;   in Loop: Header=BB6_4858 Depth=2
	v_bfe_u32 v0, v12, 16, 3
	v_bfe_u32 v4, v12, 19, 4
	v_lshlrev_b32_e32 v5, 8, v12
	v_ffbh_u32_e32 v2, v0
	v_cmp_eq_u32_e32 vcc_lo, 0, v4
	v_min_u32_e32 v2, 32, v2
	v_subrev_nc_u32_e32 v3, 28, v2
	v_sub_nc_u32_e32 v2, 29, v2
	v_lshlrev_b32_sdwa v3, v3, v12 dst_sel:DWORD dst_unused:UNUSED_PAD src0_sel:DWORD src1_sel:WORD_1
	v_cndmask_b32_e32 v2, v4, v2, vcc_lo
	v_and_b32_e32 v3, 7, v3
	v_lshl_add_u32 v2, v2, 23, 0x3b800000
	v_cndmask_b32_e32 v0, v0, v3, vcc_lo
	v_and_b32_e32 v3, 0x80000000, v5
	v_lshlrev_b32_e32 v0, 20, v0
	v_or3_b32 v0, v3, v2, v0
.LBB6_5012:                             ;   in Loop: Header=BB6_4858 Depth=2
	s_or_b32 exec_lo, exec_lo, s40
	v_mul_f32_e32 v0, s29, v0
	v_mov_b32_e32 v90, 0x80
	s_mov_b32 s40, exec_lo
	v_and_b32_e32 v2, 0x7f800000, v0
	v_cmpx_ne_u32_e32 0x7f800000, v2
	s_cbranch_execz .LBB6_5020
; %bb.5013:                             ;   in Loop: Header=BB6_4858 Depth=2
	v_mov_b32_e32 v90, 0
	s_mov_b32 s41, exec_lo
	v_cmpx_ne_u32_e32 0, v0
	s_cbranch_execz .LBB6_5019
; %bb.5014:                             ;   in Loop: Header=BB6_4858 Depth=2
	v_bfe_u32 v2, v0, 23, 8
	v_and_b32_e32 v3, 0x7fffff, v0
	v_sub_nc_u32_e32 v4, 0x78, v2
	v_cmp_gt_u32_e32 vcc_lo, 0x79, v2
	v_or_b32_e32 v5, 0x800000, v3
	v_cndmask_b32_e32 v4, 0, v4, vcc_lo
	v_cmp_eq_u32_e32 vcc_lo, 0, v2
	v_add_nc_u32_e32 v2, 0xffffff89, v2
	v_cndmask_b32_e64 v4, v4, 0x77, vcc_lo
	v_cndmask_b32_e32 v3, v5, v3, vcc_lo
	v_cndmask_b32_e64 v2, v2, 0xffffff8a, vcc_lo
	v_lshl_add_u32 v5, 0x100000, v4, -1
	v_lshrrev_b32_e32 v6, v4, v3
	v_lshlrev_b32_e64 v8, v4, 0x80000
	v_add_nc_u32_e32 v4, v4, v2
	v_and_b32_e32 v3, v5, v3
	v_bfe_u32 v7, v6, 20, 1
	v_cmp_eq_u32_e64 s12, v3, v8
	v_add_nc_u32_e32 v5, -1, v7
	v_cndmask_b32_e64 v3, 0, v5, s12
	v_lshrrev_b32_e32 v5, 23, v6
	s_mov_b32 s12, exec_lo
	v_add_nc_u32_e32 v3, v3, v6
	v_xor_b32_e32 v5, 1, v5
	v_and_b32_e32 v2, 0xfffff, v3
	v_add_nc_u32_e32 v3, v2, v6
                                        ; implicit-def: $vgpr2
	v_cmpx_ne_u32_e64 v4, v5
	s_xor_b32 s12, exec_lo, s12
; %bb.5015:                             ;   in Loop: Header=BB6_4858 Depth=2
	v_cmp_lt_u32_e32 vcc_lo, 0xffffff, v3
	v_sub_nc_u32_e32 v2, v4, v5
	v_cndmask_b32_e64 v4, 0, 1, vcc_lo
	v_add_co_ci_u32_e64 v2, null, 0, v2, vcc_lo
	v_lshrrev_b32_e32 v3, v4, v3
; %bb.5016:                             ;   in Loop: Header=BB6_4858 Depth=2
	s_andn2_saveexec_b32 s12, s12
; %bb.5017:                             ;   in Loop: Header=BB6_4858 Depth=2
	v_bfe_u32 v2, v3, 23, 1
; %bb.5018:                             ;   in Loop: Header=BB6_4858 Depth=2
	s_or_b32 exec_lo, exec_lo, s12
	v_lshrrev_b32_e32 v3, 20, v3
	v_min_i32_e32 v4, 15, v2
	v_cmp_gt_i32_e32 vcc_lo, 16, v2
	v_and_b32_sdwa v0, v0, v102 dst_sel:DWORD dst_unused:UNUSED_PAD src0_sel:BYTE_3 src1_sel:DWORD
	v_lshlrev_b32_e32 v4, 3, v4
	v_cndmask_b32_e32 v3, 7, v3, vcc_lo
	v_and_b32_e32 v4, 0xf8, v4
	v_and_b32_e32 v5, 7, v3
	v_or_b32_e32 v2, v2, v3
	v_or3_b32 v0, v4, v0, v5
	v_cmp_ne_u32_e32 vcc_lo, 0, v2
	v_cndmask_b32_e32 v90, 0, v0, vcc_lo
.LBB6_5019:                             ;   in Loop: Header=BB6_4858 Depth=2
	s_or_b32 exec_lo, exec_lo, s41
.LBB6_5020:                             ;   in Loop: Header=BB6_4858 Depth=2
	s_or_b32 exec_lo, exec_lo, s40
	v_cmp_gt_i16_sdwa s40, v12, v101 src0_sel:BYTE_3 src1_sel:DWORD
	s_mov_b32 s12, 0
	s_and_saveexec_b32 s41, s40
	s_xor_b32 s40, exec_lo, s41
	s_cbranch_execz .LBB6_7062
; %bb.5021:                             ;   in Loop: Header=BB6_4858 Depth=2
	v_cmp_eq_u16_sdwa s42, v12, v102 src0_sel:BYTE_3 src1_sel:DWORD
	s_mov_b32 s12, -1
	s_and_saveexec_b32 s41, s42
; %bb.5022:                             ;   in Loop: Header=BB6_4858 Depth=2
	s_xor_b32 s12, exec_lo, -1
; %bb.5023:                             ;   in Loop: Header=BB6_4858 Depth=2
	s_or_b32 exec_lo, exec_lo, s41
	s_and_b32 s12, s12, exec_lo
	s_or_saveexec_b32 s40, s40
	v_mov_b32_e32 v0, 0x7f800001
	s_xor_b32 exec_lo, exec_lo, s40
	s_cbranch_execnz .LBB6_7063
.LBB6_5024:                             ;   in Loop: Header=BB6_4858 Depth=2
	s_or_b32 exec_lo, exec_lo, s40
	s_and_saveexec_b32 s40, s12
	s_cbranch_execz .LBB6_5026
.LBB6_5025:                             ;   in Loop: Header=BB6_4858 Depth=2
	v_bfe_u32 v0, v12, 24, 3
	v_bfe_u32 v4, v12, 27, 4
	v_ffbh_u32_e32 v2, v0
	v_cmp_eq_u32_e32 vcc_lo, 0, v4
	v_min_u32_e32 v2, 32, v2
	v_subrev_nc_u32_e32 v3, 28, v2
	v_sub_nc_u32_e32 v2, 29, v2
	v_lshlrev_b32_sdwa v3, v3, v12 dst_sel:DWORD dst_unused:UNUSED_PAD src0_sel:DWORD src1_sel:BYTE_3
	v_cndmask_b32_e32 v2, v4, v2, vcc_lo
	v_and_b32_e32 v3, 7, v3
	v_lshl_add_u32 v2, v2, 23, 0x3b800000
	v_cndmask_b32_e32 v0, v0, v3, vcc_lo
	v_and_b32_e32 v3, 0x80000000, v12
	v_lshlrev_b32_e32 v0, 20, v0
	v_or3_b32 v0, v3, v2, v0
.LBB6_5026:                             ;   in Loop: Header=BB6_4858 Depth=2
	s_or_b32 exec_lo, exec_lo, s40
	v_mul_f32_e32 v2, s29, v0
	v_and_b32_e32 v0, 0x7f800000, v2
	v_cmp_ne_u32_e32 vcc_lo, 0x7f800000, v0
	v_mov_b32_e32 v0, 0x8000
	s_and_saveexec_b32 s40, vcc_lo
	s_cbranch_execz .LBB6_5034
; %bb.5027:                             ;   in Loop: Header=BB6_4858 Depth=2
	v_mov_b32_e32 v0, 0
	s_mov_b32 s41, exec_lo
	v_cmpx_ne_u32_e32 0, v2
	s_cbranch_execz .LBB6_5033
; %bb.5028:                             ;   in Loop: Header=BB6_4858 Depth=2
	v_bfe_u32 v0, v2, 23, 8
	v_and_b32_e32 v3, 0x7fffff, v2
	v_sub_nc_u32_e32 v4, 0x78, v0
	v_cmp_gt_u32_e32 vcc_lo, 0x79, v0
	v_or_b32_e32 v5, 0x800000, v3
	v_cndmask_b32_e32 v4, 0, v4, vcc_lo
	v_cmp_eq_u32_e32 vcc_lo, 0, v0
	v_add_nc_u32_e32 v0, 0xffffff89, v0
	v_cndmask_b32_e64 v4, v4, 0x77, vcc_lo
	v_cndmask_b32_e32 v3, v5, v3, vcc_lo
	v_cndmask_b32_e64 v0, v0, 0xffffff8a, vcc_lo
	v_lshl_add_u32 v5, 0x100000, v4, -1
	v_lshrrev_b32_e32 v6, v4, v3
	v_lshlrev_b32_e64 v8, v4, 0x80000
	v_add_nc_u32_e32 v4, v4, v0
	v_and_b32_e32 v3, v5, v3
	v_bfe_u32 v7, v6, 20, 1
	v_cmp_eq_u32_e64 s12, v3, v8
	v_add_nc_u32_e32 v5, -1, v7
	v_cndmask_b32_e64 v3, 0, v5, s12
	v_lshrrev_b32_e32 v5, 23, v6
	s_mov_b32 s12, exec_lo
	v_add_nc_u32_e32 v3, v3, v6
	v_xor_b32_e32 v5, 1, v5
	v_and_b32_e32 v0, 0xfffff, v3
	v_add_nc_u32_e32 v3, v0, v6
                                        ; implicit-def: $vgpr0
	v_cmpx_ne_u32_e64 v4, v5
	s_xor_b32 s12, exec_lo, s12
; %bb.5029:                             ;   in Loop: Header=BB6_4858 Depth=2
	v_cmp_lt_u32_e32 vcc_lo, 0xffffff, v3
	v_sub_nc_u32_e32 v0, v4, v5
	v_cndmask_b32_e64 v4, 0, 1, vcc_lo
	v_add_co_ci_u32_e64 v0, null, 0, v0, vcc_lo
	v_lshrrev_b32_e32 v3, v4, v3
; %bb.5030:                             ;   in Loop: Header=BB6_4858 Depth=2
	s_andn2_saveexec_b32 s12, s12
; %bb.5031:                             ;   in Loop: Header=BB6_4858 Depth=2
	v_bfe_u32 v0, v3, 23, 1
; %bb.5032:                             ;   in Loop: Header=BB6_4858 Depth=2
	s_or_b32 exec_lo, exec_lo, s12
	v_lshrrev_b32_e32 v3, 20, v3
	v_min_i32_e32 v4, 15, v0
	v_cmp_gt_i32_e32 vcc_lo, 16, v0
	v_and_b32_sdwa v2, v2, v102 dst_sel:DWORD dst_unused:UNUSED_PAD src0_sel:BYTE_3 src1_sel:DWORD
	v_lshlrev_b32_e32 v4, 3, v4
	v_cndmask_b32_e32 v3, 7, v3, vcc_lo
	v_and_b32_e32 v4, 0xf8, v4
	v_and_b32_e32 v5, 7, v3
	v_or_b32_e32 v0, v0, v3
	v_or3_b32 v2, v2, v4, v5
	v_cmp_ne_u32_e32 vcc_lo, 0, v0
	v_lshlrev_b32_e32 v2, 8, v2
	v_cndmask_b32_e32 v0, 0, v2, vcc_lo
.LBB6_5033:                             ;   in Loop: Header=BB6_4858 Depth=2
	s_or_b32 exec_lo, exec_lo, s41
.LBB6_5034:                             ;   in Loop: Header=BB6_4858 Depth=2
	s_or_b32 exec_lo, exec_lo, s40
	v_cmp_gt_i16_sdwa s40, v13, v101 src0_sel:BYTE_0 src1_sel:DWORD
	s_mov_b32 s12, 0
	s_and_saveexec_b32 s41, s40
	s_xor_b32 s40, exec_lo, s41
	s_cbranch_execz .LBB6_7064
; %bb.5035:                             ;   in Loop: Header=BB6_4858 Depth=2
	v_cmp_eq_u16_sdwa s42, v13, v102 src0_sel:BYTE_0 src1_sel:DWORD
	s_mov_b32 s12, -1
	s_and_saveexec_b32 s41, s42
; %bb.5036:                             ;   in Loop: Header=BB6_4858 Depth=2
	s_xor_b32 s12, exec_lo, -1
; %bb.5037:                             ;   in Loop: Header=BB6_4858 Depth=2
	s_or_b32 exec_lo, exec_lo, s41
	s_and_b32 s12, s12, exec_lo
	s_or_saveexec_b32 s40, s40
	v_mov_b32_e32 v2, 0x7f800001
	s_xor_b32 exec_lo, exec_lo, s40
	s_cbranch_execnz .LBB6_7065
.LBB6_5038:                             ;   in Loop: Header=BB6_4858 Depth=2
	s_or_b32 exec_lo, exec_lo, s40
	s_and_saveexec_b32 s40, s12
	s_cbranch_execz .LBB6_5040
.LBB6_5039:                             ;   in Loop: Header=BB6_4858 Depth=2
	v_and_b32_e32 v2, 7, v13
	v_bfe_u32 v5, v13, 3, 4
	v_lshlrev_b32_e32 v6, 24, v13
	v_ffbh_u32_e32 v3, v2
	v_cmp_eq_u32_e32 vcc_lo, 0, v5
	v_min_u32_e32 v3, 32, v3
	v_subrev_nc_u32_e32 v4, 28, v3
	v_sub_nc_u32_e32 v3, 29, v3
	v_lshlrev_b32_e32 v4, v4, v13
	v_cndmask_b32_e32 v3, v5, v3, vcc_lo
	v_and_b32_e32 v4, 7, v4
	v_lshl_add_u32 v3, v3, 23, 0x3b800000
	v_cndmask_b32_e32 v2, v2, v4, vcc_lo
	v_and_b32_e32 v4, 0x80000000, v6
	v_lshlrev_b32_e32 v2, 20, v2
	v_or3_b32 v2, v4, v3, v2
.LBB6_5040:                             ;   in Loop: Header=BB6_4858 Depth=2
	s_or_b32 exec_lo, exec_lo, s40
	v_mul_f32_e32 v2, s29, v2
	v_mov_b32_e32 v26, 0x80
	s_mov_b32 s40, exec_lo
	v_and_b32_e32 v3, 0x7f800000, v2
	v_cmpx_ne_u32_e32 0x7f800000, v3
	s_cbranch_execz .LBB6_5048
; %bb.5041:                             ;   in Loop: Header=BB6_4858 Depth=2
	v_mov_b32_e32 v26, 0
	s_mov_b32 s41, exec_lo
	v_cmpx_ne_u32_e32 0, v2
	s_cbranch_execz .LBB6_5047
; %bb.5042:                             ;   in Loop: Header=BB6_4858 Depth=2
	v_bfe_u32 v3, v2, 23, 8
	v_and_b32_e32 v4, 0x7fffff, v2
	v_sub_nc_u32_e32 v5, 0x78, v3
	v_cmp_gt_u32_e32 vcc_lo, 0x79, v3
	v_or_b32_e32 v6, 0x800000, v4
	v_cndmask_b32_e32 v5, 0, v5, vcc_lo
	v_cmp_eq_u32_e32 vcc_lo, 0, v3
	v_add_nc_u32_e32 v3, 0xffffff89, v3
	v_cndmask_b32_e64 v5, v5, 0x77, vcc_lo
	v_cndmask_b32_e32 v4, v6, v4, vcc_lo
	v_cndmask_b32_e64 v3, v3, 0xffffff8a, vcc_lo
	v_lshl_add_u32 v6, 0x100000, v5, -1
	v_lshrrev_b32_e32 v7, v5, v4
	v_lshlrev_b32_e64 v9, v5, 0x80000
	v_add_nc_u32_e32 v5, v5, v3
	v_and_b32_e32 v4, v6, v4
	v_bfe_u32 v8, v7, 20, 1
	v_cmp_eq_u32_e64 s12, v4, v9
	v_add_nc_u32_e32 v6, -1, v8
	v_cndmask_b32_e64 v4, 0, v6, s12
	v_lshrrev_b32_e32 v6, 23, v7
	s_mov_b32 s12, exec_lo
	v_add_nc_u32_e32 v4, v4, v7
	v_xor_b32_e32 v6, 1, v6
	v_and_b32_e32 v3, 0xfffff, v4
	v_add_nc_u32_e32 v4, v3, v7
                                        ; implicit-def: $vgpr3
	v_cmpx_ne_u32_e64 v5, v6
	s_xor_b32 s12, exec_lo, s12
; %bb.5043:                             ;   in Loop: Header=BB6_4858 Depth=2
	v_cmp_lt_u32_e32 vcc_lo, 0xffffff, v4
	v_sub_nc_u32_e32 v3, v5, v6
	v_cndmask_b32_e64 v5, 0, 1, vcc_lo
	v_add_co_ci_u32_e64 v3, null, 0, v3, vcc_lo
	v_lshrrev_b32_e32 v4, v5, v4
; %bb.5044:                             ;   in Loop: Header=BB6_4858 Depth=2
	s_andn2_saveexec_b32 s12, s12
; %bb.5045:                             ;   in Loop: Header=BB6_4858 Depth=2
	v_bfe_u32 v3, v4, 23, 1
; %bb.5046:                             ;   in Loop: Header=BB6_4858 Depth=2
	s_or_b32 exec_lo, exec_lo, s12
	v_lshrrev_b32_e32 v4, 20, v4
	v_min_i32_e32 v5, 15, v3
	v_cmp_gt_i32_e32 vcc_lo, 16, v3
	v_and_b32_sdwa v2, v2, v102 dst_sel:DWORD dst_unused:UNUSED_PAD src0_sel:BYTE_3 src1_sel:DWORD
	v_lshlrev_b32_e32 v5, 3, v5
	v_cndmask_b32_e32 v4, 7, v4, vcc_lo
	v_and_b32_e32 v5, 0xf8, v5
	v_and_b32_e32 v6, 7, v4
	v_or_b32_e32 v3, v3, v4
	v_or3_b32 v2, v5, v2, v6
	v_cmp_ne_u32_e32 vcc_lo, 0, v3
	v_cndmask_b32_e32 v26, 0, v2, vcc_lo
.LBB6_5047:                             ;   in Loop: Header=BB6_4858 Depth=2
	s_or_b32 exec_lo, exec_lo, s41
.LBB6_5048:                             ;   in Loop: Header=BB6_4858 Depth=2
	s_or_b32 exec_lo, exec_lo, s40
	v_cmp_gt_i16_sdwa s40, v13, v101 src0_sel:BYTE_1 src1_sel:DWORD
	s_mov_b32 s12, 0
	s_and_saveexec_b32 s41, s40
	s_xor_b32 s40, exec_lo, s41
	s_cbranch_execz .LBB6_7066
; %bb.5049:                             ;   in Loop: Header=BB6_4858 Depth=2
	v_cmp_eq_u16_sdwa s42, v13, v102 src0_sel:BYTE_1 src1_sel:DWORD
	s_mov_b32 s12, -1
	s_and_saveexec_b32 s41, s42
; %bb.5050:                             ;   in Loop: Header=BB6_4858 Depth=2
	s_xor_b32 s12, exec_lo, -1
; %bb.5051:                             ;   in Loop: Header=BB6_4858 Depth=2
	s_or_b32 exec_lo, exec_lo, s41
	s_and_b32 s12, s12, exec_lo
	s_or_saveexec_b32 s40, s40
	v_mov_b32_e32 v2, 0x7f800001
	s_xor_b32 exec_lo, exec_lo, s40
	s_cbranch_execnz .LBB6_7067
.LBB6_5052:                             ;   in Loop: Header=BB6_4858 Depth=2
	s_or_b32 exec_lo, exec_lo, s40
	s_and_saveexec_b32 s40, s12
	s_cbranch_execz .LBB6_5054
.LBB6_5053:                             ;   in Loop: Header=BB6_4858 Depth=2
	v_and_b32_sdwa v2, v103, v13 dst_sel:DWORD dst_unused:UNUSED_PAD src0_sel:DWORD src1_sel:BYTE_1
	v_and_b32_e32 v3, 7, v2
	v_bfe_u32 v6, v2, 3, 4
	v_ffbh_u32_e32 v4, v3
	v_cmp_eq_u32_e32 vcc_lo, 0, v6
	v_min_u32_e32 v4, 32, v4
	v_subrev_nc_u32_e32 v5, 28, v4
	v_sub_nc_u32_e32 v4, 29, v4
	v_lshlrev_b32_e32 v2, v5, v2
	v_lshlrev_b32_sdwa v5, v112, v13 dst_sel:DWORD dst_unused:UNUSED_PAD src0_sel:DWORD src1_sel:BYTE_1
	v_cndmask_b32_e32 v4, v6, v4, vcc_lo
	v_and_b32_e32 v2, 7, v2
	v_lshl_add_u32 v4, v4, 23, 0x3b800000
	v_cndmask_b32_e32 v2, v3, v2, vcc_lo
	v_and_b32_e32 v3, 0x80000000, v5
	v_lshlrev_b32_e32 v2, 20, v2
	v_or3_b32 v2, v3, v4, v2
.LBB6_5054:                             ;   in Loop: Header=BB6_4858 Depth=2
	s_or_b32 exec_lo, exec_lo, s40
	v_mul_f32_e32 v2, s29, v2
	v_mov_b32_e32 v27, 0x8000
	s_mov_b32 s40, exec_lo
	v_and_b32_e32 v3, 0x7f800000, v2
	v_cmpx_ne_u32_e32 0x7f800000, v3
	s_cbranch_execz .LBB6_5062
; %bb.5055:                             ;   in Loop: Header=BB6_4858 Depth=2
	v_mov_b32_e32 v27, 0
	s_mov_b32 s41, exec_lo
	v_cmpx_ne_u32_e32 0, v2
	s_cbranch_execz .LBB6_5061
; %bb.5056:                             ;   in Loop: Header=BB6_4858 Depth=2
	v_bfe_u32 v3, v2, 23, 8
	v_and_b32_e32 v4, 0x7fffff, v2
	v_sub_nc_u32_e32 v5, 0x78, v3
	v_cmp_gt_u32_e32 vcc_lo, 0x79, v3
	v_or_b32_e32 v6, 0x800000, v4
	v_cndmask_b32_e32 v5, 0, v5, vcc_lo
	v_cmp_eq_u32_e32 vcc_lo, 0, v3
	v_add_nc_u32_e32 v3, 0xffffff89, v3
	v_cndmask_b32_e64 v5, v5, 0x77, vcc_lo
	v_cndmask_b32_e32 v4, v6, v4, vcc_lo
	v_cndmask_b32_e64 v3, v3, 0xffffff8a, vcc_lo
	v_lshl_add_u32 v6, 0x100000, v5, -1
	v_lshrrev_b32_e32 v7, v5, v4
	v_lshlrev_b32_e64 v9, v5, 0x80000
	v_add_nc_u32_e32 v5, v5, v3
	v_and_b32_e32 v4, v6, v4
	v_bfe_u32 v8, v7, 20, 1
	v_cmp_eq_u32_e64 s12, v4, v9
	v_add_nc_u32_e32 v6, -1, v8
	v_cndmask_b32_e64 v4, 0, v6, s12
	v_lshrrev_b32_e32 v6, 23, v7
	s_mov_b32 s12, exec_lo
	v_add_nc_u32_e32 v4, v4, v7
	v_xor_b32_e32 v6, 1, v6
	v_and_b32_e32 v3, 0xfffff, v4
	v_add_nc_u32_e32 v4, v3, v7
                                        ; implicit-def: $vgpr3
	v_cmpx_ne_u32_e64 v5, v6
	s_xor_b32 s12, exec_lo, s12
; %bb.5057:                             ;   in Loop: Header=BB6_4858 Depth=2
	v_cmp_lt_u32_e32 vcc_lo, 0xffffff, v4
	v_sub_nc_u32_e32 v3, v5, v6
	v_cndmask_b32_e64 v5, 0, 1, vcc_lo
	v_add_co_ci_u32_e64 v3, null, 0, v3, vcc_lo
	v_lshrrev_b32_e32 v4, v5, v4
; %bb.5058:                             ;   in Loop: Header=BB6_4858 Depth=2
	s_andn2_saveexec_b32 s12, s12
; %bb.5059:                             ;   in Loop: Header=BB6_4858 Depth=2
	v_bfe_u32 v3, v4, 23, 1
; %bb.5060:                             ;   in Loop: Header=BB6_4858 Depth=2
	s_or_b32 exec_lo, exec_lo, s12
	v_lshrrev_b32_e32 v4, 20, v4
	v_min_i32_e32 v5, 15, v3
	v_cmp_gt_i32_e32 vcc_lo, 16, v3
	v_and_b32_sdwa v2, v2, v102 dst_sel:DWORD dst_unused:UNUSED_PAD src0_sel:BYTE_3 src1_sel:DWORD
	v_lshlrev_b32_e32 v5, 3, v5
	v_cndmask_b32_e32 v4, 7, v4, vcc_lo
	v_and_b32_e32 v5, 0xf8, v5
	v_and_b32_e32 v6, 7, v4
	v_or_b32_e32 v3, v3, v4
	v_or3_b32 v2, v2, v5, v6
	v_cmp_ne_u32_e32 vcc_lo, 0, v3
	v_lshlrev_b32_e32 v2, 8, v2
	v_cndmask_b32_e32 v27, 0, v2, vcc_lo
.LBB6_5061:                             ;   in Loop: Header=BB6_4858 Depth=2
	s_or_b32 exec_lo, exec_lo, s41
.LBB6_5062:                             ;   in Loop: Header=BB6_4858 Depth=2
	s_or_b32 exec_lo, exec_lo, s40
	v_and_b32_sdwa v3, v13, v113 dst_sel:DWORD dst_unused:UNUSED_PAD src0_sel:WORD_1 src1_sel:DWORD
	s_mov_b32 s12, 0
	s_mov_b32 s40, exec_lo
	v_cmpx_lt_i16_e32 0x7f, v3
	s_xor_b32 s40, exec_lo, s40
	s_cbranch_execz .LBB6_7068
; %bb.5063:                             ;   in Loop: Header=BB6_4858 Depth=2
	s_mov_b32 s12, -1
	s_mov_b32 s41, exec_lo
	v_cmpx_eq_u16_e32 0x80, v3
; %bb.5064:                             ;   in Loop: Header=BB6_4858 Depth=2
	s_xor_b32 s12, exec_lo, -1
; %bb.5065:                             ;   in Loop: Header=BB6_4858 Depth=2
	s_or_b32 exec_lo, exec_lo, s41
	s_and_b32 s12, s12, exec_lo
                                        ; implicit-def: $vgpr3
	s_or_saveexec_b32 s40, s40
	v_mov_b32_e32 v2, 0x7f800001
	s_xor_b32 exec_lo, exec_lo, s40
	s_cbranch_execnz .LBB6_7069
.LBB6_5066:                             ;   in Loop: Header=BB6_4858 Depth=2
	s_or_b32 exec_lo, exec_lo, s40
	s_and_saveexec_b32 s40, s12
	s_cbranch_execz .LBB6_5068
.LBB6_5067:                             ;   in Loop: Header=BB6_4858 Depth=2
	v_bfe_u32 v2, v13, 16, 3
	v_bfe_u32 v5, v13, 19, 4
	v_lshlrev_b32_e32 v6, 8, v13
	v_ffbh_u32_e32 v3, v2
	v_cmp_eq_u32_e32 vcc_lo, 0, v5
	v_min_u32_e32 v3, 32, v3
	v_subrev_nc_u32_e32 v4, 28, v3
	v_sub_nc_u32_e32 v3, 29, v3
	v_lshlrev_b32_sdwa v4, v4, v13 dst_sel:DWORD dst_unused:UNUSED_PAD src0_sel:DWORD src1_sel:WORD_1
	v_cndmask_b32_e32 v3, v5, v3, vcc_lo
	v_and_b32_e32 v4, 7, v4
	v_lshl_add_u32 v3, v3, 23, 0x3b800000
	v_cndmask_b32_e32 v2, v2, v4, vcc_lo
	v_and_b32_e32 v4, 0x80000000, v6
	v_lshlrev_b32_e32 v2, 20, v2
	v_or3_b32 v2, v4, v3, v2
.LBB6_5068:                             ;   in Loop: Header=BB6_4858 Depth=2
	s_or_b32 exec_lo, exec_lo, s40
	v_mul_f32_e32 v2, s29, v2
	v_mov_b32_e32 v110, 0x80
	s_mov_b32 s40, exec_lo
	v_and_b32_e32 v3, 0x7f800000, v2
	v_cmpx_ne_u32_e32 0x7f800000, v3
	s_cbranch_execz .LBB6_5076
; %bb.5069:                             ;   in Loop: Header=BB6_4858 Depth=2
	v_mov_b32_e32 v110, 0
	s_mov_b32 s41, exec_lo
	v_cmpx_ne_u32_e32 0, v2
	s_cbranch_execz .LBB6_5075
; %bb.5070:                             ;   in Loop: Header=BB6_4858 Depth=2
	v_bfe_u32 v3, v2, 23, 8
	v_and_b32_e32 v4, 0x7fffff, v2
	v_sub_nc_u32_e32 v5, 0x78, v3
	v_cmp_gt_u32_e32 vcc_lo, 0x79, v3
	v_or_b32_e32 v6, 0x800000, v4
	v_cndmask_b32_e32 v5, 0, v5, vcc_lo
	v_cmp_eq_u32_e32 vcc_lo, 0, v3
	v_add_nc_u32_e32 v3, 0xffffff89, v3
	v_cndmask_b32_e64 v5, v5, 0x77, vcc_lo
	v_cndmask_b32_e32 v4, v6, v4, vcc_lo
	v_cndmask_b32_e64 v3, v3, 0xffffff8a, vcc_lo
	v_lshl_add_u32 v6, 0x100000, v5, -1
	v_lshrrev_b32_e32 v7, v5, v4
	v_lshlrev_b32_e64 v9, v5, 0x80000
	v_add_nc_u32_e32 v5, v5, v3
	v_and_b32_e32 v4, v6, v4
	v_bfe_u32 v8, v7, 20, 1
	v_cmp_eq_u32_e64 s12, v4, v9
	v_add_nc_u32_e32 v6, -1, v8
	v_cndmask_b32_e64 v4, 0, v6, s12
	v_lshrrev_b32_e32 v6, 23, v7
	s_mov_b32 s12, exec_lo
	v_add_nc_u32_e32 v4, v4, v7
	v_xor_b32_e32 v6, 1, v6
	v_and_b32_e32 v3, 0xfffff, v4
	v_add_nc_u32_e32 v4, v3, v7
                                        ; implicit-def: $vgpr3
	v_cmpx_ne_u32_e64 v5, v6
	s_xor_b32 s12, exec_lo, s12
; %bb.5071:                             ;   in Loop: Header=BB6_4858 Depth=2
	v_cmp_lt_u32_e32 vcc_lo, 0xffffff, v4
	v_sub_nc_u32_e32 v3, v5, v6
	v_cndmask_b32_e64 v5, 0, 1, vcc_lo
	v_add_co_ci_u32_e64 v3, null, 0, v3, vcc_lo
	v_lshrrev_b32_e32 v4, v5, v4
; %bb.5072:                             ;   in Loop: Header=BB6_4858 Depth=2
	s_andn2_saveexec_b32 s12, s12
; %bb.5073:                             ;   in Loop: Header=BB6_4858 Depth=2
	v_bfe_u32 v3, v4, 23, 1
; %bb.5074:                             ;   in Loop: Header=BB6_4858 Depth=2
	s_or_b32 exec_lo, exec_lo, s12
	v_lshrrev_b32_e32 v4, 20, v4
	v_min_i32_e32 v5, 15, v3
	v_cmp_gt_i32_e32 vcc_lo, 16, v3
	v_and_b32_sdwa v2, v2, v102 dst_sel:DWORD dst_unused:UNUSED_PAD src0_sel:BYTE_3 src1_sel:DWORD
	v_lshlrev_b32_e32 v5, 3, v5
	v_cndmask_b32_e32 v4, 7, v4, vcc_lo
	v_and_b32_e32 v5, 0xf8, v5
	v_and_b32_e32 v6, 7, v4
	v_or_b32_e32 v3, v3, v4
	v_or3_b32 v2, v5, v2, v6
	v_cmp_ne_u32_e32 vcc_lo, 0, v3
	v_cndmask_b32_e32 v110, 0, v2, vcc_lo
.LBB6_5075:                             ;   in Loop: Header=BB6_4858 Depth=2
	s_or_b32 exec_lo, exec_lo, s41
.LBB6_5076:                             ;   in Loop: Header=BB6_4858 Depth=2
	s_or_b32 exec_lo, exec_lo, s40
	v_cmp_gt_i16_sdwa s40, v13, v101 src0_sel:BYTE_3 src1_sel:DWORD
	s_mov_b32 s12, 0
	s_and_saveexec_b32 s41, s40
	s_xor_b32 s40, exec_lo, s41
	s_cbranch_execz .LBB6_7070
; %bb.5077:                             ;   in Loop: Header=BB6_4858 Depth=2
	v_cmp_eq_u16_sdwa s42, v13, v102 src0_sel:BYTE_3 src1_sel:DWORD
	s_mov_b32 s12, -1
	s_and_saveexec_b32 s41, s42
; %bb.5078:                             ;   in Loop: Header=BB6_4858 Depth=2
	s_xor_b32 s12, exec_lo, -1
; %bb.5079:                             ;   in Loop: Header=BB6_4858 Depth=2
	s_or_b32 exec_lo, exec_lo, s41
	s_and_b32 s12, s12, exec_lo
	s_or_saveexec_b32 s40, s40
	v_mov_b32_e32 v2, 0x7f800001
	s_xor_b32 exec_lo, exec_lo, s40
	s_cbranch_execnz .LBB6_7071
.LBB6_5080:                             ;   in Loop: Header=BB6_4858 Depth=2
	s_or_b32 exec_lo, exec_lo, s40
	s_and_saveexec_b32 s40, s12
	s_cbranch_execz .LBB6_5082
.LBB6_5081:                             ;   in Loop: Header=BB6_4858 Depth=2
	v_bfe_u32 v2, v13, 24, 3
	v_bfe_u32 v5, v13, 27, 4
	v_ffbh_u32_e32 v3, v2
	v_cmp_eq_u32_e32 vcc_lo, 0, v5
	v_min_u32_e32 v3, 32, v3
	v_subrev_nc_u32_e32 v4, 28, v3
	v_sub_nc_u32_e32 v3, 29, v3
	v_lshlrev_b32_sdwa v4, v4, v13 dst_sel:DWORD dst_unused:UNUSED_PAD src0_sel:DWORD src1_sel:BYTE_3
	v_cndmask_b32_e32 v3, v5, v3, vcc_lo
	v_and_b32_e32 v4, 7, v4
	v_lshl_add_u32 v3, v3, 23, 0x3b800000
	v_cndmask_b32_e32 v2, v2, v4, vcc_lo
	v_and_b32_e32 v4, 0x80000000, v13
	v_lshlrev_b32_e32 v2, 20, v2
	v_or3_b32 v2, v4, v3, v2
.LBB6_5082:                             ;   in Loop: Header=BB6_4858 Depth=2
	s_or_b32 exec_lo, exec_lo, s40
	v_mul_f32_e32 v2, s29, v2
	v_mov_b32_e32 v83, 0x8000
	s_mov_b32 s40, exec_lo
	v_and_b32_e32 v3, 0x7f800000, v2
	v_cmpx_ne_u32_e32 0x7f800000, v3
	s_cbranch_execz .LBB6_5090
; %bb.5083:                             ;   in Loop: Header=BB6_4858 Depth=2
	v_mov_b32_e32 v83, 0
	s_mov_b32 s41, exec_lo
	v_cmpx_ne_u32_e32 0, v2
	s_cbranch_execz .LBB6_5089
; %bb.5084:                             ;   in Loop: Header=BB6_4858 Depth=2
	v_bfe_u32 v3, v2, 23, 8
	v_and_b32_e32 v4, 0x7fffff, v2
	v_sub_nc_u32_e32 v5, 0x78, v3
	v_cmp_gt_u32_e32 vcc_lo, 0x79, v3
	v_or_b32_e32 v6, 0x800000, v4
	v_cndmask_b32_e32 v5, 0, v5, vcc_lo
	v_cmp_eq_u32_e32 vcc_lo, 0, v3
	v_add_nc_u32_e32 v3, 0xffffff89, v3
	v_cndmask_b32_e64 v5, v5, 0x77, vcc_lo
	v_cndmask_b32_e32 v4, v6, v4, vcc_lo
	v_cndmask_b32_e64 v3, v3, 0xffffff8a, vcc_lo
	v_lshl_add_u32 v6, 0x100000, v5, -1
	v_lshrrev_b32_e32 v7, v5, v4
	v_lshlrev_b32_e64 v9, v5, 0x80000
	v_add_nc_u32_e32 v5, v5, v3
	v_and_b32_e32 v4, v6, v4
	v_bfe_u32 v8, v7, 20, 1
	v_cmp_eq_u32_e64 s12, v4, v9
	v_add_nc_u32_e32 v6, -1, v8
	v_cndmask_b32_e64 v4, 0, v6, s12
	v_lshrrev_b32_e32 v6, 23, v7
	s_mov_b32 s12, exec_lo
	v_add_nc_u32_e32 v4, v4, v7
	v_xor_b32_e32 v6, 1, v6
	v_and_b32_e32 v3, 0xfffff, v4
	v_add_nc_u32_e32 v4, v3, v7
                                        ; implicit-def: $vgpr3
	v_cmpx_ne_u32_e64 v5, v6
	s_xor_b32 s12, exec_lo, s12
; %bb.5085:                             ;   in Loop: Header=BB6_4858 Depth=2
	v_cmp_lt_u32_e32 vcc_lo, 0xffffff, v4
	v_sub_nc_u32_e32 v3, v5, v6
	v_cndmask_b32_e64 v5, 0, 1, vcc_lo
	v_add_co_ci_u32_e64 v3, null, 0, v3, vcc_lo
	v_lshrrev_b32_e32 v4, v5, v4
; %bb.5086:                             ;   in Loop: Header=BB6_4858 Depth=2
	s_andn2_saveexec_b32 s12, s12
; %bb.5087:                             ;   in Loop: Header=BB6_4858 Depth=2
	v_bfe_u32 v3, v4, 23, 1
; %bb.5088:                             ;   in Loop: Header=BB6_4858 Depth=2
	s_or_b32 exec_lo, exec_lo, s12
	v_lshrrev_b32_e32 v4, 20, v4
	v_min_i32_e32 v5, 15, v3
	v_cmp_gt_i32_e32 vcc_lo, 16, v3
	v_and_b32_sdwa v2, v2, v102 dst_sel:DWORD dst_unused:UNUSED_PAD src0_sel:BYTE_3 src1_sel:DWORD
	v_lshlrev_b32_e32 v5, 3, v5
	v_cndmask_b32_e32 v4, 7, v4, vcc_lo
	v_and_b32_e32 v5, 0xf8, v5
	v_and_b32_e32 v6, 7, v4
	v_or_b32_e32 v3, v3, v4
	v_or3_b32 v2, v2, v5, v6
	v_cmp_ne_u32_e32 vcc_lo, 0, v3
	v_lshlrev_b32_e32 v2, 8, v2
	v_cndmask_b32_e32 v83, 0, v2, vcc_lo
.LBB6_5089:                             ;   in Loop: Header=BB6_4858 Depth=2
	s_or_b32 exec_lo, exec_lo, s41
.LBB6_5090:                             ;   in Loop: Header=BB6_4858 Depth=2
	s_or_b32 exec_lo, exec_lo, s40
	global_load_dwordx4 v[10:13], v[68:69], off offset:512 slc
	s_mov_b32 s12, 0
	s_waitcnt vmcnt(0)
	v_cmp_gt_i16_sdwa s40, v10, v101 src0_sel:BYTE_0 src1_sel:DWORD
	s_and_saveexec_b32 s41, s40
	s_xor_b32 s40, exec_lo, s41
	s_cbranch_execz .LBB6_7072
; %bb.5091:                             ;   in Loop: Header=BB6_4858 Depth=2
	v_cmp_eq_u16_sdwa s42, v10, v102 src0_sel:BYTE_0 src1_sel:DWORD
	s_mov_b32 s12, -1
	s_and_saveexec_b32 s41, s42
; %bb.5092:                             ;   in Loop: Header=BB6_4858 Depth=2
	s_xor_b32 s12, exec_lo, -1
; %bb.5093:                             ;   in Loop: Header=BB6_4858 Depth=2
	s_or_b32 exec_lo, exec_lo, s41
	s_and_b32 s12, s12, exec_lo
	s_or_saveexec_b32 s40, s40
	v_mov_b32_e32 v2, 0x7f800001
	s_xor_b32 exec_lo, exec_lo, s40
	s_cbranch_execnz .LBB6_7073
.LBB6_5094:                             ;   in Loop: Header=BB6_4858 Depth=2
	s_or_b32 exec_lo, exec_lo, s40
	s_and_saveexec_b32 s40, s12
	s_cbranch_execz .LBB6_5096
.LBB6_5095:                             ;   in Loop: Header=BB6_4858 Depth=2
	v_and_b32_e32 v2, 7, v10
	v_bfe_u32 v5, v10, 3, 4
	v_lshlrev_b32_e32 v6, 24, v10
	v_ffbh_u32_e32 v3, v2
	v_cmp_eq_u32_e32 vcc_lo, 0, v5
	v_min_u32_e32 v3, 32, v3
	v_subrev_nc_u32_e32 v4, 28, v3
	v_sub_nc_u32_e32 v3, 29, v3
	v_lshlrev_b32_e32 v4, v4, v10
	v_cndmask_b32_e32 v3, v5, v3, vcc_lo
	v_and_b32_e32 v4, 7, v4
	v_lshl_add_u32 v3, v3, 23, 0x3b800000
	v_cndmask_b32_e32 v2, v2, v4, vcc_lo
	v_and_b32_e32 v4, 0x80000000, v6
	v_lshlrev_b32_e32 v2, 20, v2
	v_or3_b32 v2, v4, v3, v2
.LBB6_5096:                             ;   in Loop: Header=BB6_4858 Depth=2
	s_or_b32 exec_lo, exec_lo, s40
	v_mul_f32_e32 v2, s29, v2
	v_mov_b32_e32 v120, 0x80
	s_mov_b32 s40, exec_lo
	v_and_b32_e32 v3, 0x7f800000, v2
	v_cmpx_ne_u32_e32 0x7f800000, v3
	s_cbranch_execz .LBB6_5104
; %bb.5097:                             ;   in Loop: Header=BB6_4858 Depth=2
	v_mov_b32_e32 v120, 0
	s_mov_b32 s41, exec_lo
	v_cmpx_ne_u32_e32 0, v2
	s_cbranch_execz .LBB6_5103
; %bb.5098:                             ;   in Loop: Header=BB6_4858 Depth=2
	v_bfe_u32 v3, v2, 23, 8
	v_and_b32_e32 v4, 0x7fffff, v2
	v_sub_nc_u32_e32 v5, 0x78, v3
	v_cmp_gt_u32_e32 vcc_lo, 0x79, v3
	v_or_b32_e32 v6, 0x800000, v4
	v_cndmask_b32_e32 v5, 0, v5, vcc_lo
	v_cmp_eq_u32_e32 vcc_lo, 0, v3
	v_add_nc_u32_e32 v3, 0xffffff89, v3
	v_cndmask_b32_e64 v5, v5, 0x77, vcc_lo
	v_cndmask_b32_e32 v4, v6, v4, vcc_lo
	v_cndmask_b32_e64 v3, v3, 0xffffff8a, vcc_lo
	v_lshl_add_u32 v6, 0x100000, v5, -1
	v_lshrrev_b32_e32 v7, v5, v4
	v_lshlrev_b32_e64 v9, v5, 0x80000
	v_add_nc_u32_e32 v5, v5, v3
	v_and_b32_e32 v4, v6, v4
	v_bfe_u32 v8, v7, 20, 1
	v_cmp_eq_u32_e64 s12, v4, v9
	v_add_nc_u32_e32 v6, -1, v8
	v_cndmask_b32_e64 v4, 0, v6, s12
	v_lshrrev_b32_e32 v6, 23, v7
	s_mov_b32 s12, exec_lo
	v_add_nc_u32_e32 v4, v4, v7
	v_xor_b32_e32 v6, 1, v6
	v_and_b32_e32 v3, 0xfffff, v4
	v_add_nc_u32_e32 v4, v3, v7
                                        ; implicit-def: $vgpr3
	v_cmpx_ne_u32_e64 v5, v6
	s_xor_b32 s12, exec_lo, s12
; %bb.5099:                             ;   in Loop: Header=BB6_4858 Depth=2
	v_cmp_lt_u32_e32 vcc_lo, 0xffffff, v4
	v_sub_nc_u32_e32 v3, v5, v6
	v_cndmask_b32_e64 v5, 0, 1, vcc_lo
	v_add_co_ci_u32_e64 v3, null, 0, v3, vcc_lo
	v_lshrrev_b32_e32 v4, v5, v4
; %bb.5100:                             ;   in Loop: Header=BB6_4858 Depth=2
	s_andn2_saveexec_b32 s12, s12
; %bb.5101:                             ;   in Loop: Header=BB6_4858 Depth=2
	v_bfe_u32 v3, v4, 23, 1
; %bb.5102:                             ;   in Loop: Header=BB6_4858 Depth=2
	s_or_b32 exec_lo, exec_lo, s12
	v_lshrrev_b32_e32 v4, 20, v4
	v_min_i32_e32 v5, 15, v3
	v_cmp_gt_i32_e32 vcc_lo, 16, v3
	v_and_b32_sdwa v2, v2, v102 dst_sel:DWORD dst_unused:UNUSED_PAD src0_sel:BYTE_3 src1_sel:DWORD
	v_lshlrev_b32_e32 v5, 3, v5
	v_cndmask_b32_e32 v4, 7, v4, vcc_lo
	v_and_b32_e32 v5, 0xf8, v5
	v_and_b32_e32 v6, 7, v4
	v_or_b32_e32 v3, v3, v4
	v_or3_b32 v2, v5, v2, v6
	v_cmp_ne_u32_e32 vcc_lo, 0, v3
	v_cndmask_b32_e32 v120, 0, v2, vcc_lo
.LBB6_5103:                             ;   in Loop: Header=BB6_4858 Depth=2
	s_or_b32 exec_lo, exec_lo, s41
.LBB6_5104:                             ;   in Loop: Header=BB6_4858 Depth=2
	s_or_b32 exec_lo, exec_lo, s40
	v_cmp_gt_i16_sdwa s40, v10, v101 src0_sel:BYTE_1 src1_sel:DWORD
	s_mov_b32 s12, 0
	s_and_saveexec_b32 s41, s40
	s_xor_b32 s40, exec_lo, s41
	s_cbranch_execz .LBB6_7074
; %bb.5105:                             ;   in Loop: Header=BB6_4858 Depth=2
	v_cmp_eq_u16_sdwa s42, v10, v102 src0_sel:BYTE_1 src1_sel:DWORD
	s_mov_b32 s12, -1
	s_and_saveexec_b32 s41, s42
; %bb.5106:                             ;   in Loop: Header=BB6_4858 Depth=2
	s_xor_b32 s12, exec_lo, -1
; %bb.5107:                             ;   in Loop: Header=BB6_4858 Depth=2
	s_or_b32 exec_lo, exec_lo, s41
	s_and_b32 s12, s12, exec_lo
	s_or_saveexec_b32 s40, s40
	v_mov_b32_e32 v2, 0x7f800001
	s_xor_b32 exec_lo, exec_lo, s40
	s_cbranch_execnz .LBB6_7075
.LBB6_5108:                             ;   in Loop: Header=BB6_4858 Depth=2
	s_or_b32 exec_lo, exec_lo, s40
	s_and_saveexec_b32 s40, s12
	s_cbranch_execz .LBB6_5110
.LBB6_5109:                             ;   in Loop: Header=BB6_4858 Depth=2
	v_and_b32_sdwa v2, v103, v10 dst_sel:DWORD dst_unused:UNUSED_PAD src0_sel:DWORD src1_sel:BYTE_1
	v_and_b32_e32 v3, 7, v2
	v_bfe_u32 v6, v2, 3, 4
	v_ffbh_u32_e32 v4, v3
	v_cmp_eq_u32_e32 vcc_lo, 0, v6
	v_min_u32_e32 v4, 32, v4
	v_subrev_nc_u32_e32 v5, 28, v4
	v_sub_nc_u32_e32 v4, 29, v4
	v_lshlrev_b32_e32 v2, v5, v2
	v_lshlrev_b32_sdwa v5, v112, v10 dst_sel:DWORD dst_unused:UNUSED_PAD src0_sel:DWORD src1_sel:BYTE_1
	v_cndmask_b32_e32 v4, v6, v4, vcc_lo
	v_and_b32_e32 v2, 7, v2
	v_lshl_add_u32 v4, v4, 23, 0x3b800000
	v_cndmask_b32_e32 v2, v3, v2, vcc_lo
	v_and_b32_e32 v3, 0x80000000, v5
	v_lshlrev_b32_e32 v2, 20, v2
	v_or3_b32 v2, v3, v4, v2
.LBB6_5110:                             ;   in Loop: Header=BB6_4858 Depth=2
	s_or_b32 exec_lo, exec_lo, s40
	v_mul_f32_e32 v2, s29, v2
	v_mov_b32_e32 v123, 0x8000
	s_mov_b32 s40, exec_lo
	v_and_b32_e32 v3, 0x7f800000, v2
	v_cmpx_ne_u32_e32 0x7f800000, v3
	s_cbranch_execz .LBB6_5118
; %bb.5111:                             ;   in Loop: Header=BB6_4858 Depth=2
	v_mov_b32_e32 v123, 0
	s_mov_b32 s41, exec_lo
	v_cmpx_ne_u32_e32 0, v2
	s_cbranch_execz .LBB6_5117
; %bb.5112:                             ;   in Loop: Header=BB6_4858 Depth=2
	v_bfe_u32 v3, v2, 23, 8
	v_and_b32_e32 v4, 0x7fffff, v2
	v_sub_nc_u32_e32 v5, 0x78, v3
	v_cmp_gt_u32_e32 vcc_lo, 0x79, v3
	v_or_b32_e32 v6, 0x800000, v4
	v_cndmask_b32_e32 v5, 0, v5, vcc_lo
	v_cmp_eq_u32_e32 vcc_lo, 0, v3
	v_add_nc_u32_e32 v3, 0xffffff89, v3
	v_cndmask_b32_e64 v5, v5, 0x77, vcc_lo
	v_cndmask_b32_e32 v4, v6, v4, vcc_lo
	v_cndmask_b32_e64 v3, v3, 0xffffff8a, vcc_lo
	v_lshl_add_u32 v6, 0x100000, v5, -1
	v_lshrrev_b32_e32 v7, v5, v4
	v_lshlrev_b32_e64 v9, v5, 0x80000
	v_add_nc_u32_e32 v5, v5, v3
	v_and_b32_e32 v4, v6, v4
	v_bfe_u32 v8, v7, 20, 1
	v_cmp_eq_u32_e64 s12, v4, v9
	v_add_nc_u32_e32 v6, -1, v8
	v_cndmask_b32_e64 v4, 0, v6, s12
	v_lshrrev_b32_e32 v6, 23, v7
	s_mov_b32 s12, exec_lo
	v_add_nc_u32_e32 v4, v4, v7
	v_xor_b32_e32 v6, 1, v6
	v_and_b32_e32 v3, 0xfffff, v4
	v_add_nc_u32_e32 v4, v3, v7
                                        ; implicit-def: $vgpr3
	v_cmpx_ne_u32_e64 v5, v6
	s_xor_b32 s12, exec_lo, s12
; %bb.5113:                             ;   in Loop: Header=BB6_4858 Depth=2
	v_cmp_lt_u32_e32 vcc_lo, 0xffffff, v4
	v_sub_nc_u32_e32 v3, v5, v6
	v_cndmask_b32_e64 v5, 0, 1, vcc_lo
	v_add_co_ci_u32_e64 v3, null, 0, v3, vcc_lo
	v_lshrrev_b32_e32 v4, v5, v4
; %bb.5114:                             ;   in Loop: Header=BB6_4858 Depth=2
	s_andn2_saveexec_b32 s12, s12
; %bb.5115:                             ;   in Loop: Header=BB6_4858 Depth=2
	v_bfe_u32 v3, v4, 23, 1
; %bb.5116:                             ;   in Loop: Header=BB6_4858 Depth=2
	s_or_b32 exec_lo, exec_lo, s12
	v_lshrrev_b32_e32 v4, 20, v4
	v_min_i32_e32 v5, 15, v3
	v_cmp_gt_i32_e32 vcc_lo, 16, v3
	v_and_b32_sdwa v2, v2, v102 dst_sel:DWORD dst_unused:UNUSED_PAD src0_sel:BYTE_3 src1_sel:DWORD
	v_lshlrev_b32_e32 v5, 3, v5
	v_cndmask_b32_e32 v4, 7, v4, vcc_lo
	v_and_b32_e32 v5, 0xf8, v5
	v_and_b32_e32 v6, 7, v4
	v_or_b32_e32 v3, v3, v4
	v_or3_b32 v2, v2, v5, v6
	v_cmp_ne_u32_e32 vcc_lo, 0, v3
	v_lshlrev_b32_e32 v2, 8, v2
	v_cndmask_b32_e32 v123, 0, v2, vcc_lo
.LBB6_5117:                             ;   in Loop: Header=BB6_4858 Depth=2
	s_or_b32 exec_lo, exec_lo, s41
.LBB6_5118:                             ;   in Loop: Header=BB6_4858 Depth=2
	s_or_b32 exec_lo, exec_lo, s40
	v_and_b32_sdwa v3, v10, v113 dst_sel:DWORD dst_unused:UNUSED_PAD src0_sel:WORD_1 src1_sel:DWORD
	s_mov_b32 s12, 0
	s_mov_b32 s40, exec_lo
	v_cmpx_lt_i16_e32 0x7f, v3
	s_xor_b32 s40, exec_lo, s40
	s_cbranch_execz .LBB6_7076
; %bb.5119:                             ;   in Loop: Header=BB6_4858 Depth=2
	s_mov_b32 s12, -1
	s_mov_b32 s41, exec_lo
	v_cmpx_eq_u16_e32 0x80, v3
; %bb.5120:                             ;   in Loop: Header=BB6_4858 Depth=2
	s_xor_b32 s12, exec_lo, -1
; %bb.5121:                             ;   in Loop: Header=BB6_4858 Depth=2
	s_or_b32 exec_lo, exec_lo, s41
	s_and_b32 s12, s12, exec_lo
                                        ; implicit-def: $vgpr3
	s_or_saveexec_b32 s40, s40
	v_mov_b32_e32 v2, 0x7f800001
	s_xor_b32 exec_lo, exec_lo, s40
	s_cbranch_execnz .LBB6_7077
.LBB6_5122:                             ;   in Loop: Header=BB6_4858 Depth=2
	s_or_b32 exec_lo, exec_lo, s40
	s_and_saveexec_b32 s40, s12
	s_cbranch_execz .LBB6_5124
.LBB6_5123:                             ;   in Loop: Header=BB6_4858 Depth=2
	v_bfe_u32 v2, v10, 16, 3
	v_bfe_u32 v5, v10, 19, 4
	v_lshlrev_b32_e32 v6, 8, v10
	v_ffbh_u32_e32 v3, v2
	v_cmp_eq_u32_e32 vcc_lo, 0, v5
	v_min_u32_e32 v3, 32, v3
	v_subrev_nc_u32_e32 v4, 28, v3
	v_sub_nc_u32_e32 v3, 29, v3
	v_lshlrev_b32_sdwa v4, v4, v10 dst_sel:DWORD dst_unused:UNUSED_PAD src0_sel:DWORD src1_sel:WORD_1
	v_cndmask_b32_e32 v3, v5, v3, vcc_lo
	v_and_b32_e32 v4, 7, v4
	v_lshl_add_u32 v3, v3, 23, 0x3b800000
	v_cndmask_b32_e32 v2, v2, v4, vcc_lo
	v_and_b32_e32 v4, 0x80000000, v6
	v_lshlrev_b32_e32 v2, 20, v2
	v_or3_b32 v2, v4, v3, v2
.LBB6_5124:                             ;   in Loop: Header=BB6_4858 Depth=2
	s_or_b32 exec_lo, exec_lo, s40
	v_mul_f32_e32 v2, s29, v2
	v_mov_b32_e32 v125, 0x80
	s_mov_b32 s40, exec_lo
	v_and_b32_e32 v3, 0x7f800000, v2
	v_cmpx_ne_u32_e32 0x7f800000, v3
	s_cbranch_execz .LBB6_5132
; %bb.5125:                             ;   in Loop: Header=BB6_4858 Depth=2
	v_mov_b32_e32 v125, 0
	s_mov_b32 s41, exec_lo
	v_cmpx_ne_u32_e32 0, v2
	s_cbranch_execz .LBB6_5131
; %bb.5126:                             ;   in Loop: Header=BB6_4858 Depth=2
	v_bfe_u32 v3, v2, 23, 8
	v_and_b32_e32 v4, 0x7fffff, v2
	v_sub_nc_u32_e32 v5, 0x78, v3
	v_cmp_gt_u32_e32 vcc_lo, 0x79, v3
	v_or_b32_e32 v6, 0x800000, v4
	v_cndmask_b32_e32 v5, 0, v5, vcc_lo
	v_cmp_eq_u32_e32 vcc_lo, 0, v3
	v_add_nc_u32_e32 v3, 0xffffff89, v3
	v_cndmask_b32_e64 v5, v5, 0x77, vcc_lo
	v_cndmask_b32_e32 v4, v6, v4, vcc_lo
	v_cndmask_b32_e64 v3, v3, 0xffffff8a, vcc_lo
	v_lshl_add_u32 v6, 0x100000, v5, -1
	v_lshrrev_b32_e32 v7, v5, v4
	v_lshlrev_b32_e64 v9, v5, 0x80000
	v_add_nc_u32_e32 v5, v5, v3
	v_and_b32_e32 v4, v6, v4
	v_bfe_u32 v8, v7, 20, 1
	v_cmp_eq_u32_e64 s12, v4, v9
	v_add_nc_u32_e32 v6, -1, v8
	v_cndmask_b32_e64 v4, 0, v6, s12
	v_lshrrev_b32_e32 v6, 23, v7
	s_mov_b32 s12, exec_lo
	v_add_nc_u32_e32 v4, v4, v7
	v_xor_b32_e32 v6, 1, v6
	v_and_b32_e32 v3, 0xfffff, v4
	v_add_nc_u32_e32 v4, v3, v7
                                        ; implicit-def: $vgpr3
	v_cmpx_ne_u32_e64 v5, v6
	s_xor_b32 s12, exec_lo, s12
; %bb.5127:                             ;   in Loop: Header=BB6_4858 Depth=2
	v_cmp_lt_u32_e32 vcc_lo, 0xffffff, v4
	v_sub_nc_u32_e32 v3, v5, v6
	v_cndmask_b32_e64 v5, 0, 1, vcc_lo
	v_add_co_ci_u32_e64 v3, null, 0, v3, vcc_lo
	v_lshrrev_b32_e32 v4, v5, v4
; %bb.5128:                             ;   in Loop: Header=BB6_4858 Depth=2
	s_andn2_saveexec_b32 s12, s12
; %bb.5129:                             ;   in Loop: Header=BB6_4858 Depth=2
	v_bfe_u32 v3, v4, 23, 1
; %bb.5130:                             ;   in Loop: Header=BB6_4858 Depth=2
	s_or_b32 exec_lo, exec_lo, s12
	v_lshrrev_b32_e32 v4, 20, v4
	v_min_i32_e32 v5, 15, v3
	v_cmp_gt_i32_e32 vcc_lo, 16, v3
	v_and_b32_sdwa v2, v2, v102 dst_sel:DWORD dst_unused:UNUSED_PAD src0_sel:BYTE_3 src1_sel:DWORD
	v_lshlrev_b32_e32 v5, 3, v5
	v_cndmask_b32_e32 v4, 7, v4, vcc_lo
	v_and_b32_e32 v5, 0xf8, v5
	v_and_b32_e32 v6, 7, v4
	v_or_b32_e32 v3, v3, v4
	v_or3_b32 v2, v5, v2, v6
	v_cmp_ne_u32_e32 vcc_lo, 0, v3
	v_cndmask_b32_e32 v125, 0, v2, vcc_lo
.LBB6_5131:                             ;   in Loop: Header=BB6_4858 Depth=2
	s_or_b32 exec_lo, exec_lo, s41
.LBB6_5132:                             ;   in Loop: Header=BB6_4858 Depth=2
	s_or_b32 exec_lo, exec_lo, s40
	v_cmp_gt_i16_sdwa s40, v10, v101 src0_sel:BYTE_3 src1_sel:DWORD
	s_mov_b32 s12, 0
	s_and_saveexec_b32 s41, s40
	s_xor_b32 s40, exec_lo, s41
	s_cbranch_execz .LBB6_7078
; %bb.5133:                             ;   in Loop: Header=BB6_4858 Depth=2
	v_cmp_eq_u16_sdwa s42, v10, v102 src0_sel:BYTE_3 src1_sel:DWORD
	s_mov_b32 s12, -1
	s_and_saveexec_b32 s41, s42
; %bb.5134:                             ;   in Loop: Header=BB6_4858 Depth=2
	s_xor_b32 s12, exec_lo, -1
; %bb.5135:                             ;   in Loop: Header=BB6_4858 Depth=2
	s_or_b32 exec_lo, exec_lo, s41
	s_and_b32 s12, s12, exec_lo
	s_or_saveexec_b32 s40, s40
	v_mov_b32_e32 v2, 0x7f800001
	s_xor_b32 exec_lo, exec_lo, s40
	s_cbranch_execnz .LBB6_7079
.LBB6_5136:                             ;   in Loop: Header=BB6_4858 Depth=2
	s_or_b32 exec_lo, exec_lo, s40
	s_and_saveexec_b32 s40, s12
	s_cbranch_execz .LBB6_5138
.LBB6_5137:                             ;   in Loop: Header=BB6_4858 Depth=2
	v_bfe_u32 v2, v10, 24, 3
	v_bfe_u32 v5, v10, 27, 4
	v_ffbh_u32_e32 v3, v2
	v_cmp_eq_u32_e32 vcc_lo, 0, v5
	v_min_u32_e32 v3, 32, v3
	v_subrev_nc_u32_e32 v4, 28, v3
	v_sub_nc_u32_e32 v3, 29, v3
	v_lshlrev_b32_sdwa v4, v4, v10 dst_sel:DWORD dst_unused:UNUSED_PAD src0_sel:DWORD src1_sel:BYTE_3
	v_cndmask_b32_e32 v3, v5, v3, vcc_lo
	v_and_b32_e32 v4, 7, v4
	v_lshl_add_u32 v3, v3, 23, 0x3b800000
	v_cndmask_b32_e32 v2, v2, v4, vcc_lo
	v_and_b32_e32 v4, 0x80000000, v10
	v_lshlrev_b32_e32 v2, 20, v2
	v_or3_b32 v2, v4, v3, v2
.LBB6_5138:                             ;   in Loop: Header=BB6_4858 Depth=2
	s_or_b32 exec_lo, exec_lo, s40
	v_mul_f32_e32 v2, s29, v2
	v_mov_b32_e32 v82, 0x8000
	s_mov_b32 s40, exec_lo
	v_and_b32_e32 v3, 0x7f800000, v2
	v_cmpx_ne_u32_e32 0x7f800000, v3
	s_cbranch_execz .LBB6_5146
; %bb.5139:                             ;   in Loop: Header=BB6_4858 Depth=2
	v_mov_b32_e32 v82, 0
	s_mov_b32 s41, exec_lo
	v_cmpx_ne_u32_e32 0, v2
	s_cbranch_execz .LBB6_5145
; %bb.5140:                             ;   in Loop: Header=BB6_4858 Depth=2
	v_bfe_u32 v3, v2, 23, 8
	v_and_b32_e32 v4, 0x7fffff, v2
	v_sub_nc_u32_e32 v5, 0x78, v3
	v_cmp_gt_u32_e32 vcc_lo, 0x79, v3
	v_or_b32_e32 v6, 0x800000, v4
	v_cndmask_b32_e32 v5, 0, v5, vcc_lo
	v_cmp_eq_u32_e32 vcc_lo, 0, v3
	v_add_nc_u32_e32 v3, 0xffffff89, v3
	v_cndmask_b32_e64 v5, v5, 0x77, vcc_lo
	v_cndmask_b32_e32 v4, v6, v4, vcc_lo
	v_cndmask_b32_e64 v3, v3, 0xffffff8a, vcc_lo
	v_lshl_add_u32 v6, 0x100000, v5, -1
	v_lshrrev_b32_e32 v7, v5, v4
	v_lshlrev_b32_e64 v9, v5, 0x80000
	v_add_nc_u32_e32 v5, v5, v3
	v_and_b32_e32 v4, v6, v4
	v_bfe_u32 v8, v7, 20, 1
	v_cmp_eq_u32_e64 s12, v4, v9
	v_add_nc_u32_e32 v6, -1, v8
	v_cndmask_b32_e64 v4, 0, v6, s12
	v_lshrrev_b32_e32 v6, 23, v7
	s_mov_b32 s12, exec_lo
	v_add_nc_u32_e32 v4, v4, v7
	v_xor_b32_e32 v6, 1, v6
	v_and_b32_e32 v3, 0xfffff, v4
	v_add_nc_u32_e32 v4, v3, v7
                                        ; implicit-def: $vgpr3
	v_cmpx_ne_u32_e64 v5, v6
	s_xor_b32 s12, exec_lo, s12
; %bb.5141:                             ;   in Loop: Header=BB6_4858 Depth=2
	v_cmp_lt_u32_e32 vcc_lo, 0xffffff, v4
	v_sub_nc_u32_e32 v3, v5, v6
	v_cndmask_b32_e64 v5, 0, 1, vcc_lo
	v_add_co_ci_u32_e64 v3, null, 0, v3, vcc_lo
	v_lshrrev_b32_e32 v4, v5, v4
; %bb.5142:                             ;   in Loop: Header=BB6_4858 Depth=2
	s_andn2_saveexec_b32 s12, s12
; %bb.5143:                             ;   in Loop: Header=BB6_4858 Depth=2
	v_bfe_u32 v3, v4, 23, 1
; %bb.5144:                             ;   in Loop: Header=BB6_4858 Depth=2
	s_or_b32 exec_lo, exec_lo, s12
	v_lshrrev_b32_e32 v4, 20, v4
	v_min_i32_e32 v5, 15, v3
	v_cmp_gt_i32_e32 vcc_lo, 16, v3
	v_and_b32_sdwa v2, v2, v102 dst_sel:DWORD dst_unused:UNUSED_PAD src0_sel:BYTE_3 src1_sel:DWORD
	v_lshlrev_b32_e32 v5, 3, v5
	v_cndmask_b32_e32 v4, 7, v4, vcc_lo
	v_and_b32_e32 v5, 0xf8, v5
	v_and_b32_e32 v6, 7, v4
	v_or_b32_e32 v3, v3, v4
	v_or3_b32 v2, v2, v5, v6
	v_cmp_ne_u32_e32 vcc_lo, 0, v3
	v_lshlrev_b32_e32 v2, 8, v2
	v_cndmask_b32_e32 v82, 0, v2, vcc_lo
.LBB6_5145:                             ;   in Loop: Header=BB6_4858 Depth=2
	s_or_b32 exec_lo, exec_lo, s41
.LBB6_5146:                             ;   in Loop: Header=BB6_4858 Depth=2
	s_or_b32 exec_lo, exec_lo, s40
	v_cmp_gt_i16_sdwa s40, v11, v101 src0_sel:BYTE_0 src1_sel:DWORD
	s_mov_b32 s12, 0
	s_and_saveexec_b32 s41, s40
	s_xor_b32 s40, exec_lo, s41
	s_cbranch_execz .LBB6_7080
; %bb.5147:                             ;   in Loop: Header=BB6_4858 Depth=2
	v_cmp_eq_u16_sdwa s42, v11, v102 src0_sel:BYTE_0 src1_sel:DWORD
	s_mov_b32 s12, -1
	s_and_saveexec_b32 s41, s42
; %bb.5148:                             ;   in Loop: Header=BB6_4858 Depth=2
	s_xor_b32 s12, exec_lo, -1
; %bb.5149:                             ;   in Loop: Header=BB6_4858 Depth=2
	s_or_b32 exec_lo, exec_lo, s41
	s_and_b32 s12, s12, exec_lo
	s_or_saveexec_b32 s40, s40
	v_mov_b32_e32 v2, 0x7f800001
	s_xor_b32 exec_lo, exec_lo, s40
	s_cbranch_execnz .LBB6_7081
.LBB6_5150:                             ;   in Loop: Header=BB6_4858 Depth=2
	s_or_b32 exec_lo, exec_lo, s40
	s_and_saveexec_b32 s40, s12
	s_cbranch_execz .LBB6_5152
.LBB6_5151:                             ;   in Loop: Header=BB6_4858 Depth=2
	v_and_b32_e32 v2, 7, v11
	v_bfe_u32 v5, v11, 3, 4
	v_lshlrev_b32_e32 v6, 24, v11
	v_ffbh_u32_e32 v3, v2
	v_cmp_eq_u32_e32 vcc_lo, 0, v5
	v_min_u32_e32 v3, 32, v3
	v_subrev_nc_u32_e32 v4, 28, v3
	v_sub_nc_u32_e32 v3, 29, v3
	v_lshlrev_b32_e32 v4, v4, v11
	v_cndmask_b32_e32 v3, v5, v3, vcc_lo
	v_and_b32_e32 v4, 7, v4
	v_lshl_add_u32 v3, v3, 23, 0x3b800000
	v_cndmask_b32_e32 v2, v2, v4, vcc_lo
	v_and_b32_e32 v4, 0x80000000, v6
	v_lshlrev_b32_e32 v2, 20, v2
	v_or3_b32 v2, v4, v3, v2
.LBB6_5152:                             ;   in Loop: Header=BB6_4858 Depth=2
	s_or_b32 exec_lo, exec_lo, s40
	v_mul_f32_e32 v2, s29, v2
	v_mov_b32_e32 v100, 0x80
	s_mov_b32 s40, exec_lo
	v_and_b32_e32 v3, 0x7f800000, v2
	v_cmpx_ne_u32_e32 0x7f800000, v3
	s_cbranch_execz .LBB6_5160
; %bb.5153:                             ;   in Loop: Header=BB6_4858 Depth=2
	v_mov_b32_e32 v100, 0
	s_mov_b32 s41, exec_lo
	v_cmpx_ne_u32_e32 0, v2
	s_cbranch_execz .LBB6_5159
; %bb.5154:                             ;   in Loop: Header=BB6_4858 Depth=2
	v_bfe_u32 v3, v2, 23, 8
	v_and_b32_e32 v4, 0x7fffff, v2
	v_sub_nc_u32_e32 v5, 0x78, v3
	v_cmp_gt_u32_e32 vcc_lo, 0x79, v3
	v_or_b32_e32 v6, 0x800000, v4
	v_cndmask_b32_e32 v5, 0, v5, vcc_lo
	v_cmp_eq_u32_e32 vcc_lo, 0, v3
	v_add_nc_u32_e32 v3, 0xffffff89, v3
	v_cndmask_b32_e64 v5, v5, 0x77, vcc_lo
	v_cndmask_b32_e32 v4, v6, v4, vcc_lo
	v_cndmask_b32_e64 v3, v3, 0xffffff8a, vcc_lo
	v_lshl_add_u32 v6, 0x100000, v5, -1
	v_lshrrev_b32_e32 v7, v5, v4
	v_lshlrev_b32_e64 v9, v5, 0x80000
	v_add_nc_u32_e32 v5, v5, v3
	v_and_b32_e32 v4, v6, v4
	v_bfe_u32 v8, v7, 20, 1
	v_cmp_eq_u32_e64 s12, v4, v9
	v_add_nc_u32_e32 v6, -1, v8
	v_cndmask_b32_e64 v4, 0, v6, s12
	v_lshrrev_b32_e32 v6, 23, v7
	s_mov_b32 s12, exec_lo
	v_add_nc_u32_e32 v4, v4, v7
	v_xor_b32_e32 v6, 1, v6
	v_and_b32_e32 v3, 0xfffff, v4
	v_add_nc_u32_e32 v4, v3, v7
                                        ; implicit-def: $vgpr3
	v_cmpx_ne_u32_e64 v5, v6
	s_xor_b32 s12, exec_lo, s12
; %bb.5155:                             ;   in Loop: Header=BB6_4858 Depth=2
	v_cmp_lt_u32_e32 vcc_lo, 0xffffff, v4
	v_sub_nc_u32_e32 v3, v5, v6
	v_cndmask_b32_e64 v5, 0, 1, vcc_lo
	v_add_co_ci_u32_e64 v3, null, 0, v3, vcc_lo
	v_lshrrev_b32_e32 v4, v5, v4
; %bb.5156:                             ;   in Loop: Header=BB6_4858 Depth=2
	s_andn2_saveexec_b32 s12, s12
; %bb.5157:                             ;   in Loop: Header=BB6_4858 Depth=2
	v_bfe_u32 v3, v4, 23, 1
; %bb.5158:                             ;   in Loop: Header=BB6_4858 Depth=2
	s_or_b32 exec_lo, exec_lo, s12
	v_lshrrev_b32_e32 v4, 20, v4
	v_min_i32_e32 v5, 15, v3
	v_cmp_gt_i32_e32 vcc_lo, 16, v3
	v_and_b32_sdwa v2, v2, v102 dst_sel:DWORD dst_unused:UNUSED_PAD src0_sel:BYTE_3 src1_sel:DWORD
	v_lshlrev_b32_e32 v5, 3, v5
	v_cndmask_b32_e32 v4, 7, v4, vcc_lo
	v_and_b32_e32 v5, 0xf8, v5
	v_and_b32_e32 v6, 7, v4
	v_or_b32_e32 v3, v3, v4
	v_or3_b32 v2, v5, v2, v6
	v_cmp_ne_u32_e32 vcc_lo, 0, v3
	v_cndmask_b32_e32 v100, 0, v2, vcc_lo
.LBB6_5159:                             ;   in Loop: Header=BB6_4858 Depth=2
	s_or_b32 exec_lo, exec_lo, s41
.LBB6_5160:                             ;   in Loop: Header=BB6_4858 Depth=2
	s_or_b32 exec_lo, exec_lo, s40
	v_cmp_gt_i16_sdwa s40, v11, v101 src0_sel:BYTE_1 src1_sel:DWORD
	s_mov_b32 s12, 0
	s_and_saveexec_b32 s41, s40
	s_xor_b32 s40, exec_lo, s41
	s_cbranch_execz .LBB6_7082
; %bb.5161:                             ;   in Loop: Header=BB6_4858 Depth=2
	v_cmp_eq_u16_sdwa s42, v11, v102 src0_sel:BYTE_1 src1_sel:DWORD
	s_mov_b32 s12, -1
	s_and_saveexec_b32 s41, s42
; %bb.5162:                             ;   in Loop: Header=BB6_4858 Depth=2
	s_xor_b32 s12, exec_lo, -1
; %bb.5163:                             ;   in Loop: Header=BB6_4858 Depth=2
	s_or_b32 exec_lo, exec_lo, s41
	s_and_b32 s12, s12, exec_lo
	s_or_saveexec_b32 s40, s40
	v_mov_b32_e32 v2, 0x7f800001
	s_xor_b32 exec_lo, exec_lo, s40
	s_cbranch_execnz .LBB6_7083
.LBB6_5164:                             ;   in Loop: Header=BB6_4858 Depth=2
	s_or_b32 exec_lo, exec_lo, s40
	s_and_saveexec_b32 s40, s12
	s_cbranch_execz .LBB6_5166
.LBB6_5165:                             ;   in Loop: Header=BB6_4858 Depth=2
	v_and_b32_sdwa v2, v103, v11 dst_sel:DWORD dst_unused:UNUSED_PAD src0_sel:DWORD src1_sel:BYTE_1
	v_and_b32_e32 v3, 7, v2
	v_bfe_u32 v6, v2, 3, 4
	v_ffbh_u32_e32 v4, v3
	v_cmp_eq_u32_e32 vcc_lo, 0, v6
	v_min_u32_e32 v4, 32, v4
	v_subrev_nc_u32_e32 v5, 28, v4
	v_sub_nc_u32_e32 v4, 29, v4
	v_lshlrev_b32_e32 v2, v5, v2
	v_lshlrev_b32_sdwa v5, v112, v11 dst_sel:DWORD dst_unused:UNUSED_PAD src0_sel:DWORD src1_sel:BYTE_1
	v_cndmask_b32_e32 v4, v6, v4, vcc_lo
	v_and_b32_e32 v2, 7, v2
	v_lshl_add_u32 v4, v4, 23, 0x3b800000
	v_cndmask_b32_e32 v2, v3, v2, vcc_lo
	v_and_b32_e32 v3, 0x80000000, v5
	v_lshlrev_b32_e32 v2, 20, v2
	v_or3_b32 v2, v3, v4, v2
.LBB6_5166:                             ;   in Loop: Header=BB6_4858 Depth=2
	s_or_b32 exec_lo, exec_lo, s40
	v_mul_f32_e32 v2, s29, v2
	v_mov_b32_e32 v85, 0x8000
	s_mov_b32 s40, exec_lo
	v_and_b32_e32 v3, 0x7f800000, v2
	v_cmpx_ne_u32_e32 0x7f800000, v3
	s_cbranch_execz .LBB6_5174
; %bb.5167:                             ;   in Loop: Header=BB6_4858 Depth=2
	v_mov_b32_e32 v85, 0
	s_mov_b32 s41, exec_lo
	v_cmpx_ne_u32_e32 0, v2
	s_cbranch_execz .LBB6_5173
; %bb.5168:                             ;   in Loop: Header=BB6_4858 Depth=2
	v_bfe_u32 v3, v2, 23, 8
	v_and_b32_e32 v4, 0x7fffff, v2
	v_sub_nc_u32_e32 v5, 0x78, v3
	v_cmp_gt_u32_e32 vcc_lo, 0x79, v3
	v_or_b32_e32 v6, 0x800000, v4
	v_cndmask_b32_e32 v5, 0, v5, vcc_lo
	v_cmp_eq_u32_e32 vcc_lo, 0, v3
	v_add_nc_u32_e32 v3, 0xffffff89, v3
	v_cndmask_b32_e64 v5, v5, 0x77, vcc_lo
	v_cndmask_b32_e32 v4, v6, v4, vcc_lo
	v_cndmask_b32_e64 v3, v3, 0xffffff8a, vcc_lo
	v_lshl_add_u32 v6, 0x100000, v5, -1
	v_lshrrev_b32_e32 v7, v5, v4
	v_lshlrev_b32_e64 v9, v5, 0x80000
	v_add_nc_u32_e32 v5, v5, v3
	v_and_b32_e32 v4, v6, v4
	v_bfe_u32 v8, v7, 20, 1
	v_cmp_eq_u32_e64 s12, v4, v9
	v_add_nc_u32_e32 v6, -1, v8
	v_cndmask_b32_e64 v4, 0, v6, s12
	v_lshrrev_b32_e32 v6, 23, v7
	s_mov_b32 s12, exec_lo
	v_add_nc_u32_e32 v4, v4, v7
	v_xor_b32_e32 v6, 1, v6
	v_and_b32_e32 v3, 0xfffff, v4
	v_add_nc_u32_e32 v4, v3, v7
                                        ; implicit-def: $vgpr3
	v_cmpx_ne_u32_e64 v5, v6
	s_xor_b32 s12, exec_lo, s12
; %bb.5169:                             ;   in Loop: Header=BB6_4858 Depth=2
	v_cmp_lt_u32_e32 vcc_lo, 0xffffff, v4
	v_sub_nc_u32_e32 v3, v5, v6
	v_cndmask_b32_e64 v5, 0, 1, vcc_lo
	v_add_co_ci_u32_e64 v3, null, 0, v3, vcc_lo
	v_lshrrev_b32_e32 v4, v5, v4
; %bb.5170:                             ;   in Loop: Header=BB6_4858 Depth=2
	s_andn2_saveexec_b32 s12, s12
; %bb.5171:                             ;   in Loop: Header=BB6_4858 Depth=2
	v_bfe_u32 v3, v4, 23, 1
; %bb.5172:                             ;   in Loop: Header=BB6_4858 Depth=2
	s_or_b32 exec_lo, exec_lo, s12
	v_lshrrev_b32_e32 v4, 20, v4
	v_min_i32_e32 v5, 15, v3
	v_cmp_gt_i32_e32 vcc_lo, 16, v3
	v_and_b32_sdwa v2, v2, v102 dst_sel:DWORD dst_unused:UNUSED_PAD src0_sel:BYTE_3 src1_sel:DWORD
	v_lshlrev_b32_e32 v5, 3, v5
	v_cndmask_b32_e32 v4, 7, v4, vcc_lo
	v_and_b32_e32 v5, 0xf8, v5
	v_and_b32_e32 v6, 7, v4
	v_or_b32_e32 v3, v3, v4
	v_or3_b32 v2, v2, v5, v6
	v_cmp_ne_u32_e32 vcc_lo, 0, v3
	v_lshlrev_b32_e32 v2, 8, v2
	v_cndmask_b32_e32 v85, 0, v2, vcc_lo
.LBB6_5173:                             ;   in Loop: Header=BB6_4858 Depth=2
	s_or_b32 exec_lo, exec_lo, s41
.LBB6_5174:                             ;   in Loop: Header=BB6_4858 Depth=2
	s_or_b32 exec_lo, exec_lo, s40
	v_and_b32_sdwa v3, v11, v113 dst_sel:DWORD dst_unused:UNUSED_PAD src0_sel:WORD_1 src1_sel:DWORD
	s_mov_b32 s12, 0
	s_mov_b32 s40, exec_lo
	v_cmpx_lt_i16_e32 0x7f, v3
	s_xor_b32 s40, exec_lo, s40
	s_cbranch_execz .LBB6_7084
; %bb.5175:                             ;   in Loop: Header=BB6_4858 Depth=2
	s_mov_b32 s12, -1
	s_mov_b32 s41, exec_lo
	v_cmpx_eq_u16_e32 0x80, v3
; %bb.5176:                             ;   in Loop: Header=BB6_4858 Depth=2
	s_xor_b32 s12, exec_lo, -1
; %bb.5177:                             ;   in Loop: Header=BB6_4858 Depth=2
	s_or_b32 exec_lo, exec_lo, s41
	s_and_b32 s12, s12, exec_lo
                                        ; implicit-def: $vgpr3
	s_or_saveexec_b32 s40, s40
	v_mov_b32_e32 v2, 0x7f800001
	s_xor_b32 exec_lo, exec_lo, s40
	s_cbranch_execnz .LBB6_7085
.LBB6_5178:                             ;   in Loop: Header=BB6_4858 Depth=2
	s_or_b32 exec_lo, exec_lo, s40
	s_and_saveexec_b32 s40, s12
	s_cbranch_execz .LBB6_5180
.LBB6_5179:                             ;   in Loop: Header=BB6_4858 Depth=2
	v_bfe_u32 v2, v11, 16, 3
	v_bfe_u32 v5, v11, 19, 4
	v_lshlrev_b32_e32 v6, 8, v11
	v_ffbh_u32_e32 v3, v2
	v_cmp_eq_u32_e32 vcc_lo, 0, v5
	v_min_u32_e32 v3, 32, v3
	v_subrev_nc_u32_e32 v4, 28, v3
	v_sub_nc_u32_e32 v3, 29, v3
	v_lshlrev_b32_sdwa v4, v4, v11 dst_sel:DWORD dst_unused:UNUSED_PAD src0_sel:DWORD src1_sel:WORD_1
	v_cndmask_b32_e32 v3, v5, v3, vcc_lo
	v_and_b32_e32 v4, 7, v4
	v_lshl_add_u32 v3, v3, 23, 0x3b800000
	v_cndmask_b32_e32 v2, v2, v4, vcc_lo
	v_and_b32_e32 v4, 0x80000000, v6
	v_lshlrev_b32_e32 v2, 20, v2
	v_or3_b32 v2, v4, v3, v2
.LBB6_5180:                             ;   in Loop: Header=BB6_4858 Depth=2
	s_or_b32 exec_lo, exec_lo, s40
	v_mul_f32_e32 v2, s29, v2
	v_mov_b32_e32 v28, 0x80
	s_mov_b32 s40, exec_lo
	v_and_b32_e32 v3, 0x7f800000, v2
	v_cmpx_ne_u32_e32 0x7f800000, v3
	s_cbranch_execz .LBB6_5188
; %bb.5181:                             ;   in Loop: Header=BB6_4858 Depth=2
	v_mov_b32_e32 v28, 0
	s_mov_b32 s41, exec_lo
	v_cmpx_ne_u32_e32 0, v2
	s_cbranch_execz .LBB6_5187
; %bb.5182:                             ;   in Loop: Header=BB6_4858 Depth=2
	v_bfe_u32 v3, v2, 23, 8
	v_and_b32_e32 v4, 0x7fffff, v2
	v_sub_nc_u32_e32 v5, 0x78, v3
	v_cmp_gt_u32_e32 vcc_lo, 0x79, v3
	v_or_b32_e32 v6, 0x800000, v4
	v_cndmask_b32_e32 v5, 0, v5, vcc_lo
	v_cmp_eq_u32_e32 vcc_lo, 0, v3
	v_add_nc_u32_e32 v3, 0xffffff89, v3
	v_cndmask_b32_e64 v5, v5, 0x77, vcc_lo
	v_cndmask_b32_e32 v4, v6, v4, vcc_lo
	v_cndmask_b32_e64 v3, v3, 0xffffff8a, vcc_lo
	v_lshl_add_u32 v6, 0x100000, v5, -1
	v_lshrrev_b32_e32 v7, v5, v4
	v_lshlrev_b32_e64 v9, v5, 0x80000
	v_add_nc_u32_e32 v5, v5, v3
	v_and_b32_e32 v4, v6, v4
	v_bfe_u32 v8, v7, 20, 1
	v_cmp_eq_u32_e64 s12, v4, v9
	v_add_nc_u32_e32 v6, -1, v8
	v_cndmask_b32_e64 v4, 0, v6, s12
	v_lshrrev_b32_e32 v6, 23, v7
	s_mov_b32 s12, exec_lo
	v_add_nc_u32_e32 v4, v4, v7
	v_xor_b32_e32 v6, 1, v6
	v_and_b32_e32 v3, 0xfffff, v4
	v_add_nc_u32_e32 v4, v3, v7
                                        ; implicit-def: $vgpr3
	v_cmpx_ne_u32_e64 v5, v6
	s_xor_b32 s12, exec_lo, s12
; %bb.5183:                             ;   in Loop: Header=BB6_4858 Depth=2
	v_cmp_lt_u32_e32 vcc_lo, 0xffffff, v4
	v_sub_nc_u32_e32 v3, v5, v6
	v_cndmask_b32_e64 v5, 0, 1, vcc_lo
	v_add_co_ci_u32_e64 v3, null, 0, v3, vcc_lo
	v_lshrrev_b32_e32 v4, v5, v4
; %bb.5184:                             ;   in Loop: Header=BB6_4858 Depth=2
	s_andn2_saveexec_b32 s12, s12
; %bb.5185:                             ;   in Loop: Header=BB6_4858 Depth=2
	v_bfe_u32 v3, v4, 23, 1
; %bb.5186:                             ;   in Loop: Header=BB6_4858 Depth=2
	s_or_b32 exec_lo, exec_lo, s12
	v_lshrrev_b32_e32 v4, 20, v4
	v_min_i32_e32 v5, 15, v3
	v_cmp_gt_i32_e32 vcc_lo, 16, v3
	v_and_b32_sdwa v2, v2, v102 dst_sel:DWORD dst_unused:UNUSED_PAD src0_sel:BYTE_3 src1_sel:DWORD
	v_lshlrev_b32_e32 v5, 3, v5
	v_cndmask_b32_e32 v4, 7, v4, vcc_lo
	v_and_b32_e32 v5, 0xf8, v5
	v_and_b32_e32 v6, 7, v4
	v_or_b32_e32 v3, v3, v4
	v_or3_b32 v2, v5, v2, v6
	v_cmp_ne_u32_e32 vcc_lo, 0, v3
	v_cndmask_b32_e32 v28, 0, v2, vcc_lo
.LBB6_5187:                             ;   in Loop: Header=BB6_4858 Depth=2
	s_or_b32 exec_lo, exec_lo, s41
.LBB6_5188:                             ;   in Loop: Header=BB6_4858 Depth=2
	s_or_b32 exec_lo, exec_lo, s40
	v_cmp_gt_i16_sdwa s40, v11, v101 src0_sel:BYTE_3 src1_sel:DWORD
	s_mov_b32 s12, 0
	s_and_saveexec_b32 s41, s40
	s_xor_b32 s40, exec_lo, s41
	s_cbranch_execz .LBB6_7086
; %bb.5189:                             ;   in Loop: Header=BB6_4858 Depth=2
	v_cmp_eq_u16_sdwa s42, v11, v102 src0_sel:BYTE_3 src1_sel:DWORD
	s_mov_b32 s12, -1
	s_and_saveexec_b32 s41, s42
; %bb.5190:                             ;   in Loop: Header=BB6_4858 Depth=2
	s_xor_b32 s12, exec_lo, -1
; %bb.5191:                             ;   in Loop: Header=BB6_4858 Depth=2
	s_or_b32 exec_lo, exec_lo, s41
	s_and_b32 s12, s12, exec_lo
	s_or_saveexec_b32 s40, s40
	v_mov_b32_e32 v2, 0x7f800001
	s_xor_b32 exec_lo, exec_lo, s40
	s_cbranch_execnz .LBB6_7087
.LBB6_5192:                             ;   in Loop: Header=BB6_4858 Depth=2
	s_or_b32 exec_lo, exec_lo, s40
	s_and_saveexec_b32 s40, s12
	s_cbranch_execz .LBB6_5194
.LBB6_5193:                             ;   in Loop: Header=BB6_4858 Depth=2
	v_bfe_u32 v2, v11, 24, 3
	v_bfe_u32 v5, v11, 27, 4
	v_ffbh_u32_e32 v3, v2
	v_cmp_eq_u32_e32 vcc_lo, 0, v5
	v_min_u32_e32 v3, 32, v3
	v_subrev_nc_u32_e32 v4, 28, v3
	v_sub_nc_u32_e32 v3, 29, v3
	v_lshlrev_b32_sdwa v4, v4, v11 dst_sel:DWORD dst_unused:UNUSED_PAD src0_sel:DWORD src1_sel:BYTE_3
	v_cndmask_b32_e32 v3, v5, v3, vcc_lo
	v_and_b32_e32 v4, 7, v4
	v_lshl_add_u32 v3, v3, 23, 0x3b800000
	v_cndmask_b32_e32 v2, v2, v4, vcc_lo
	v_and_b32_e32 v4, 0x80000000, v11
	v_lshlrev_b32_e32 v2, 20, v2
	v_or3_b32 v2, v4, v3, v2
.LBB6_5194:                             ;   in Loop: Header=BB6_4858 Depth=2
	s_or_b32 exec_lo, exec_lo, s40
	v_mul_f32_e32 v2, s29, v2
	v_mov_b32_e32 v29, 0x8000
	s_mov_b32 s40, exec_lo
	v_and_b32_e32 v3, 0x7f800000, v2
	v_cmpx_ne_u32_e32 0x7f800000, v3
	s_cbranch_execz .LBB6_5202
; %bb.5195:                             ;   in Loop: Header=BB6_4858 Depth=2
	v_mov_b32_e32 v29, 0
	s_mov_b32 s41, exec_lo
	v_cmpx_ne_u32_e32 0, v2
	s_cbranch_execz .LBB6_5201
; %bb.5196:                             ;   in Loop: Header=BB6_4858 Depth=2
	v_bfe_u32 v3, v2, 23, 8
	v_and_b32_e32 v4, 0x7fffff, v2
	v_sub_nc_u32_e32 v5, 0x78, v3
	v_cmp_gt_u32_e32 vcc_lo, 0x79, v3
	v_or_b32_e32 v6, 0x800000, v4
	v_cndmask_b32_e32 v5, 0, v5, vcc_lo
	v_cmp_eq_u32_e32 vcc_lo, 0, v3
	v_add_nc_u32_e32 v3, 0xffffff89, v3
	v_cndmask_b32_e64 v5, v5, 0x77, vcc_lo
	v_cndmask_b32_e32 v4, v6, v4, vcc_lo
	v_cndmask_b32_e64 v3, v3, 0xffffff8a, vcc_lo
	v_lshl_add_u32 v6, 0x100000, v5, -1
	v_lshrrev_b32_e32 v7, v5, v4
	v_lshlrev_b32_e64 v9, v5, 0x80000
	v_add_nc_u32_e32 v5, v5, v3
	v_and_b32_e32 v4, v6, v4
	v_bfe_u32 v8, v7, 20, 1
	v_cmp_eq_u32_e64 s12, v4, v9
	v_add_nc_u32_e32 v6, -1, v8
	v_cndmask_b32_e64 v4, 0, v6, s12
	v_lshrrev_b32_e32 v6, 23, v7
	s_mov_b32 s12, exec_lo
	v_add_nc_u32_e32 v4, v4, v7
	v_xor_b32_e32 v6, 1, v6
	v_and_b32_e32 v3, 0xfffff, v4
	v_add_nc_u32_e32 v4, v3, v7
                                        ; implicit-def: $vgpr3
	v_cmpx_ne_u32_e64 v5, v6
	s_xor_b32 s12, exec_lo, s12
; %bb.5197:                             ;   in Loop: Header=BB6_4858 Depth=2
	v_cmp_lt_u32_e32 vcc_lo, 0xffffff, v4
	v_sub_nc_u32_e32 v3, v5, v6
	v_cndmask_b32_e64 v5, 0, 1, vcc_lo
	v_add_co_ci_u32_e64 v3, null, 0, v3, vcc_lo
	v_lshrrev_b32_e32 v4, v5, v4
; %bb.5198:                             ;   in Loop: Header=BB6_4858 Depth=2
	s_andn2_saveexec_b32 s12, s12
; %bb.5199:                             ;   in Loop: Header=BB6_4858 Depth=2
	v_bfe_u32 v3, v4, 23, 1
; %bb.5200:                             ;   in Loop: Header=BB6_4858 Depth=2
	s_or_b32 exec_lo, exec_lo, s12
	v_lshrrev_b32_e32 v4, 20, v4
	v_min_i32_e32 v5, 15, v3
	v_cmp_gt_i32_e32 vcc_lo, 16, v3
	v_and_b32_sdwa v2, v2, v102 dst_sel:DWORD dst_unused:UNUSED_PAD src0_sel:BYTE_3 src1_sel:DWORD
	v_lshlrev_b32_e32 v5, 3, v5
	v_cndmask_b32_e32 v4, 7, v4, vcc_lo
	v_and_b32_e32 v5, 0xf8, v5
	v_and_b32_e32 v6, 7, v4
	v_or_b32_e32 v3, v3, v4
	v_or3_b32 v2, v2, v5, v6
	v_cmp_ne_u32_e32 vcc_lo, 0, v3
	v_lshlrev_b32_e32 v2, 8, v2
	v_cndmask_b32_e32 v29, 0, v2, vcc_lo
.LBB6_5201:                             ;   in Loop: Header=BB6_4858 Depth=2
	s_or_b32 exec_lo, exec_lo, s41
.LBB6_5202:                             ;   in Loop: Header=BB6_4858 Depth=2
	s_or_b32 exec_lo, exec_lo, s40
	v_cmp_gt_i16_sdwa s40, v12, v101 src0_sel:BYTE_0 src1_sel:DWORD
	s_mov_b32 s12, 0
	s_and_saveexec_b32 s41, s40
	s_xor_b32 s40, exec_lo, s41
	s_cbranch_execz .LBB6_7088
; %bb.5203:                             ;   in Loop: Header=BB6_4858 Depth=2
	v_cmp_eq_u16_sdwa s42, v12, v102 src0_sel:BYTE_0 src1_sel:DWORD
	s_mov_b32 s12, -1
	s_and_saveexec_b32 s41, s42
; %bb.5204:                             ;   in Loop: Header=BB6_4858 Depth=2
	s_xor_b32 s12, exec_lo, -1
; %bb.5205:                             ;   in Loop: Header=BB6_4858 Depth=2
	s_or_b32 exec_lo, exec_lo, s41
	s_and_b32 s12, s12, exec_lo
	s_or_saveexec_b32 s40, s40
	v_mov_b32_e32 v2, 0x7f800001
	s_xor_b32 exec_lo, exec_lo, s40
	s_cbranch_execnz .LBB6_7089
.LBB6_5206:                             ;   in Loop: Header=BB6_4858 Depth=2
	s_or_b32 exec_lo, exec_lo, s40
	s_and_saveexec_b32 s40, s12
	s_cbranch_execz .LBB6_5208
.LBB6_5207:                             ;   in Loop: Header=BB6_4858 Depth=2
	v_and_b32_e32 v2, 7, v12
	v_bfe_u32 v5, v12, 3, 4
	v_lshlrev_b32_e32 v6, 24, v12
	v_ffbh_u32_e32 v3, v2
	v_cmp_eq_u32_e32 vcc_lo, 0, v5
	v_min_u32_e32 v3, 32, v3
	v_subrev_nc_u32_e32 v4, 28, v3
	v_sub_nc_u32_e32 v3, 29, v3
	v_lshlrev_b32_e32 v4, v4, v12
	v_cndmask_b32_e32 v3, v5, v3, vcc_lo
	v_and_b32_e32 v4, 7, v4
	v_lshl_add_u32 v3, v3, 23, 0x3b800000
	v_cndmask_b32_e32 v2, v2, v4, vcc_lo
	v_and_b32_e32 v4, 0x80000000, v6
	v_lshlrev_b32_e32 v2, 20, v2
	v_or3_b32 v2, v4, v3, v2
.LBB6_5208:                             ;   in Loop: Header=BB6_4858 Depth=2
	s_or_b32 exec_lo, exec_lo, s40
	v_mul_f32_e32 v2, s29, v2
	v_mov_b32_e32 v31, 0x80
	s_mov_b32 s40, exec_lo
	v_and_b32_e32 v3, 0x7f800000, v2
	v_cmpx_ne_u32_e32 0x7f800000, v3
	s_cbranch_execz .LBB6_5216
; %bb.5209:                             ;   in Loop: Header=BB6_4858 Depth=2
	v_mov_b32_e32 v31, 0
	s_mov_b32 s41, exec_lo
	v_cmpx_ne_u32_e32 0, v2
	s_cbranch_execz .LBB6_5215
; %bb.5210:                             ;   in Loop: Header=BB6_4858 Depth=2
	v_bfe_u32 v3, v2, 23, 8
	v_and_b32_e32 v4, 0x7fffff, v2
	v_sub_nc_u32_e32 v5, 0x78, v3
	v_cmp_gt_u32_e32 vcc_lo, 0x79, v3
	v_or_b32_e32 v6, 0x800000, v4
	v_cndmask_b32_e32 v5, 0, v5, vcc_lo
	v_cmp_eq_u32_e32 vcc_lo, 0, v3
	v_add_nc_u32_e32 v3, 0xffffff89, v3
	v_cndmask_b32_e64 v5, v5, 0x77, vcc_lo
	v_cndmask_b32_e32 v4, v6, v4, vcc_lo
	v_cndmask_b32_e64 v3, v3, 0xffffff8a, vcc_lo
	v_lshl_add_u32 v6, 0x100000, v5, -1
	v_lshrrev_b32_e32 v7, v5, v4
	v_lshlrev_b32_e64 v9, v5, 0x80000
	v_add_nc_u32_e32 v5, v5, v3
	v_and_b32_e32 v4, v6, v4
	v_bfe_u32 v8, v7, 20, 1
	v_cmp_eq_u32_e64 s12, v4, v9
	v_add_nc_u32_e32 v6, -1, v8
	v_cndmask_b32_e64 v4, 0, v6, s12
	v_lshrrev_b32_e32 v6, 23, v7
	s_mov_b32 s12, exec_lo
	v_add_nc_u32_e32 v4, v4, v7
	v_xor_b32_e32 v6, 1, v6
	v_and_b32_e32 v3, 0xfffff, v4
	v_add_nc_u32_e32 v4, v3, v7
                                        ; implicit-def: $vgpr3
	v_cmpx_ne_u32_e64 v5, v6
	s_xor_b32 s12, exec_lo, s12
; %bb.5211:                             ;   in Loop: Header=BB6_4858 Depth=2
	v_cmp_lt_u32_e32 vcc_lo, 0xffffff, v4
	v_sub_nc_u32_e32 v3, v5, v6
	v_cndmask_b32_e64 v5, 0, 1, vcc_lo
	v_add_co_ci_u32_e64 v3, null, 0, v3, vcc_lo
	v_lshrrev_b32_e32 v4, v5, v4
; %bb.5212:                             ;   in Loop: Header=BB6_4858 Depth=2
	s_andn2_saveexec_b32 s12, s12
; %bb.5213:                             ;   in Loop: Header=BB6_4858 Depth=2
	v_bfe_u32 v3, v4, 23, 1
; %bb.5214:                             ;   in Loop: Header=BB6_4858 Depth=2
	s_or_b32 exec_lo, exec_lo, s12
	v_lshrrev_b32_e32 v4, 20, v4
	v_min_i32_e32 v5, 15, v3
	v_cmp_gt_i32_e32 vcc_lo, 16, v3
	v_and_b32_sdwa v2, v2, v102 dst_sel:DWORD dst_unused:UNUSED_PAD src0_sel:BYTE_3 src1_sel:DWORD
	v_lshlrev_b32_e32 v5, 3, v5
	v_cndmask_b32_e32 v4, 7, v4, vcc_lo
	v_and_b32_e32 v5, 0xf8, v5
	v_and_b32_e32 v6, 7, v4
	v_or_b32_e32 v3, v3, v4
	v_or3_b32 v2, v5, v2, v6
	v_cmp_ne_u32_e32 vcc_lo, 0, v3
	v_cndmask_b32_e32 v31, 0, v2, vcc_lo
.LBB6_5215:                             ;   in Loop: Header=BB6_4858 Depth=2
	s_or_b32 exec_lo, exec_lo, s41
.LBB6_5216:                             ;   in Loop: Header=BB6_4858 Depth=2
	s_or_b32 exec_lo, exec_lo, s40
	v_cmp_gt_i16_sdwa s40, v12, v101 src0_sel:BYTE_1 src1_sel:DWORD
	s_mov_b32 s12, 0
	s_and_saveexec_b32 s41, s40
	s_xor_b32 s40, exec_lo, s41
	s_cbranch_execz .LBB6_7090
; %bb.5217:                             ;   in Loop: Header=BB6_4858 Depth=2
	v_cmp_eq_u16_sdwa s42, v12, v102 src0_sel:BYTE_1 src1_sel:DWORD
	s_mov_b32 s12, -1
	s_and_saveexec_b32 s41, s42
; %bb.5218:                             ;   in Loop: Header=BB6_4858 Depth=2
	s_xor_b32 s12, exec_lo, -1
; %bb.5219:                             ;   in Loop: Header=BB6_4858 Depth=2
	s_or_b32 exec_lo, exec_lo, s41
	s_and_b32 s12, s12, exec_lo
	s_or_saveexec_b32 s40, s40
	v_mov_b32_e32 v2, 0x7f800001
	s_xor_b32 exec_lo, exec_lo, s40
	s_cbranch_execnz .LBB6_7091
.LBB6_5220:                             ;   in Loop: Header=BB6_4858 Depth=2
	s_or_b32 exec_lo, exec_lo, s40
	s_and_saveexec_b32 s40, s12
	s_cbranch_execz .LBB6_5222
.LBB6_5221:                             ;   in Loop: Header=BB6_4858 Depth=2
	v_and_b32_sdwa v2, v103, v12 dst_sel:DWORD dst_unused:UNUSED_PAD src0_sel:DWORD src1_sel:BYTE_1
	v_and_b32_e32 v3, 7, v2
	v_bfe_u32 v6, v2, 3, 4
	v_ffbh_u32_e32 v4, v3
	v_cmp_eq_u32_e32 vcc_lo, 0, v6
	v_min_u32_e32 v4, 32, v4
	v_subrev_nc_u32_e32 v5, 28, v4
	v_sub_nc_u32_e32 v4, 29, v4
	v_lshlrev_b32_e32 v2, v5, v2
	v_lshlrev_b32_sdwa v5, v112, v12 dst_sel:DWORD dst_unused:UNUSED_PAD src0_sel:DWORD src1_sel:BYTE_1
	v_cndmask_b32_e32 v4, v6, v4, vcc_lo
	v_and_b32_e32 v2, 7, v2
	v_lshl_add_u32 v4, v4, 23, 0x3b800000
	v_cndmask_b32_e32 v2, v3, v2, vcc_lo
	v_and_b32_e32 v3, 0x80000000, v5
	v_lshlrev_b32_e32 v2, 20, v2
	v_or3_b32 v2, v3, v4, v2
.LBB6_5222:                             ;   in Loop: Header=BB6_4858 Depth=2
	s_or_b32 exec_lo, exec_lo, s40
	v_mul_f32_e32 v2, s29, v2
	v_mov_b32_e32 v126, 0x8000
	s_mov_b32 s40, exec_lo
	v_and_b32_e32 v3, 0x7f800000, v2
	v_cmpx_ne_u32_e32 0x7f800000, v3
	s_cbranch_execz .LBB6_5230
; %bb.5223:                             ;   in Loop: Header=BB6_4858 Depth=2
	v_mov_b32_e32 v126, 0
	s_mov_b32 s41, exec_lo
	v_cmpx_ne_u32_e32 0, v2
	s_cbranch_execz .LBB6_5229
; %bb.5224:                             ;   in Loop: Header=BB6_4858 Depth=2
	v_bfe_u32 v3, v2, 23, 8
	v_and_b32_e32 v4, 0x7fffff, v2
	v_sub_nc_u32_e32 v5, 0x78, v3
	v_cmp_gt_u32_e32 vcc_lo, 0x79, v3
	v_or_b32_e32 v6, 0x800000, v4
	v_cndmask_b32_e32 v5, 0, v5, vcc_lo
	v_cmp_eq_u32_e32 vcc_lo, 0, v3
	v_add_nc_u32_e32 v3, 0xffffff89, v3
	v_cndmask_b32_e64 v5, v5, 0x77, vcc_lo
	v_cndmask_b32_e32 v4, v6, v4, vcc_lo
	v_cndmask_b32_e64 v3, v3, 0xffffff8a, vcc_lo
	v_lshl_add_u32 v6, 0x100000, v5, -1
	v_lshrrev_b32_e32 v7, v5, v4
	v_lshlrev_b32_e64 v9, v5, 0x80000
	v_add_nc_u32_e32 v5, v5, v3
	v_and_b32_e32 v4, v6, v4
	v_bfe_u32 v8, v7, 20, 1
	v_cmp_eq_u32_e64 s12, v4, v9
	v_add_nc_u32_e32 v6, -1, v8
	v_cndmask_b32_e64 v4, 0, v6, s12
	v_lshrrev_b32_e32 v6, 23, v7
	s_mov_b32 s12, exec_lo
	v_add_nc_u32_e32 v4, v4, v7
	v_xor_b32_e32 v6, 1, v6
	v_and_b32_e32 v3, 0xfffff, v4
	v_add_nc_u32_e32 v4, v3, v7
                                        ; implicit-def: $vgpr3
	v_cmpx_ne_u32_e64 v5, v6
	s_xor_b32 s12, exec_lo, s12
; %bb.5225:                             ;   in Loop: Header=BB6_4858 Depth=2
	v_cmp_lt_u32_e32 vcc_lo, 0xffffff, v4
	v_sub_nc_u32_e32 v3, v5, v6
	v_cndmask_b32_e64 v5, 0, 1, vcc_lo
	v_add_co_ci_u32_e64 v3, null, 0, v3, vcc_lo
	v_lshrrev_b32_e32 v4, v5, v4
; %bb.5226:                             ;   in Loop: Header=BB6_4858 Depth=2
	s_andn2_saveexec_b32 s12, s12
; %bb.5227:                             ;   in Loop: Header=BB6_4858 Depth=2
	v_bfe_u32 v3, v4, 23, 1
; %bb.5228:                             ;   in Loop: Header=BB6_4858 Depth=2
	s_or_b32 exec_lo, exec_lo, s12
	v_lshrrev_b32_e32 v4, 20, v4
	v_min_i32_e32 v5, 15, v3
	v_cmp_gt_i32_e32 vcc_lo, 16, v3
	v_and_b32_sdwa v2, v2, v102 dst_sel:DWORD dst_unused:UNUSED_PAD src0_sel:BYTE_3 src1_sel:DWORD
	v_lshlrev_b32_e32 v5, 3, v5
	v_cndmask_b32_e32 v4, 7, v4, vcc_lo
	v_and_b32_e32 v5, 0xf8, v5
	v_and_b32_e32 v6, 7, v4
	v_or_b32_e32 v3, v3, v4
	v_or3_b32 v2, v2, v5, v6
	v_cmp_ne_u32_e32 vcc_lo, 0, v3
	v_lshlrev_b32_e32 v2, 8, v2
	v_cndmask_b32_e32 v126, 0, v2, vcc_lo
.LBB6_5229:                             ;   in Loop: Header=BB6_4858 Depth=2
	s_or_b32 exec_lo, exec_lo, s41
.LBB6_5230:                             ;   in Loop: Header=BB6_4858 Depth=2
	s_or_b32 exec_lo, exec_lo, s40
	v_and_b32_sdwa v3, v12, v113 dst_sel:DWORD dst_unused:UNUSED_PAD src0_sel:WORD_1 src1_sel:DWORD
	s_mov_b32 s12, 0
	s_mov_b32 s40, exec_lo
	v_cmpx_lt_i16_e32 0x7f, v3
	s_xor_b32 s40, exec_lo, s40
	s_cbranch_execz .LBB6_7092
; %bb.5231:                             ;   in Loop: Header=BB6_4858 Depth=2
	s_mov_b32 s12, -1
	s_mov_b32 s41, exec_lo
	v_cmpx_eq_u16_e32 0x80, v3
; %bb.5232:                             ;   in Loop: Header=BB6_4858 Depth=2
	s_xor_b32 s12, exec_lo, -1
; %bb.5233:                             ;   in Loop: Header=BB6_4858 Depth=2
	s_or_b32 exec_lo, exec_lo, s41
	s_and_b32 s12, s12, exec_lo
                                        ; implicit-def: $vgpr3
	s_or_saveexec_b32 s40, s40
	v_mov_b32_e32 v2, 0x7f800001
	s_xor_b32 exec_lo, exec_lo, s40
	s_cbranch_execnz .LBB6_7093
.LBB6_5234:                             ;   in Loop: Header=BB6_4858 Depth=2
	s_or_b32 exec_lo, exec_lo, s40
	s_and_saveexec_b32 s40, s12
	s_cbranch_execz .LBB6_5236
.LBB6_5235:                             ;   in Loop: Header=BB6_4858 Depth=2
	v_bfe_u32 v2, v12, 16, 3
	v_bfe_u32 v5, v12, 19, 4
	v_lshlrev_b32_e32 v6, 8, v12
	v_ffbh_u32_e32 v3, v2
	v_cmp_eq_u32_e32 vcc_lo, 0, v5
	v_min_u32_e32 v3, 32, v3
	v_subrev_nc_u32_e32 v4, 28, v3
	v_sub_nc_u32_e32 v3, 29, v3
	v_lshlrev_b32_sdwa v4, v4, v12 dst_sel:DWORD dst_unused:UNUSED_PAD src0_sel:DWORD src1_sel:WORD_1
	v_cndmask_b32_e32 v3, v5, v3, vcc_lo
	v_and_b32_e32 v4, 7, v4
	v_lshl_add_u32 v3, v3, 23, 0x3b800000
	v_cndmask_b32_e32 v2, v2, v4, vcc_lo
	v_and_b32_e32 v4, 0x80000000, v6
	v_lshlrev_b32_e32 v2, 20, v2
	v_or3_b32 v2, v4, v3, v2
.LBB6_5236:                             ;   in Loop: Header=BB6_4858 Depth=2
	s_or_b32 exec_lo, exec_lo, s40
	v_mul_f32_e32 v2, s29, v2
	v_mov_b32_e32 v122, 0x80
	s_mov_b32 s40, exec_lo
	v_and_b32_e32 v3, 0x7f800000, v2
	v_cmpx_ne_u32_e32 0x7f800000, v3
	s_cbranch_execz .LBB6_5244
; %bb.5237:                             ;   in Loop: Header=BB6_4858 Depth=2
	v_mov_b32_e32 v122, 0
	s_mov_b32 s41, exec_lo
	v_cmpx_ne_u32_e32 0, v2
	s_cbranch_execz .LBB6_5243
; %bb.5238:                             ;   in Loop: Header=BB6_4858 Depth=2
	v_bfe_u32 v3, v2, 23, 8
	v_and_b32_e32 v4, 0x7fffff, v2
	v_sub_nc_u32_e32 v5, 0x78, v3
	v_cmp_gt_u32_e32 vcc_lo, 0x79, v3
	v_or_b32_e32 v6, 0x800000, v4
	v_cndmask_b32_e32 v5, 0, v5, vcc_lo
	v_cmp_eq_u32_e32 vcc_lo, 0, v3
	v_add_nc_u32_e32 v3, 0xffffff89, v3
	v_cndmask_b32_e64 v5, v5, 0x77, vcc_lo
	v_cndmask_b32_e32 v4, v6, v4, vcc_lo
	v_cndmask_b32_e64 v3, v3, 0xffffff8a, vcc_lo
	v_lshl_add_u32 v6, 0x100000, v5, -1
	v_lshrrev_b32_e32 v7, v5, v4
	v_lshlrev_b32_e64 v9, v5, 0x80000
	v_add_nc_u32_e32 v5, v5, v3
	v_and_b32_e32 v4, v6, v4
	v_bfe_u32 v8, v7, 20, 1
	v_cmp_eq_u32_e64 s12, v4, v9
	v_add_nc_u32_e32 v6, -1, v8
	v_cndmask_b32_e64 v4, 0, v6, s12
	v_lshrrev_b32_e32 v6, 23, v7
	s_mov_b32 s12, exec_lo
	v_add_nc_u32_e32 v4, v4, v7
	v_xor_b32_e32 v6, 1, v6
	v_and_b32_e32 v3, 0xfffff, v4
	v_add_nc_u32_e32 v4, v3, v7
                                        ; implicit-def: $vgpr3
	v_cmpx_ne_u32_e64 v5, v6
	s_xor_b32 s12, exec_lo, s12
; %bb.5239:                             ;   in Loop: Header=BB6_4858 Depth=2
	v_cmp_lt_u32_e32 vcc_lo, 0xffffff, v4
	v_sub_nc_u32_e32 v3, v5, v6
	v_cndmask_b32_e64 v5, 0, 1, vcc_lo
	v_add_co_ci_u32_e64 v3, null, 0, v3, vcc_lo
	v_lshrrev_b32_e32 v4, v5, v4
; %bb.5240:                             ;   in Loop: Header=BB6_4858 Depth=2
	s_andn2_saveexec_b32 s12, s12
; %bb.5241:                             ;   in Loop: Header=BB6_4858 Depth=2
	v_bfe_u32 v3, v4, 23, 1
; %bb.5242:                             ;   in Loop: Header=BB6_4858 Depth=2
	s_or_b32 exec_lo, exec_lo, s12
	v_lshrrev_b32_e32 v4, 20, v4
	v_min_i32_e32 v5, 15, v3
	v_cmp_gt_i32_e32 vcc_lo, 16, v3
	v_and_b32_sdwa v2, v2, v102 dst_sel:DWORD dst_unused:UNUSED_PAD src0_sel:BYTE_3 src1_sel:DWORD
	v_lshlrev_b32_e32 v5, 3, v5
	v_cndmask_b32_e32 v4, 7, v4, vcc_lo
	v_and_b32_e32 v5, 0xf8, v5
	v_and_b32_e32 v6, 7, v4
	v_or_b32_e32 v3, v3, v4
	v_or3_b32 v2, v5, v2, v6
	v_cmp_ne_u32_e32 vcc_lo, 0, v3
	v_cndmask_b32_e32 v122, 0, v2, vcc_lo
.LBB6_5243:                             ;   in Loop: Header=BB6_4858 Depth=2
	s_or_b32 exec_lo, exec_lo, s41
.LBB6_5244:                             ;   in Loop: Header=BB6_4858 Depth=2
	s_or_b32 exec_lo, exec_lo, s40
	v_cmp_gt_i16_sdwa s40, v12, v101 src0_sel:BYTE_3 src1_sel:DWORD
	s_mov_b32 s12, 0
	s_and_saveexec_b32 s41, s40
	s_xor_b32 s40, exec_lo, s41
	s_cbranch_execz .LBB6_7094
; %bb.5245:                             ;   in Loop: Header=BB6_4858 Depth=2
	v_cmp_eq_u16_sdwa s42, v12, v102 src0_sel:BYTE_3 src1_sel:DWORD
	s_mov_b32 s12, -1
	s_and_saveexec_b32 s41, s42
; %bb.5246:                             ;   in Loop: Header=BB6_4858 Depth=2
	s_xor_b32 s12, exec_lo, -1
; %bb.5247:                             ;   in Loop: Header=BB6_4858 Depth=2
	s_or_b32 exec_lo, exec_lo, s41
	s_and_b32 s12, s12, exec_lo
	s_or_saveexec_b32 s40, s40
	v_mov_b32_e32 v2, 0x7f800001
	s_xor_b32 exec_lo, exec_lo, s40
	s_cbranch_execnz .LBB6_7095
.LBB6_5248:                             ;   in Loop: Header=BB6_4858 Depth=2
	s_or_b32 exec_lo, exec_lo, s40
	s_and_saveexec_b32 s40, s12
	s_cbranch_execz .LBB6_5250
.LBB6_5249:                             ;   in Loop: Header=BB6_4858 Depth=2
	v_bfe_u32 v2, v12, 24, 3
	v_bfe_u32 v5, v12, 27, 4
	v_ffbh_u32_e32 v3, v2
	v_cmp_eq_u32_e32 vcc_lo, 0, v5
	v_min_u32_e32 v3, 32, v3
	v_subrev_nc_u32_e32 v4, 28, v3
	v_sub_nc_u32_e32 v3, 29, v3
	v_lshlrev_b32_sdwa v4, v4, v12 dst_sel:DWORD dst_unused:UNUSED_PAD src0_sel:DWORD src1_sel:BYTE_3
	v_cndmask_b32_e32 v3, v5, v3, vcc_lo
	v_and_b32_e32 v4, 7, v4
	v_lshl_add_u32 v3, v3, 23, 0x3b800000
	v_cndmask_b32_e32 v2, v2, v4, vcc_lo
	v_and_b32_e32 v4, 0x80000000, v12
	v_lshlrev_b32_e32 v2, 20, v2
	v_or3_b32 v2, v4, v3, v2
.LBB6_5250:                             ;   in Loop: Header=BB6_4858 Depth=2
	s_or_b32 exec_lo, exec_lo, s40
	v_mul_f32_e32 v2, s29, v2
	v_mov_b32_e32 v124, 0x8000
	s_mov_b32 s40, exec_lo
	v_and_b32_e32 v3, 0x7f800000, v2
	v_cmpx_ne_u32_e32 0x7f800000, v3
	s_cbranch_execz .LBB6_5258
; %bb.5251:                             ;   in Loop: Header=BB6_4858 Depth=2
	v_mov_b32_e32 v124, 0
	s_mov_b32 s41, exec_lo
	v_cmpx_ne_u32_e32 0, v2
	s_cbranch_execz .LBB6_5257
; %bb.5252:                             ;   in Loop: Header=BB6_4858 Depth=2
	v_bfe_u32 v3, v2, 23, 8
	v_and_b32_e32 v4, 0x7fffff, v2
	v_sub_nc_u32_e32 v5, 0x78, v3
	v_cmp_gt_u32_e32 vcc_lo, 0x79, v3
	v_or_b32_e32 v6, 0x800000, v4
	v_cndmask_b32_e32 v5, 0, v5, vcc_lo
	v_cmp_eq_u32_e32 vcc_lo, 0, v3
	v_add_nc_u32_e32 v3, 0xffffff89, v3
	v_cndmask_b32_e64 v5, v5, 0x77, vcc_lo
	v_cndmask_b32_e32 v4, v6, v4, vcc_lo
	v_cndmask_b32_e64 v3, v3, 0xffffff8a, vcc_lo
	v_lshl_add_u32 v6, 0x100000, v5, -1
	v_lshrrev_b32_e32 v7, v5, v4
	v_lshlrev_b32_e64 v9, v5, 0x80000
	v_add_nc_u32_e32 v5, v5, v3
	v_and_b32_e32 v4, v6, v4
	v_bfe_u32 v8, v7, 20, 1
	v_cmp_eq_u32_e64 s12, v4, v9
	v_add_nc_u32_e32 v6, -1, v8
	v_cndmask_b32_e64 v4, 0, v6, s12
	v_lshrrev_b32_e32 v6, 23, v7
	s_mov_b32 s12, exec_lo
	v_add_nc_u32_e32 v4, v4, v7
	v_xor_b32_e32 v6, 1, v6
	v_and_b32_e32 v3, 0xfffff, v4
	v_add_nc_u32_e32 v4, v3, v7
                                        ; implicit-def: $vgpr3
	v_cmpx_ne_u32_e64 v5, v6
	s_xor_b32 s12, exec_lo, s12
; %bb.5253:                             ;   in Loop: Header=BB6_4858 Depth=2
	v_cmp_lt_u32_e32 vcc_lo, 0xffffff, v4
	v_sub_nc_u32_e32 v3, v5, v6
	v_cndmask_b32_e64 v5, 0, 1, vcc_lo
	v_add_co_ci_u32_e64 v3, null, 0, v3, vcc_lo
	v_lshrrev_b32_e32 v4, v5, v4
; %bb.5254:                             ;   in Loop: Header=BB6_4858 Depth=2
	s_andn2_saveexec_b32 s12, s12
; %bb.5255:                             ;   in Loop: Header=BB6_4858 Depth=2
	v_bfe_u32 v3, v4, 23, 1
; %bb.5256:                             ;   in Loop: Header=BB6_4858 Depth=2
	s_or_b32 exec_lo, exec_lo, s12
	v_lshrrev_b32_e32 v4, 20, v4
	v_min_i32_e32 v5, 15, v3
	v_cmp_gt_i32_e32 vcc_lo, 16, v3
	v_and_b32_sdwa v2, v2, v102 dst_sel:DWORD dst_unused:UNUSED_PAD src0_sel:BYTE_3 src1_sel:DWORD
	v_lshlrev_b32_e32 v5, 3, v5
	v_cndmask_b32_e32 v4, 7, v4, vcc_lo
	v_and_b32_e32 v5, 0xf8, v5
	v_and_b32_e32 v6, 7, v4
	v_or_b32_e32 v3, v3, v4
	v_or3_b32 v2, v2, v5, v6
	v_cmp_ne_u32_e32 vcc_lo, 0, v3
	v_lshlrev_b32_e32 v2, 8, v2
	v_cndmask_b32_e32 v124, 0, v2, vcc_lo
.LBB6_5257:                             ;   in Loop: Header=BB6_4858 Depth=2
	s_or_b32 exec_lo, exec_lo, s41
.LBB6_5258:                             ;   in Loop: Header=BB6_4858 Depth=2
	s_or_b32 exec_lo, exec_lo, s40
	v_cmp_gt_i16_sdwa s40, v13, v101 src0_sel:BYTE_0 src1_sel:DWORD
	s_mov_b32 s12, 0
	s_and_saveexec_b32 s41, s40
	s_xor_b32 s40, exec_lo, s41
	s_cbranch_execz .LBB6_7096
; %bb.5259:                             ;   in Loop: Header=BB6_4858 Depth=2
	v_cmp_eq_u16_sdwa s42, v13, v102 src0_sel:BYTE_0 src1_sel:DWORD
	s_mov_b32 s12, -1
	s_and_saveexec_b32 s41, s42
; %bb.5260:                             ;   in Loop: Header=BB6_4858 Depth=2
	s_xor_b32 s12, exec_lo, -1
; %bb.5261:                             ;   in Loop: Header=BB6_4858 Depth=2
	s_or_b32 exec_lo, exec_lo, s41
	s_and_b32 s12, s12, exec_lo
	s_or_saveexec_b32 s40, s40
	v_mov_b32_e32 v2, 0x7f800001
	s_xor_b32 exec_lo, exec_lo, s40
	s_cbranch_execnz .LBB6_7097
.LBB6_5262:                             ;   in Loop: Header=BB6_4858 Depth=2
	s_or_b32 exec_lo, exec_lo, s40
	s_and_saveexec_b32 s40, s12
	s_cbranch_execz .LBB6_5264
.LBB6_5263:                             ;   in Loop: Header=BB6_4858 Depth=2
	v_and_b32_e32 v2, 7, v13
	v_bfe_u32 v5, v13, 3, 4
	v_lshlrev_b32_e32 v6, 24, v13
	v_ffbh_u32_e32 v3, v2
	v_cmp_eq_u32_e32 vcc_lo, 0, v5
	v_min_u32_e32 v3, 32, v3
	v_subrev_nc_u32_e32 v4, 28, v3
	v_sub_nc_u32_e32 v3, 29, v3
	v_lshlrev_b32_e32 v4, v4, v13
	v_cndmask_b32_e32 v3, v5, v3, vcc_lo
	v_and_b32_e32 v4, 7, v4
	v_lshl_add_u32 v3, v3, 23, 0x3b800000
	v_cndmask_b32_e32 v2, v2, v4, vcc_lo
	v_and_b32_e32 v4, 0x80000000, v6
	v_lshlrev_b32_e32 v2, 20, v2
	v_or3_b32 v2, v4, v3, v2
.LBB6_5264:                             ;   in Loop: Header=BB6_4858 Depth=2
	s_or_b32 exec_lo, exec_lo, s40
	v_mul_f32_e32 v2, s29, v2
	v_mov_b32_e32 v30, 0x80
	s_mov_b32 s40, exec_lo
	v_and_b32_e32 v3, 0x7f800000, v2
	v_cmpx_ne_u32_e32 0x7f800000, v3
	s_cbranch_execz .LBB6_5272
; %bb.5265:                             ;   in Loop: Header=BB6_4858 Depth=2
	v_mov_b32_e32 v30, 0
	s_mov_b32 s41, exec_lo
	v_cmpx_ne_u32_e32 0, v2
	s_cbranch_execz .LBB6_5271
; %bb.5266:                             ;   in Loop: Header=BB6_4858 Depth=2
	v_bfe_u32 v3, v2, 23, 8
	v_and_b32_e32 v4, 0x7fffff, v2
	v_sub_nc_u32_e32 v5, 0x78, v3
	v_cmp_gt_u32_e32 vcc_lo, 0x79, v3
	v_or_b32_e32 v6, 0x800000, v4
	v_cndmask_b32_e32 v5, 0, v5, vcc_lo
	v_cmp_eq_u32_e32 vcc_lo, 0, v3
	v_add_nc_u32_e32 v3, 0xffffff89, v3
	v_cndmask_b32_e64 v5, v5, 0x77, vcc_lo
	v_cndmask_b32_e32 v4, v6, v4, vcc_lo
	v_cndmask_b32_e64 v3, v3, 0xffffff8a, vcc_lo
	v_lshl_add_u32 v6, 0x100000, v5, -1
	v_lshrrev_b32_e32 v7, v5, v4
	v_lshlrev_b32_e64 v9, v5, 0x80000
	v_add_nc_u32_e32 v5, v5, v3
	v_and_b32_e32 v4, v6, v4
	v_bfe_u32 v8, v7, 20, 1
	v_cmp_eq_u32_e64 s12, v4, v9
	v_add_nc_u32_e32 v6, -1, v8
	v_cndmask_b32_e64 v4, 0, v6, s12
	v_lshrrev_b32_e32 v6, 23, v7
	s_mov_b32 s12, exec_lo
	v_add_nc_u32_e32 v4, v4, v7
	v_xor_b32_e32 v6, 1, v6
	v_and_b32_e32 v3, 0xfffff, v4
	v_add_nc_u32_e32 v4, v3, v7
                                        ; implicit-def: $vgpr3
	v_cmpx_ne_u32_e64 v5, v6
	s_xor_b32 s12, exec_lo, s12
; %bb.5267:                             ;   in Loop: Header=BB6_4858 Depth=2
	v_cmp_lt_u32_e32 vcc_lo, 0xffffff, v4
	v_sub_nc_u32_e32 v3, v5, v6
	v_cndmask_b32_e64 v5, 0, 1, vcc_lo
	v_add_co_ci_u32_e64 v3, null, 0, v3, vcc_lo
	v_lshrrev_b32_e32 v4, v5, v4
; %bb.5268:                             ;   in Loop: Header=BB6_4858 Depth=2
	s_andn2_saveexec_b32 s12, s12
; %bb.5269:                             ;   in Loop: Header=BB6_4858 Depth=2
	v_bfe_u32 v3, v4, 23, 1
; %bb.5270:                             ;   in Loop: Header=BB6_4858 Depth=2
	s_or_b32 exec_lo, exec_lo, s12
	v_lshrrev_b32_e32 v4, 20, v4
	v_min_i32_e32 v5, 15, v3
	v_cmp_gt_i32_e32 vcc_lo, 16, v3
	v_and_b32_sdwa v2, v2, v102 dst_sel:DWORD dst_unused:UNUSED_PAD src0_sel:BYTE_3 src1_sel:DWORD
	v_lshlrev_b32_e32 v5, 3, v5
	v_cndmask_b32_e32 v4, 7, v4, vcc_lo
	v_and_b32_e32 v5, 0xf8, v5
	v_and_b32_e32 v6, 7, v4
	v_or_b32_e32 v3, v3, v4
	v_or3_b32 v2, v5, v2, v6
	v_cmp_ne_u32_e32 vcc_lo, 0, v3
	v_cndmask_b32_e32 v30, 0, v2, vcc_lo
.LBB6_5271:                             ;   in Loop: Header=BB6_4858 Depth=2
	s_or_b32 exec_lo, exec_lo, s41
.LBB6_5272:                             ;   in Loop: Header=BB6_4858 Depth=2
	s_or_b32 exec_lo, exec_lo, s40
	v_cmp_gt_i16_sdwa s40, v13, v101 src0_sel:BYTE_1 src1_sel:DWORD
	s_mov_b32 s12, 0
	s_and_saveexec_b32 s41, s40
	s_xor_b32 s40, exec_lo, s41
	s_cbranch_execz .LBB6_7098
; %bb.5273:                             ;   in Loop: Header=BB6_4858 Depth=2
	v_cmp_eq_u16_sdwa s42, v13, v102 src0_sel:BYTE_1 src1_sel:DWORD
	s_mov_b32 s12, -1
	s_and_saveexec_b32 s41, s42
; %bb.5274:                             ;   in Loop: Header=BB6_4858 Depth=2
	s_xor_b32 s12, exec_lo, -1
; %bb.5275:                             ;   in Loop: Header=BB6_4858 Depth=2
	s_or_b32 exec_lo, exec_lo, s41
	s_and_b32 s12, s12, exec_lo
	s_or_saveexec_b32 s40, s40
	v_mov_b32_e32 v2, 0x7f800001
	s_xor_b32 exec_lo, exec_lo, s40
	s_cbranch_execnz .LBB6_7099
.LBB6_5276:                             ;   in Loop: Header=BB6_4858 Depth=2
	s_or_b32 exec_lo, exec_lo, s40
	s_and_saveexec_b32 s40, s12
	s_cbranch_execz .LBB6_5278
.LBB6_5277:                             ;   in Loop: Header=BB6_4858 Depth=2
	v_and_b32_sdwa v2, v103, v13 dst_sel:DWORD dst_unused:UNUSED_PAD src0_sel:DWORD src1_sel:BYTE_1
	v_and_b32_e32 v3, 7, v2
	v_bfe_u32 v6, v2, 3, 4
	v_ffbh_u32_e32 v4, v3
	v_cmp_eq_u32_e32 vcc_lo, 0, v6
	v_min_u32_e32 v4, 32, v4
	v_subrev_nc_u32_e32 v5, 28, v4
	v_sub_nc_u32_e32 v4, 29, v4
	v_lshlrev_b32_e32 v2, v5, v2
	v_lshlrev_b32_sdwa v5, v112, v13 dst_sel:DWORD dst_unused:UNUSED_PAD src0_sel:DWORD src1_sel:BYTE_1
	v_cndmask_b32_e32 v4, v6, v4, vcc_lo
	v_and_b32_e32 v2, 7, v2
	v_lshl_add_u32 v4, v4, 23, 0x3b800000
	v_cndmask_b32_e32 v2, v3, v2, vcc_lo
	v_and_b32_e32 v3, 0x80000000, v5
	v_lshlrev_b32_e32 v2, 20, v2
	v_or3_b32 v2, v3, v4, v2
.LBB6_5278:                             ;   in Loop: Header=BB6_4858 Depth=2
	s_or_b32 exec_lo, exec_lo, s40
	v_mul_f32_e32 v2, s29, v2
	v_mov_b32_e32 v121, 0x8000
	s_mov_b32 s40, exec_lo
	v_and_b32_e32 v3, 0x7f800000, v2
	v_cmpx_ne_u32_e32 0x7f800000, v3
	s_cbranch_execz .LBB6_5286
; %bb.5279:                             ;   in Loop: Header=BB6_4858 Depth=2
	v_mov_b32_e32 v121, 0
	s_mov_b32 s41, exec_lo
	v_cmpx_ne_u32_e32 0, v2
	s_cbranch_execz .LBB6_5285
; %bb.5280:                             ;   in Loop: Header=BB6_4858 Depth=2
	v_bfe_u32 v3, v2, 23, 8
	v_and_b32_e32 v4, 0x7fffff, v2
	v_sub_nc_u32_e32 v5, 0x78, v3
	v_cmp_gt_u32_e32 vcc_lo, 0x79, v3
	v_or_b32_e32 v6, 0x800000, v4
	v_cndmask_b32_e32 v5, 0, v5, vcc_lo
	v_cmp_eq_u32_e32 vcc_lo, 0, v3
	v_add_nc_u32_e32 v3, 0xffffff89, v3
	v_cndmask_b32_e64 v5, v5, 0x77, vcc_lo
	v_cndmask_b32_e32 v4, v6, v4, vcc_lo
	v_cndmask_b32_e64 v3, v3, 0xffffff8a, vcc_lo
	v_lshl_add_u32 v6, 0x100000, v5, -1
	v_lshrrev_b32_e32 v7, v5, v4
	v_lshlrev_b32_e64 v9, v5, 0x80000
	v_add_nc_u32_e32 v5, v5, v3
	v_and_b32_e32 v4, v6, v4
	v_bfe_u32 v8, v7, 20, 1
	v_cmp_eq_u32_e64 s12, v4, v9
	v_add_nc_u32_e32 v6, -1, v8
	v_cndmask_b32_e64 v4, 0, v6, s12
	v_lshrrev_b32_e32 v6, 23, v7
	s_mov_b32 s12, exec_lo
	v_add_nc_u32_e32 v4, v4, v7
	v_xor_b32_e32 v6, 1, v6
	v_and_b32_e32 v3, 0xfffff, v4
	v_add_nc_u32_e32 v4, v3, v7
                                        ; implicit-def: $vgpr3
	v_cmpx_ne_u32_e64 v5, v6
	s_xor_b32 s12, exec_lo, s12
; %bb.5281:                             ;   in Loop: Header=BB6_4858 Depth=2
	v_cmp_lt_u32_e32 vcc_lo, 0xffffff, v4
	v_sub_nc_u32_e32 v3, v5, v6
	v_cndmask_b32_e64 v5, 0, 1, vcc_lo
	v_add_co_ci_u32_e64 v3, null, 0, v3, vcc_lo
	v_lshrrev_b32_e32 v4, v5, v4
; %bb.5282:                             ;   in Loop: Header=BB6_4858 Depth=2
	s_andn2_saveexec_b32 s12, s12
; %bb.5283:                             ;   in Loop: Header=BB6_4858 Depth=2
	v_bfe_u32 v3, v4, 23, 1
; %bb.5284:                             ;   in Loop: Header=BB6_4858 Depth=2
	s_or_b32 exec_lo, exec_lo, s12
	v_lshrrev_b32_e32 v4, 20, v4
	v_min_i32_e32 v5, 15, v3
	v_cmp_gt_i32_e32 vcc_lo, 16, v3
	v_and_b32_sdwa v2, v2, v102 dst_sel:DWORD dst_unused:UNUSED_PAD src0_sel:BYTE_3 src1_sel:DWORD
	v_lshlrev_b32_e32 v5, 3, v5
	v_cndmask_b32_e32 v4, 7, v4, vcc_lo
	v_and_b32_e32 v5, 0xf8, v5
	v_and_b32_e32 v6, 7, v4
	v_or_b32_e32 v3, v3, v4
	v_or3_b32 v2, v2, v5, v6
	v_cmp_ne_u32_e32 vcc_lo, 0, v3
	v_lshlrev_b32_e32 v2, 8, v2
	v_cndmask_b32_e32 v121, 0, v2, vcc_lo
.LBB6_5285:                             ;   in Loop: Header=BB6_4858 Depth=2
	s_or_b32 exec_lo, exec_lo, s41
.LBB6_5286:                             ;   in Loop: Header=BB6_4858 Depth=2
	s_or_b32 exec_lo, exec_lo, s40
	v_and_b32_sdwa v3, v13, v113 dst_sel:DWORD dst_unused:UNUSED_PAD src0_sel:WORD_1 src1_sel:DWORD
	s_mov_b32 s12, 0
	s_mov_b32 s40, exec_lo
	v_cmpx_lt_i16_e32 0x7f, v3
	s_xor_b32 s40, exec_lo, s40
	s_cbranch_execz .LBB6_7100
; %bb.5287:                             ;   in Loop: Header=BB6_4858 Depth=2
	s_mov_b32 s12, -1
	s_mov_b32 s41, exec_lo
	v_cmpx_eq_u16_e32 0x80, v3
; %bb.5288:                             ;   in Loop: Header=BB6_4858 Depth=2
	s_xor_b32 s12, exec_lo, -1
; %bb.5289:                             ;   in Loop: Header=BB6_4858 Depth=2
	s_or_b32 exec_lo, exec_lo, s41
	s_and_b32 s12, s12, exec_lo
                                        ; implicit-def: $vgpr3
	s_or_saveexec_b32 s40, s40
	v_mov_b32_e32 v2, 0x7f800001
	s_xor_b32 exec_lo, exec_lo, s40
	s_cbranch_execnz .LBB6_7101
.LBB6_5290:                             ;   in Loop: Header=BB6_4858 Depth=2
	s_or_b32 exec_lo, exec_lo, s40
	s_and_saveexec_b32 s40, s12
	s_cbranch_execz .LBB6_5292
.LBB6_5291:                             ;   in Loop: Header=BB6_4858 Depth=2
	v_bfe_u32 v2, v13, 16, 3
	v_bfe_u32 v5, v13, 19, 4
	v_lshlrev_b32_e32 v6, 8, v13
	v_ffbh_u32_e32 v3, v2
	v_cmp_eq_u32_e32 vcc_lo, 0, v5
	v_min_u32_e32 v3, 32, v3
	v_subrev_nc_u32_e32 v4, 28, v3
	v_sub_nc_u32_e32 v3, 29, v3
	v_lshlrev_b32_sdwa v4, v4, v13 dst_sel:DWORD dst_unused:UNUSED_PAD src0_sel:DWORD src1_sel:WORD_1
	v_cndmask_b32_e32 v3, v5, v3, vcc_lo
	v_and_b32_e32 v4, 7, v4
	v_lshl_add_u32 v3, v3, 23, 0x3b800000
	v_cndmask_b32_e32 v2, v2, v4, vcc_lo
	v_and_b32_e32 v4, 0x80000000, v6
	v_lshlrev_b32_e32 v2, 20, v2
	v_or3_b32 v2, v4, v3, v2
.LBB6_5292:                             ;   in Loop: Header=BB6_4858 Depth=2
	s_or_b32 exec_lo, exec_lo, s40
	v_mul_f32_e32 v2, s29, v2
	v_and_b32_e32 v3, 0x7f800000, v2
	v_cmp_ne_u32_e32 vcc_lo, 0x7f800000, v3
	v_mov_b32_e32 v3, 0x80
	s_and_saveexec_b32 s40, vcc_lo
	s_cbranch_execz .LBB6_5300
; %bb.5293:                             ;   in Loop: Header=BB6_4858 Depth=2
	v_mov_b32_e32 v3, 0
	s_mov_b32 s41, exec_lo
	v_cmpx_ne_u32_e32 0, v2
	s_cbranch_execz .LBB6_5299
; %bb.5294:                             ;   in Loop: Header=BB6_4858 Depth=2
	v_bfe_u32 v3, v2, 23, 8
	v_and_b32_e32 v4, 0x7fffff, v2
	v_sub_nc_u32_e32 v5, 0x78, v3
	v_cmp_gt_u32_e32 vcc_lo, 0x79, v3
	v_or_b32_e32 v6, 0x800000, v4
	v_cndmask_b32_e32 v5, 0, v5, vcc_lo
	v_cmp_eq_u32_e32 vcc_lo, 0, v3
	v_add_nc_u32_e32 v3, 0xffffff89, v3
	v_cndmask_b32_e64 v5, v5, 0x77, vcc_lo
	v_cndmask_b32_e32 v4, v6, v4, vcc_lo
	v_cndmask_b32_e64 v3, v3, 0xffffff8a, vcc_lo
	v_lshl_add_u32 v6, 0x100000, v5, -1
	v_lshrrev_b32_e32 v7, v5, v4
	v_lshlrev_b32_e64 v9, v5, 0x80000
	v_add_nc_u32_e32 v5, v5, v3
	v_and_b32_e32 v4, v6, v4
	v_bfe_u32 v8, v7, 20, 1
	v_cmp_eq_u32_e64 s12, v4, v9
	v_add_nc_u32_e32 v6, -1, v8
	v_cndmask_b32_e64 v4, 0, v6, s12
	v_lshrrev_b32_e32 v6, 23, v7
	s_mov_b32 s12, exec_lo
	v_add_nc_u32_e32 v4, v4, v7
	v_xor_b32_e32 v6, 1, v6
	v_and_b32_e32 v3, 0xfffff, v4
	v_add_nc_u32_e32 v4, v3, v7
                                        ; implicit-def: $vgpr3
	v_cmpx_ne_u32_e64 v5, v6
	s_xor_b32 s12, exec_lo, s12
; %bb.5295:                             ;   in Loop: Header=BB6_4858 Depth=2
	v_cmp_lt_u32_e32 vcc_lo, 0xffffff, v4
	v_sub_nc_u32_e32 v3, v5, v6
	v_cndmask_b32_e64 v5, 0, 1, vcc_lo
	v_add_co_ci_u32_e64 v3, null, 0, v3, vcc_lo
	v_lshrrev_b32_e32 v4, v5, v4
; %bb.5296:                             ;   in Loop: Header=BB6_4858 Depth=2
	s_andn2_saveexec_b32 s12, s12
; %bb.5297:                             ;   in Loop: Header=BB6_4858 Depth=2
	v_bfe_u32 v3, v4, 23, 1
; %bb.5298:                             ;   in Loop: Header=BB6_4858 Depth=2
	s_or_b32 exec_lo, exec_lo, s12
	v_lshrrev_b32_e32 v4, 20, v4
	v_min_i32_e32 v5, 15, v3
	v_cmp_gt_i32_e32 vcc_lo, 16, v3
	v_and_b32_sdwa v2, v2, v102 dst_sel:DWORD dst_unused:UNUSED_PAD src0_sel:BYTE_3 src1_sel:DWORD
	v_lshlrev_b32_e32 v5, 3, v5
	v_cndmask_b32_e32 v4, 7, v4, vcc_lo
	v_and_b32_e32 v5, 0xf8, v5
	v_and_b32_e32 v6, 7, v4
	v_or_b32_e32 v3, v3, v4
	v_or3_b32 v2, v5, v2, v6
	v_cmp_ne_u32_e32 vcc_lo, 0, v3
	v_cndmask_b32_e32 v3, 0, v2, vcc_lo
.LBB6_5299:                             ;   in Loop: Header=BB6_4858 Depth=2
	s_or_b32 exec_lo, exec_lo, s41
.LBB6_5300:                             ;   in Loop: Header=BB6_4858 Depth=2
	s_or_b32 exec_lo, exec_lo, s40
	v_cmp_gt_i16_sdwa s40, v13, v101 src0_sel:BYTE_3 src1_sel:DWORD
	s_mov_b32 s12, 0
	s_and_saveexec_b32 s41, s40
	s_xor_b32 s40, exec_lo, s41
	s_cbranch_execz .LBB6_7102
; %bb.5301:                             ;   in Loop: Header=BB6_4858 Depth=2
	v_cmp_eq_u16_sdwa s42, v13, v102 src0_sel:BYTE_3 src1_sel:DWORD
	s_mov_b32 s12, -1
	s_and_saveexec_b32 s41, s42
; %bb.5302:                             ;   in Loop: Header=BB6_4858 Depth=2
	s_xor_b32 s12, exec_lo, -1
; %bb.5303:                             ;   in Loop: Header=BB6_4858 Depth=2
	s_or_b32 exec_lo, exec_lo, s41
	s_and_b32 s12, s12, exec_lo
	s_or_saveexec_b32 s40, s40
	v_mov_b32_e32 v2, 0x7f800001
	s_xor_b32 exec_lo, exec_lo, s40
	s_cbranch_execnz .LBB6_7103
.LBB6_5304:                             ;   in Loop: Header=BB6_4858 Depth=2
	s_or_b32 exec_lo, exec_lo, s40
	s_and_saveexec_b32 s40, s12
	s_cbranch_execz .LBB6_5306
.LBB6_5305:                             ;   in Loop: Header=BB6_4858 Depth=2
	v_bfe_u32 v2, v13, 24, 3
	v_bfe_u32 v6, v13, 27, 4
	v_ffbh_u32_e32 v4, v2
	v_cmp_eq_u32_e32 vcc_lo, 0, v6
	v_min_u32_e32 v4, 32, v4
	v_subrev_nc_u32_e32 v5, 28, v4
	v_sub_nc_u32_e32 v4, 29, v4
	v_lshlrev_b32_sdwa v5, v5, v13 dst_sel:DWORD dst_unused:UNUSED_PAD src0_sel:DWORD src1_sel:BYTE_3
	v_cndmask_b32_e32 v4, v6, v4, vcc_lo
	v_and_b32_e32 v5, 7, v5
	v_lshl_add_u32 v4, v4, 23, 0x3b800000
	v_cndmask_b32_e32 v2, v2, v5, vcc_lo
	v_and_b32_e32 v5, 0x80000000, v13
	v_lshlrev_b32_e32 v2, 20, v2
	v_or3_b32 v2, v5, v4, v2
.LBB6_5306:                             ;   in Loop: Header=BB6_4858 Depth=2
	s_or_b32 exec_lo, exec_lo, s40
	v_mul_f32_e32 v2, s29, v2
	v_mov_b32_e32 v111, 0x8000
	s_mov_b32 s40, exec_lo
	v_and_b32_e32 v4, 0x7f800000, v2
	v_cmpx_ne_u32_e32 0x7f800000, v4
	s_cbranch_execz .LBB6_5314
; %bb.5307:                             ;   in Loop: Header=BB6_4858 Depth=2
	v_mov_b32_e32 v111, 0
	s_mov_b32 s41, exec_lo
	v_cmpx_ne_u32_e32 0, v2
	s_cbranch_execz .LBB6_5313
; %bb.5308:                             ;   in Loop: Header=BB6_4858 Depth=2
	v_bfe_u32 v4, v2, 23, 8
	v_and_b32_e32 v5, 0x7fffff, v2
	v_sub_nc_u32_e32 v6, 0x78, v4
	v_cmp_gt_u32_e32 vcc_lo, 0x79, v4
	v_or_b32_e32 v7, 0x800000, v5
	v_cndmask_b32_e32 v6, 0, v6, vcc_lo
	v_cmp_eq_u32_e32 vcc_lo, 0, v4
	v_add_nc_u32_e32 v4, 0xffffff89, v4
	v_cndmask_b32_e64 v6, v6, 0x77, vcc_lo
	v_cndmask_b32_e32 v5, v7, v5, vcc_lo
	v_cndmask_b32_e64 v4, v4, 0xffffff8a, vcc_lo
	v_lshl_add_u32 v7, 0x100000, v6, -1
	v_lshrrev_b32_e32 v8, v6, v5
	v_lshlrev_b32_e64 v10, v6, 0x80000
	v_add_nc_u32_e32 v6, v6, v4
	v_and_b32_e32 v5, v7, v5
	v_bfe_u32 v9, v8, 20, 1
	v_cmp_eq_u32_e64 s12, v5, v10
	v_add_nc_u32_e32 v7, -1, v9
	v_cndmask_b32_e64 v5, 0, v7, s12
	v_lshrrev_b32_e32 v7, 23, v8
	s_mov_b32 s12, exec_lo
	v_add_nc_u32_e32 v5, v5, v8
	v_xor_b32_e32 v7, 1, v7
	v_and_b32_e32 v4, 0xfffff, v5
	v_add_nc_u32_e32 v5, v4, v8
                                        ; implicit-def: $vgpr4
	v_cmpx_ne_u32_e64 v6, v7
	s_xor_b32 s12, exec_lo, s12
; %bb.5309:                             ;   in Loop: Header=BB6_4858 Depth=2
	v_cmp_lt_u32_e32 vcc_lo, 0xffffff, v5
	v_sub_nc_u32_e32 v4, v6, v7
	v_cndmask_b32_e64 v6, 0, 1, vcc_lo
	v_add_co_ci_u32_e64 v4, null, 0, v4, vcc_lo
	v_lshrrev_b32_e32 v5, v6, v5
; %bb.5310:                             ;   in Loop: Header=BB6_4858 Depth=2
	s_andn2_saveexec_b32 s12, s12
; %bb.5311:                             ;   in Loop: Header=BB6_4858 Depth=2
	v_bfe_u32 v4, v5, 23, 1
; %bb.5312:                             ;   in Loop: Header=BB6_4858 Depth=2
	s_or_b32 exec_lo, exec_lo, s12
	v_lshrrev_b32_e32 v5, 20, v5
	v_min_i32_e32 v6, 15, v4
	v_cmp_gt_i32_e32 vcc_lo, 16, v4
	v_and_b32_sdwa v2, v2, v102 dst_sel:DWORD dst_unused:UNUSED_PAD src0_sel:BYTE_3 src1_sel:DWORD
	v_lshlrev_b32_e32 v6, 3, v6
	v_cndmask_b32_e32 v5, 7, v5, vcc_lo
	v_and_b32_e32 v6, 0xf8, v6
	v_and_b32_e32 v7, 7, v5
	v_or_b32_e32 v4, v4, v5
	v_or3_b32 v2, v2, v6, v7
	v_cmp_ne_u32_e32 vcc_lo, 0, v4
	v_lshlrev_b32_e32 v2, 8, v2
	v_cndmask_b32_e32 v111, 0, v2, vcc_lo
.LBB6_5313:                             ;   in Loop: Header=BB6_4858 Depth=2
	s_or_b32 exec_lo, exec_lo, s41
.LBB6_5314:                             ;   in Loop: Header=BB6_4858 Depth=2
	s_or_b32 exec_lo, exec_lo, s40
	global_load_dwordx4 v[10:13], v[68:69], off offset:1024 slc
	s_mov_b32 s12, 0
	s_waitcnt vmcnt(0)
	v_cmp_gt_i16_sdwa s40, v10, v101 src0_sel:BYTE_0 src1_sel:DWORD
	s_and_saveexec_b32 s41, s40
	s_xor_b32 s40, exec_lo, s41
	s_cbranch_execz .LBB6_7104
; %bb.5315:                             ;   in Loop: Header=BB6_4858 Depth=2
	v_cmp_eq_u16_sdwa s42, v10, v102 src0_sel:BYTE_0 src1_sel:DWORD
	s_mov_b32 s12, -1
	s_and_saveexec_b32 s41, s42
; %bb.5316:                             ;   in Loop: Header=BB6_4858 Depth=2
	s_xor_b32 s12, exec_lo, -1
; %bb.5317:                             ;   in Loop: Header=BB6_4858 Depth=2
	s_or_b32 exec_lo, exec_lo, s41
	s_and_b32 s12, s12, exec_lo
	s_or_saveexec_b32 s40, s40
	v_mov_b32_e32 v2, 0x7f800001
	s_xor_b32 exec_lo, exec_lo, s40
	s_cbranch_execnz .LBB6_7105
.LBB6_5318:                             ;   in Loop: Header=BB6_4858 Depth=2
	s_or_b32 exec_lo, exec_lo, s40
	s_and_saveexec_b32 s40, s12
	s_cbranch_execz .LBB6_5320
.LBB6_5319:                             ;   in Loop: Header=BB6_4858 Depth=2
	v_and_b32_e32 v2, 7, v10
	v_bfe_u32 v6, v10, 3, 4
	v_lshlrev_b32_e32 v7, 24, v10
	v_ffbh_u32_e32 v4, v2
	v_cmp_eq_u32_e32 vcc_lo, 0, v6
	v_min_u32_e32 v4, 32, v4
	v_subrev_nc_u32_e32 v5, 28, v4
	v_sub_nc_u32_e32 v4, 29, v4
	v_lshlrev_b32_e32 v5, v5, v10
	v_cndmask_b32_e32 v4, v6, v4, vcc_lo
	v_and_b32_e32 v5, 7, v5
	v_lshl_add_u32 v4, v4, 23, 0x3b800000
	v_cndmask_b32_e32 v2, v2, v5, vcc_lo
	v_and_b32_e32 v5, 0x80000000, v7
	v_lshlrev_b32_e32 v2, 20, v2
	v_or3_b32 v2, v5, v4, v2
.LBB6_5320:                             ;   in Loop: Header=BB6_4858 Depth=2
	s_or_b32 exec_lo, exec_lo, s40
	v_mul_f32_e32 v2, s29, v2
	v_mov_b32_e32 v109, 0x80
	s_mov_b32 s40, exec_lo
	v_and_b32_e32 v4, 0x7f800000, v2
	v_cmpx_ne_u32_e32 0x7f800000, v4
	s_cbranch_execz .LBB6_5328
; %bb.5321:                             ;   in Loop: Header=BB6_4858 Depth=2
	v_mov_b32_e32 v109, 0
	s_mov_b32 s41, exec_lo
	v_cmpx_ne_u32_e32 0, v2
	s_cbranch_execz .LBB6_5327
; %bb.5322:                             ;   in Loop: Header=BB6_4858 Depth=2
	v_bfe_u32 v4, v2, 23, 8
	v_and_b32_e32 v5, 0x7fffff, v2
	v_sub_nc_u32_e32 v6, 0x78, v4
	v_cmp_gt_u32_e32 vcc_lo, 0x79, v4
	v_or_b32_e32 v7, 0x800000, v5
	v_cndmask_b32_e32 v6, 0, v6, vcc_lo
	v_cmp_eq_u32_e32 vcc_lo, 0, v4
	v_add_nc_u32_e32 v4, 0xffffff89, v4
	v_cndmask_b32_e64 v6, v6, 0x77, vcc_lo
	v_cndmask_b32_e32 v5, v7, v5, vcc_lo
	v_cndmask_b32_e64 v4, v4, 0xffffff8a, vcc_lo
	v_lshl_add_u32 v7, 0x100000, v6, -1
	v_lshrrev_b32_e32 v8, v6, v5
	v_lshlrev_b32_e64 v16, v6, 0x80000
	v_add_nc_u32_e32 v6, v6, v4
	v_and_b32_e32 v5, v7, v5
	v_bfe_u32 v9, v8, 20, 1
	v_cmp_eq_u32_e64 s12, v5, v16
	v_add_nc_u32_e32 v7, -1, v9
	v_cndmask_b32_e64 v5, 0, v7, s12
	v_lshrrev_b32_e32 v7, 23, v8
	s_mov_b32 s12, exec_lo
	v_add_nc_u32_e32 v5, v5, v8
	v_xor_b32_e32 v7, 1, v7
	v_and_b32_e32 v4, 0xfffff, v5
	v_add_nc_u32_e32 v5, v4, v8
                                        ; implicit-def: $vgpr4
	v_cmpx_ne_u32_e64 v6, v7
	s_xor_b32 s12, exec_lo, s12
; %bb.5323:                             ;   in Loop: Header=BB6_4858 Depth=2
	v_cmp_lt_u32_e32 vcc_lo, 0xffffff, v5
	v_sub_nc_u32_e32 v4, v6, v7
	v_cndmask_b32_e64 v6, 0, 1, vcc_lo
	v_add_co_ci_u32_e64 v4, null, 0, v4, vcc_lo
	v_lshrrev_b32_e32 v5, v6, v5
; %bb.5324:                             ;   in Loop: Header=BB6_4858 Depth=2
	s_andn2_saveexec_b32 s12, s12
; %bb.5325:                             ;   in Loop: Header=BB6_4858 Depth=2
	v_bfe_u32 v4, v5, 23, 1
; %bb.5326:                             ;   in Loop: Header=BB6_4858 Depth=2
	s_or_b32 exec_lo, exec_lo, s12
	v_lshrrev_b32_e32 v5, 20, v5
	v_min_i32_e32 v6, 15, v4
	v_cmp_gt_i32_e32 vcc_lo, 16, v4
	v_and_b32_sdwa v2, v2, v102 dst_sel:DWORD dst_unused:UNUSED_PAD src0_sel:BYTE_3 src1_sel:DWORD
	v_lshlrev_b32_e32 v6, 3, v6
	v_cndmask_b32_e32 v5, 7, v5, vcc_lo
	v_and_b32_e32 v6, 0xf8, v6
	v_and_b32_e32 v7, 7, v5
	v_or_b32_e32 v4, v4, v5
	v_or3_b32 v2, v6, v2, v7
	v_cmp_ne_u32_e32 vcc_lo, 0, v4
	v_cndmask_b32_e32 v109, 0, v2, vcc_lo
.LBB6_5327:                             ;   in Loop: Header=BB6_4858 Depth=2
	s_or_b32 exec_lo, exec_lo, s41
.LBB6_5328:                             ;   in Loop: Header=BB6_4858 Depth=2
	s_or_b32 exec_lo, exec_lo, s40
	v_cmp_gt_i16_sdwa s40, v10, v101 src0_sel:BYTE_1 src1_sel:DWORD
	s_mov_b32 s12, 0
	s_and_saveexec_b32 s41, s40
	s_xor_b32 s40, exec_lo, s41
	s_cbranch_execz .LBB6_7106
; %bb.5329:                             ;   in Loop: Header=BB6_4858 Depth=2
	v_cmp_eq_u16_sdwa s42, v10, v102 src0_sel:BYTE_1 src1_sel:DWORD
	s_mov_b32 s12, -1
	s_and_saveexec_b32 s41, s42
; %bb.5330:                             ;   in Loop: Header=BB6_4858 Depth=2
	s_xor_b32 s12, exec_lo, -1
; %bb.5331:                             ;   in Loop: Header=BB6_4858 Depth=2
	s_or_b32 exec_lo, exec_lo, s41
	s_and_b32 s12, s12, exec_lo
	s_or_saveexec_b32 s40, s40
	v_mov_b32_e32 v2, 0x7f800001
	s_xor_b32 exec_lo, exec_lo, s40
	s_cbranch_execnz .LBB6_7107
.LBB6_5332:                             ;   in Loop: Header=BB6_4858 Depth=2
	s_or_b32 exec_lo, exec_lo, s40
	s_and_saveexec_b32 s40, s12
	s_cbranch_execz .LBB6_5334
.LBB6_5333:                             ;   in Loop: Header=BB6_4858 Depth=2
	v_and_b32_sdwa v2, v103, v10 dst_sel:DWORD dst_unused:UNUSED_PAD src0_sel:DWORD src1_sel:BYTE_1
	v_and_b32_e32 v4, 7, v2
	v_bfe_u32 v7, v2, 3, 4
	v_ffbh_u32_e32 v5, v4
	v_cmp_eq_u32_e32 vcc_lo, 0, v7
	v_min_u32_e32 v5, 32, v5
	v_subrev_nc_u32_e32 v6, 28, v5
	v_sub_nc_u32_e32 v5, 29, v5
	v_lshlrev_b32_e32 v2, v6, v2
	v_lshlrev_b32_sdwa v6, v112, v10 dst_sel:DWORD dst_unused:UNUSED_PAD src0_sel:DWORD src1_sel:BYTE_1
	v_cndmask_b32_e32 v5, v7, v5, vcc_lo
	v_and_b32_e32 v2, 7, v2
	v_lshl_add_u32 v5, v5, 23, 0x3b800000
	v_cndmask_b32_e32 v2, v4, v2, vcc_lo
	v_and_b32_e32 v4, 0x80000000, v6
	v_lshlrev_b32_e32 v2, 20, v2
	v_or3_b32 v2, v4, v5, v2
.LBB6_5334:                             ;   in Loop: Header=BB6_4858 Depth=2
	s_or_b32 exec_lo, exec_lo, s40
	v_mul_f32_e32 v4, s29, v2
	v_and_b32_e32 v2, 0x7f800000, v4
	v_cmp_ne_u32_e32 vcc_lo, 0x7f800000, v2
	v_mov_b32_e32 v2, 0x8000
	s_and_saveexec_b32 s40, vcc_lo
	s_cbranch_execz .LBB6_5342
; %bb.5335:                             ;   in Loop: Header=BB6_4858 Depth=2
	v_mov_b32_e32 v2, 0
	s_mov_b32 s41, exec_lo
	v_cmpx_ne_u32_e32 0, v4
	s_cbranch_execz .LBB6_5341
; %bb.5336:                             ;   in Loop: Header=BB6_4858 Depth=2
	v_bfe_u32 v2, v4, 23, 8
	v_and_b32_e32 v5, 0x7fffff, v4
	v_sub_nc_u32_e32 v6, 0x78, v2
	v_cmp_gt_u32_e32 vcc_lo, 0x79, v2
	v_or_b32_e32 v7, 0x800000, v5
	v_cndmask_b32_e32 v6, 0, v6, vcc_lo
	v_cmp_eq_u32_e32 vcc_lo, 0, v2
	v_add_nc_u32_e32 v2, 0xffffff89, v2
	v_cndmask_b32_e64 v6, v6, 0x77, vcc_lo
	v_cndmask_b32_e32 v5, v7, v5, vcc_lo
	v_cndmask_b32_e64 v2, v2, 0xffffff8a, vcc_lo
	v_lshl_add_u32 v7, 0x100000, v6, -1
	v_lshrrev_b32_e32 v8, v6, v5
	v_lshlrev_b32_e64 v16, v6, 0x80000
	v_add_nc_u32_e32 v6, v6, v2
	v_and_b32_e32 v5, v7, v5
	v_bfe_u32 v9, v8, 20, 1
	v_cmp_eq_u32_e64 s12, v5, v16
	v_add_nc_u32_e32 v7, -1, v9
	v_cndmask_b32_e64 v5, 0, v7, s12
	v_lshrrev_b32_e32 v7, 23, v8
	s_mov_b32 s12, exec_lo
	v_add_nc_u32_e32 v5, v5, v8
	v_xor_b32_e32 v7, 1, v7
	v_and_b32_e32 v2, 0xfffff, v5
	v_add_nc_u32_e32 v5, v2, v8
                                        ; implicit-def: $vgpr2
	v_cmpx_ne_u32_e64 v6, v7
	s_xor_b32 s12, exec_lo, s12
; %bb.5337:                             ;   in Loop: Header=BB6_4858 Depth=2
	v_cmp_lt_u32_e32 vcc_lo, 0xffffff, v5
	v_sub_nc_u32_e32 v2, v6, v7
	v_cndmask_b32_e64 v6, 0, 1, vcc_lo
	v_add_co_ci_u32_e64 v2, null, 0, v2, vcc_lo
	v_lshrrev_b32_e32 v5, v6, v5
; %bb.5338:                             ;   in Loop: Header=BB6_4858 Depth=2
	s_andn2_saveexec_b32 s12, s12
; %bb.5339:                             ;   in Loop: Header=BB6_4858 Depth=2
	v_bfe_u32 v2, v5, 23, 1
; %bb.5340:                             ;   in Loop: Header=BB6_4858 Depth=2
	s_or_b32 exec_lo, exec_lo, s12
	v_lshrrev_b32_e32 v5, 20, v5
	v_min_i32_e32 v6, 15, v2
	v_cmp_gt_i32_e32 vcc_lo, 16, v2
	v_and_b32_sdwa v4, v4, v102 dst_sel:DWORD dst_unused:UNUSED_PAD src0_sel:BYTE_3 src1_sel:DWORD
	v_lshlrev_b32_e32 v6, 3, v6
	v_cndmask_b32_e32 v5, 7, v5, vcc_lo
	v_and_b32_e32 v6, 0xf8, v6
	v_and_b32_e32 v7, 7, v5
	v_or_b32_e32 v2, v2, v5
	v_or3_b32 v4, v4, v6, v7
	v_cmp_ne_u32_e32 vcc_lo, 0, v2
	v_lshlrev_b32_e32 v4, 8, v4
	v_cndmask_b32_e32 v2, 0, v4, vcc_lo
.LBB6_5341:                             ;   in Loop: Header=BB6_4858 Depth=2
	s_or_b32 exec_lo, exec_lo, s41
.LBB6_5342:                             ;   in Loop: Header=BB6_4858 Depth=2
	s_or_b32 exec_lo, exec_lo, s40
	v_and_b32_sdwa v5, v10, v113 dst_sel:DWORD dst_unused:UNUSED_PAD src0_sel:WORD_1 src1_sel:DWORD
	s_mov_b32 s12, 0
	s_mov_b32 s40, exec_lo
	v_cmpx_lt_i16_e32 0x7f, v5
	s_xor_b32 s40, exec_lo, s40
	s_cbranch_execz .LBB6_7108
; %bb.5343:                             ;   in Loop: Header=BB6_4858 Depth=2
	s_mov_b32 s12, -1
	s_mov_b32 s41, exec_lo
	v_cmpx_eq_u16_e32 0x80, v5
; %bb.5344:                             ;   in Loop: Header=BB6_4858 Depth=2
	s_xor_b32 s12, exec_lo, -1
; %bb.5345:                             ;   in Loop: Header=BB6_4858 Depth=2
	s_or_b32 exec_lo, exec_lo, s41
	s_and_b32 s12, s12, exec_lo
                                        ; implicit-def: $vgpr5
	s_or_saveexec_b32 s40, s40
	v_mov_b32_e32 v4, 0x7f800001
	s_xor_b32 exec_lo, exec_lo, s40
	s_cbranch_execnz .LBB6_7109
.LBB6_5346:                             ;   in Loop: Header=BB6_4858 Depth=2
	s_or_b32 exec_lo, exec_lo, s40
	s_and_saveexec_b32 s40, s12
	s_cbranch_execz .LBB6_5348
.LBB6_5347:                             ;   in Loop: Header=BB6_4858 Depth=2
	v_bfe_u32 v4, v10, 16, 3
	v_bfe_u32 v7, v10, 19, 4
	v_lshlrev_b32_e32 v8, 8, v10
	v_ffbh_u32_e32 v5, v4
	v_cmp_eq_u32_e32 vcc_lo, 0, v7
	v_min_u32_e32 v5, 32, v5
	v_subrev_nc_u32_e32 v6, 28, v5
	v_sub_nc_u32_e32 v5, 29, v5
	v_lshlrev_b32_sdwa v6, v6, v10 dst_sel:DWORD dst_unused:UNUSED_PAD src0_sel:DWORD src1_sel:WORD_1
	v_cndmask_b32_e32 v5, v7, v5, vcc_lo
	v_and_b32_e32 v6, 7, v6
	v_lshl_add_u32 v5, v5, 23, 0x3b800000
	v_cndmask_b32_e32 v4, v4, v6, vcc_lo
	v_and_b32_e32 v6, 0x80000000, v8
	v_lshlrev_b32_e32 v4, 20, v4
	v_or3_b32 v4, v6, v5, v4
.LBB6_5348:                             ;   in Loop: Header=BB6_4858 Depth=2
	s_or_b32 exec_lo, exec_lo, s40
	v_mul_f32_e32 v4, s29, v4
	v_mov_b32_e32 v107, 0x80
	s_mov_b32 s40, exec_lo
	v_and_b32_e32 v5, 0x7f800000, v4
	v_cmpx_ne_u32_e32 0x7f800000, v5
	s_cbranch_execz .LBB6_5356
; %bb.5349:                             ;   in Loop: Header=BB6_4858 Depth=2
	v_mov_b32_e32 v107, 0
	s_mov_b32 s41, exec_lo
	v_cmpx_ne_u32_e32 0, v4
	s_cbranch_execz .LBB6_5355
; %bb.5350:                             ;   in Loop: Header=BB6_4858 Depth=2
	v_bfe_u32 v5, v4, 23, 8
	v_and_b32_e32 v6, 0x7fffff, v4
	v_sub_nc_u32_e32 v7, 0x78, v5
	v_cmp_gt_u32_e32 vcc_lo, 0x79, v5
	v_or_b32_e32 v8, 0x800000, v6
	v_cndmask_b32_e32 v7, 0, v7, vcc_lo
	v_cmp_eq_u32_e32 vcc_lo, 0, v5
	v_add_nc_u32_e32 v5, 0xffffff89, v5
	v_cndmask_b32_e64 v7, v7, 0x77, vcc_lo
	v_cndmask_b32_e32 v6, v8, v6, vcc_lo
	v_cndmask_b32_e64 v5, v5, 0xffffff8a, vcc_lo
	v_lshl_add_u32 v8, 0x100000, v7, -1
	v_lshrrev_b32_e32 v9, v7, v6
	v_lshlrev_b32_e64 v17, v7, 0x80000
	v_add_nc_u32_e32 v7, v7, v5
	v_and_b32_e32 v6, v8, v6
	v_bfe_u32 v16, v9, 20, 1
	v_cmp_eq_u32_e64 s12, v6, v17
	v_add_nc_u32_e32 v8, -1, v16
	v_cndmask_b32_e64 v6, 0, v8, s12
	v_lshrrev_b32_e32 v8, 23, v9
	s_mov_b32 s12, exec_lo
	v_add_nc_u32_e32 v6, v6, v9
	v_xor_b32_e32 v8, 1, v8
	v_and_b32_e32 v5, 0xfffff, v6
	v_add_nc_u32_e32 v6, v5, v9
                                        ; implicit-def: $vgpr5
	v_cmpx_ne_u32_e64 v7, v8
	s_xor_b32 s12, exec_lo, s12
; %bb.5351:                             ;   in Loop: Header=BB6_4858 Depth=2
	v_cmp_lt_u32_e32 vcc_lo, 0xffffff, v6
	v_sub_nc_u32_e32 v5, v7, v8
	v_cndmask_b32_e64 v7, 0, 1, vcc_lo
	v_add_co_ci_u32_e64 v5, null, 0, v5, vcc_lo
	v_lshrrev_b32_e32 v6, v7, v6
; %bb.5352:                             ;   in Loop: Header=BB6_4858 Depth=2
	s_andn2_saveexec_b32 s12, s12
; %bb.5353:                             ;   in Loop: Header=BB6_4858 Depth=2
	v_bfe_u32 v5, v6, 23, 1
; %bb.5354:                             ;   in Loop: Header=BB6_4858 Depth=2
	s_or_b32 exec_lo, exec_lo, s12
	v_lshrrev_b32_e32 v6, 20, v6
	v_min_i32_e32 v7, 15, v5
	v_cmp_gt_i32_e32 vcc_lo, 16, v5
	v_and_b32_sdwa v4, v4, v102 dst_sel:DWORD dst_unused:UNUSED_PAD src0_sel:BYTE_3 src1_sel:DWORD
	v_lshlrev_b32_e32 v7, 3, v7
	v_cndmask_b32_e32 v6, 7, v6, vcc_lo
	v_and_b32_e32 v7, 0xf8, v7
	v_and_b32_e32 v8, 7, v6
	v_or_b32_e32 v5, v5, v6
	v_or3_b32 v4, v7, v4, v8
	v_cmp_ne_u32_e32 vcc_lo, 0, v5
	v_cndmask_b32_e32 v107, 0, v4, vcc_lo
.LBB6_5355:                             ;   in Loop: Header=BB6_4858 Depth=2
	s_or_b32 exec_lo, exec_lo, s41
.LBB6_5356:                             ;   in Loop: Header=BB6_4858 Depth=2
	s_or_b32 exec_lo, exec_lo, s40
	v_cmp_gt_i16_sdwa s40, v10, v101 src0_sel:BYTE_3 src1_sel:DWORD
	s_mov_b32 s12, 0
	s_and_saveexec_b32 s41, s40
	s_xor_b32 s40, exec_lo, s41
	s_cbranch_execz .LBB6_7110
; %bb.5357:                             ;   in Loop: Header=BB6_4858 Depth=2
	v_cmp_eq_u16_sdwa s42, v10, v102 src0_sel:BYTE_3 src1_sel:DWORD
	s_mov_b32 s12, -1
	s_and_saveexec_b32 s41, s42
; %bb.5358:                             ;   in Loop: Header=BB6_4858 Depth=2
	s_xor_b32 s12, exec_lo, -1
; %bb.5359:                             ;   in Loop: Header=BB6_4858 Depth=2
	s_or_b32 exec_lo, exec_lo, s41
	s_and_b32 s12, s12, exec_lo
	s_or_saveexec_b32 s40, s40
	v_mov_b32_e32 v4, 0x7f800001
	s_xor_b32 exec_lo, exec_lo, s40
	s_cbranch_execnz .LBB6_7111
.LBB6_5360:                             ;   in Loop: Header=BB6_4858 Depth=2
	s_or_b32 exec_lo, exec_lo, s40
	s_and_saveexec_b32 s40, s12
	s_cbranch_execz .LBB6_5362
.LBB6_5361:                             ;   in Loop: Header=BB6_4858 Depth=2
	v_bfe_u32 v4, v10, 24, 3
	v_bfe_u32 v7, v10, 27, 4
	v_ffbh_u32_e32 v5, v4
	v_cmp_eq_u32_e32 vcc_lo, 0, v7
	v_min_u32_e32 v5, 32, v5
	v_subrev_nc_u32_e32 v6, 28, v5
	v_sub_nc_u32_e32 v5, 29, v5
	v_lshlrev_b32_sdwa v6, v6, v10 dst_sel:DWORD dst_unused:UNUSED_PAD src0_sel:DWORD src1_sel:BYTE_3
	v_cndmask_b32_e32 v5, v7, v5, vcc_lo
	v_and_b32_e32 v6, 7, v6
	v_lshl_add_u32 v5, v5, 23, 0x3b800000
	v_cndmask_b32_e32 v4, v4, v6, vcc_lo
	v_and_b32_e32 v6, 0x80000000, v10
	v_lshlrev_b32_e32 v4, 20, v4
	v_or3_b32 v4, v6, v5, v4
.LBB6_5362:                             ;   in Loop: Header=BB6_4858 Depth=2
	s_or_b32 exec_lo, exec_lo, s40
	v_mul_f32_e32 v4, s29, v4
	v_mov_b32_e32 v108, 0x8000
	s_mov_b32 s40, exec_lo
	v_and_b32_e32 v5, 0x7f800000, v4
	v_cmpx_ne_u32_e32 0x7f800000, v5
	s_cbranch_execz .LBB6_5370
; %bb.5363:                             ;   in Loop: Header=BB6_4858 Depth=2
	v_mov_b32_e32 v108, 0
	s_mov_b32 s41, exec_lo
	v_cmpx_ne_u32_e32 0, v4
	s_cbranch_execz .LBB6_5369
; %bb.5364:                             ;   in Loop: Header=BB6_4858 Depth=2
	v_bfe_u32 v5, v4, 23, 8
	v_and_b32_e32 v6, 0x7fffff, v4
	v_sub_nc_u32_e32 v7, 0x78, v5
	v_cmp_gt_u32_e32 vcc_lo, 0x79, v5
	v_or_b32_e32 v8, 0x800000, v6
	v_cndmask_b32_e32 v7, 0, v7, vcc_lo
	v_cmp_eq_u32_e32 vcc_lo, 0, v5
	v_add_nc_u32_e32 v5, 0xffffff89, v5
	v_cndmask_b32_e64 v7, v7, 0x77, vcc_lo
	v_cndmask_b32_e32 v6, v8, v6, vcc_lo
	v_cndmask_b32_e64 v5, v5, 0xffffff8a, vcc_lo
	v_lshl_add_u32 v8, 0x100000, v7, -1
	v_lshrrev_b32_e32 v9, v7, v6
	v_lshlrev_b32_e64 v16, v7, 0x80000
	v_add_nc_u32_e32 v7, v7, v5
	v_and_b32_e32 v6, v8, v6
	v_bfe_u32 v10, v9, 20, 1
	v_cmp_eq_u32_e64 s12, v6, v16
	v_add_nc_u32_e32 v8, -1, v10
	v_cndmask_b32_e64 v6, 0, v8, s12
	v_lshrrev_b32_e32 v8, 23, v9
	s_mov_b32 s12, exec_lo
	v_add_nc_u32_e32 v6, v6, v9
	v_xor_b32_e32 v8, 1, v8
	v_and_b32_e32 v5, 0xfffff, v6
	v_add_nc_u32_e32 v6, v5, v9
                                        ; implicit-def: $vgpr5
	v_cmpx_ne_u32_e64 v7, v8
	s_xor_b32 s12, exec_lo, s12
; %bb.5365:                             ;   in Loop: Header=BB6_4858 Depth=2
	v_cmp_lt_u32_e32 vcc_lo, 0xffffff, v6
	v_sub_nc_u32_e32 v5, v7, v8
	v_cndmask_b32_e64 v7, 0, 1, vcc_lo
	v_add_co_ci_u32_e64 v5, null, 0, v5, vcc_lo
	v_lshrrev_b32_e32 v6, v7, v6
; %bb.5366:                             ;   in Loop: Header=BB6_4858 Depth=2
	s_andn2_saveexec_b32 s12, s12
; %bb.5367:                             ;   in Loop: Header=BB6_4858 Depth=2
	v_bfe_u32 v5, v6, 23, 1
; %bb.5368:                             ;   in Loop: Header=BB6_4858 Depth=2
	s_or_b32 exec_lo, exec_lo, s12
	v_lshrrev_b32_e32 v6, 20, v6
	v_min_i32_e32 v7, 15, v5
	v_cmp_gt_i32_e32 vcc_lo, 16, v5
	v_and_b32_sdwa v4, v4, v102 dst_sel:DWORD dst_unused:UNUSED_PAD src0_sel:BYTE_3 src1_sel:DWORD
	v_lshlrev_b32_e32 v7, 3, v7
	v_cndmask_b32_e32 v6, 7, v6, vcc_lo
	v_and_b32_e32 v7, 0xf8, v7
	v_and_b32_e32 v8, 7, v6
	v_or_b32_e32 v5, v5, v6
	v_or3_b32 v4, v4, v7, v8
	v_cmp_ne_u32_e32 vcc_lo, 0, v5
	v_lshlrev_b32_e32 v4, 8, v4
	v_cndmask_b32_e32 v108, 0, v4, vcc_lo
.LBB6_5369:                             ;   in Loop: Header=BB6_4858 Depth=2
	s_or_b32 exec_lo, exec_lo, s41
.LBB6_5370:                             ;   in Loop: Header=BB6_4858 Depth=2
	s_or_b32 exec_lo, exec_lo, s40
	v_cmp_gt_i16_sdwa s40, v11, v101 src0_sel:BYTE_0 src1_sel:DWORD
	s_mov_b32 s12, 0
	s_and_saveexec_b32 s41, s40
	s_xor_b32 s40, exec_lo, s41
	s_cbranch_execz .LBB6_7112
; %bb.5371:                             ;   in Loop: Header=BB6_4858 Depth=2
	v_cmp_eq_u16_sdwa s42, v11, v102 src0_sel:BYTE_0 src1_sel:DWORD
	s_mov_b32 s12, -1
	s_and_saveexec_b32 s41, s42
; %bb.5372:                             ;   in Loop: Header=BB6_4858 Depth=2
	s_xor_b32 s12, exec_lo, -1
; %bb.5373:                             ;   in Loop: Header=BB6_4858 Depth=2
	s_or_b32 exec_lo, exec_lo, s41
	s_and_b32 s12, s12, exec_lo
	s_or_saveexec_b32 s40, s40
	v_mov_b32_e32 v4, 0x7f800001
	s_xor_b32 exec_lo, exec_lo, s40
	s_cbranch_execnz .LBB6_7113
.LBB6_5374:                             ;   in Loop: Header=BB6_4858 Depth=2
	s_or_b32 exec_lo, exec_lo, s40
	s_and_saveexec_b32 s40, s12
	s_cbranch_execz .LBB6_5376
.LBB6_5375:                             ;   in Loop: Header=BB6_4858 Depth=2
	v_and_b32_e32 v4, 7, v11
	v_bfe_u32 v7, v11, 3, 4
	v_lshlrev_b32_e32 v8, 24, v11
	v_ffbh_u32_e32 v5, v4
	v_cmp_eq_u32_e32 vcc_lo, 0, v7
	v_min_u32_e32 v5, 32, v5
	v_subrev_nc_u32_e32 v6, 28, v5
	v_sub_nc_u32_e32 v5, 29, v5
	v_lshlrev_b32_e32 v6, v6, v11
	v_cndmask_b32_e32 v5, v7, v5, vcc_lo
	v_and_b32_e32 v6, 7, v6
	v_lshl_add_u32 v5, v5, 23, 0x3b800000
	v_cndmask_b32_e32 v4, v4, v6, vcc_lo
	v_and_b32_e32 v6, 0x80000000, v8
	v_lshlrev_b32_e32 v4, 20, v4
	v_or3_b32 v4, v6, v5, v4
.LBB6_5376:                             ;   in Loop: Header=BB6_4858 Depth=2
	s_or_b32 exec_lo, exec_lo, s40
	v_mul_f32_e32 v4, s29, v4
	v_mov_b32_e32 v104, 0x80
	s_mov_b32 s40, exec_lo
	v_and_b32_e32 v5, 0x7f800000, v4
	v_cmpx_ne_u32_e32 0x7f800000, v5
	s_cbranch_execz .LBB6_5384
; %bb.5377:                             ;   in Loop: Header=BB6_4858 Depth=2
	v_mov_b32_e32 v104, 0
	s_mov_b32 s41, exec_lo
	v_cmpx_ne_u32_e32 0, v4
	s_cbranch_execz .LBB6_5383
; %bb.5378:                             ;   in Loop: Header=BB6_4858 Depth=2
	v_bfe_u32 v5, v4, 23, 8
	v_and_b32_e32 v6, 0x7fffff, v4
	v_sub_nc_u32_e32 v7, 0x78, v5
	v_cmp_gt_u32_e32 vcc_lo, 0x79, v5
	v_or_b32_e32 v8, 0x800000, v6
	v_cndmask_b32_e32 v7, 0, v7, vcc_lo
	v_cmp_eq_u32_e32 vcc_lo, 0, v5
	v_add_nc_u32_e32 v5, 0xffffff89, v5
	v_cndmask_b32_e64 v7, v7, 0x77, vcc_lo
	v_cndmask_b32_e32 v6, v8, v6, vcc_lo
	v_cndmask_b32_e64 v5, v5, 0xffffff8a, vcc_lo
	v_lshl_add_u32 v8, 0x100000, v7, -1
	v_lshrrev_b32_e32 v9, v7, v6
	v_lshlrev_b32_e64 v16, v7, 0x80000
	v_add_nc_u32_e32 v7, v7, v5
	v_and_b32_e32 v6, v8, v6
	v_bfe_u32 v10, v9, 20, 1
	v_cmp_eq_u32_e64 s12, v6, v16
	v_add_nc_u32_e32 v8, -1, v10
	v_cndmask_b32_e64 v6, 0, v8, s12
	v_lshrrev_b32_e32 v8, 23, v9
	s_mov_b32 s12, exec_lo
	v_add_nc_u32_e32 v6, v6, v9
	v_xor_b32_e32 v8, 1, v8
	v_and_b32_e32 v5, 0xfffff, v6
	v_add_nc_u32_e32 v6, v5, v9
                                        ; implicit-def: $vgpr5
	v_cmpx_ne_u32_e64 v7, v8
	s_xor_b32 s12, exec_lo, s12
; %bb.5379:                             ;   in Loop: Header=BB6_4858 Depth=2
	v_cmp_lt_u32_e32 vcc_lo, 0xffffff, v6
	v_sub_nc_u32_e32 v5, v7, v8
	v_cndmask_b32_e64 v7, 0, 1, vcc_lo
	v_add_co_ci_u32_e64 v5, null, 0, v5, vcc_lo
	v_lshrrev_b32_e32 v6, v7, v6
; %bb.5380:                             ;   in Loop: Header=BB6_4858 Depth=2
	s_andn2_saveexec_b32 s12, s12
; %bb.5381:                             ;   in Loop: Header=BB6_4858 Depth=2
	v_bfe_u32 v5, v6, 23, 1
; %bb.5382:                             ;   in Loop: Header=BB6_4858 Depth=2
	s_or_b32 exec_lo, exec_lo, s12
	v_lshrrev_b32_e32 v6, 20, v6
	v_min_i32_e32 v7, 15, v5
	v_cmp_gt_i32_e32 vcc_lo, 16, v5
	v_and_b32_sdwa v4, v4, v102 dst_sel:DWORD dst_unused:UNUSED_PAD src0_sel:BYTE_3 src1_sel:DWORD
	v_lshlrev_b32_e32 v7, 3, v7
	v_cndmask_b32_e32 v6, 7, v6, vcc_lo
	v_and_b32_e32 v7, 0xf8, v7
	v_and_b32_e32 v8, 7, v6
	v_or_b32_e32 v5, v5, v6
	v_or3_b32 v4, v7, v4, v8
	v_cmp_ne_u32_e32 vcc_lo, 0, v5
	v_cndmask_b32_e32 v104, 0, v4, vcc_lo
.LBB6_5383:                             ;   in Loop: Header=BB6_4858 Depth=2
	s_or_b32 exec_lo, exec_lo, s41
.LBB6_5384:                             ;   in Loop: Header=BB6_4858 Depth=2
	s_or_b32 exec_lo, exec_lo, s40
	v_cmp_gt_i16_sdwa s40, v11, v101 src0_sel:BYTE_1 src1_sel:DWORD
	s_mov_b32 s12, 0
	s_and_saveexec_b32 s41, s40
	s_xor_b32 s40, exec_lo, s41
	s_cbranch_execz .LBB6_7114
; %bb.5385:                             ;   in Loop: Header=BB6_4858 Depth=2
	v_cmp_eq_u16_sdwa s42, v11, v102 src0_sel:BYTE_1 src1_sel:DWORD
	s_mov_b32 s12, -1
	s_and_saveexec_b32 s41, s42
; %bb.5386:                             ;   in Loop: Header=BB6_4858 Depth=2
	s_xor_b32 s12, exec_lo, -1
; %bb.5387:                             ;   in Loop: Header=BB6_4858 Depth=2
	s_or_b32 exec_lo, exec_lo, s41
	s_and_b32 s12, s12, exec_lo
	s_or_saveexec_b32 s40, s40
	v_mov_b32_e32 v4, 0x7f800001
	s_xor_b32 exec_lo, exec_lo, s40
	s_cbranch_execnz .LBB6_7115
.LBB6_5388:                             ;   in Loop: Header=BB6_4858 Depth=2
	s_or_b32 exec_lo, exec_lo, s40
	s_and_saveexec_b32 s40, s12
	s_cbranch_execz .LBB6_5390
.LBB6_5389:                             ;   in Loop: Header=BB6_4858 Depth=2
	v_and_b32_sdwa v4, v103, v11 dst_sel:DWORD dst_unused:UNUSED_PAD src0_sel:DWORD src1_sel:BYTE_1
	v_and_b32_e32 v5, 7, v4
	v_bfe_u32 v8, v4, 3, 4
	v_ffbh_u32_e32 v6, v5
	v_cmp_eq_u32_e32 vcc_lo, 0, v8
	v_min_u32_e32 v6, 32, v6
	v_subrev_nc_u32_e32 v7, 28, v6
	v_sub_nc_u32_e32 v6, 29, v6
	v_lshlrev_b32_e32 v4, v7, v4
	v_lshlrev_b32_sdwa v7, v112, v11 dst_sel:DWORD dst_unused:UNUSED_PAD src0_sel:DWORD src1_sel:BYTE_1
	v_cndmask_b32_e32 v6, v8, v6, vcc_lo
	v_and_b32_e32 v4, 7, v4
	v_lshl_add_u32 v6, v6, 23, 0x3b800000
	v_cndmask_b32_e32 v4, v5, v4, vcc_lo
	v_and_b32_e32 v5, 0x80000000, v7
	v_lshlrev_b32_e32 v4, 20, v4
	v_or3_b32 v4, v5, v6, v4
.LBB6_5390:                             ;   in Loop: Header=BB6_4858 Depth=2
	s_or_b32 exec_lo, exec_lo, s40
	v_mul_f32_e32 v4, s29, v4
	v_mov_b32_e32 v105, 0x8000
	s_mov_b32 s40, exec_lo
	v_and_b32_e32 v5, 0x7f800000, v4
	v_cmpx_ne_u32_e32 0x7f800000, v5
	s_cbranch_execz .LBB6_5398
; %bb.5391:                             ;   in Loop: Header=BB6_4858 Depth=2
	v_mov_b32_e32 v105, 0
	s_mov_b32 s41, exec_lo
	v_cmpx_ne_u32_e32 0, v4
	s_cbranch_execz .LBB6_5397
; %bb.5392:                             ;   in Loop: Header=BB6_4858 Depth=2
	v_bfe_u32 v5, v4, 23, 8
	v_and_b32_e32 v6, 0x7fffff, v4
	v_sub_nc_u32_e32 v7, 0x78, v5
	v_cmp_gt_u32_e32 vcc_lo, 0x79, v5
	v_or_b32_e32 v8, 0x800000, v6
	v_cndmask_b32_e32 v7, 0, v7, vcc_lo
	v_cmp_eq_u32_e32 vcc_lo, 0, v5
	v_add_nc_u32_e32 v5, 0xffffff89, v5
	v_cndmask_b32_e64 v7, v7, 0x77, vcc_lo
	v_cndmask_b32_e32 v6, v8, v6, vcc_lo
	v_cndmask_b32_e64 v5, v5, 0xffffff8a, vcc_lo
	v_lshl_add_u32 v8, 0x100000, v7, -1
	v_lshrrev_b32_e32 v9, v7, v6
	v_lshlrev_b32_e64 v16, v7, 0x80000
	v_add_nc_u32_e32 v7, v7, v5
	v_and_b32_e32 v6, v8, v6
	v_bfe_u32 v10, v9, 20, 1
	v_cmp_eq_u32_e64 s12, v6, v16
	v_add_nc_u32_e32 v8, -1, v10
	v_cndmask_b32_e64 v6, 0, v8, s12
	v_lshrrev_b32_e32 v8, 23, v9
	s_mov_b32 s12, exec_lo
	v_add_nc_u32_e32 v6, v6, v9
	v_xor_b32_e32 v8, 1, v8
	v_and_b32_e32 v5, 0xfffff, v6
	v_add_nc_u32_e32 v6, v5, v9
                                        ; implicit-def: $vgpr5
	v_cmpx_ne_u32_e64 v7, v8
	s_xor_b32 s12, exec_lo, s12
; %bb.5393:                             ;   in Loop: Header=BB6_4858 Depth=2
	v_cmp_lt_u32_e32 vcc_lo, 0xffffff, v6
	v_sub_nc_u32_e32 v5, v7, v8
	v_cndmask_b32_e64 v7, 0, 1, vcc_lo
	v_add_co_ci_u32_e64 v5, null, 0, v5, vcc_lo
	v_lshrrev_b32_e32 v6, v7, v6
; %bb.5394:                             ;   in Loop: Header=BB6_4858 Depth=2
	s_andn2_saveexec_b32 s12, s12
; %bb.5395:                             ;   in Loop: Header=BB6_4858 Depth=2
	v_bfe_u32 v5, v6, 23, 1
; %bb.5396:                             ;   in Loop: Header=BB6_4858 Depth=2
	s_or_b32 exec_lo, exec_lo, s12
	v_lshrrev_b32_e32 v6, 20, v6
	v_min_i32_e32 v7, 15, v5
	v_cmp_gt_i32_e32 vcc_lo, 16, v5
	v_and_b32_sdwa v4, v4, v102 dst_sel:DWORD dst_unused:UNUSED_PAD src0_sel:BYTE_3 src1_sel:DWORD
	v_lshlrev_b32_e32 v7, 3, v7
	v_cndmask_b32_e32 v6, 7, v6, vcc_lo
	v_and_b32_e32 v7, 0xf8, v7
	v_and_b32_e32 v8, 7, v6
	v_or_b32_e32 v5, v5, v6
	v_or3_b32 v4, v4, v7, v8
	v_cmp_ne_u32_e32 vcc_lo, 0, v5
	v_lshlrev_b32_e32 v4, 8, v4
	v_cndmask_b32_e32 v105, 0, v4, vcc_lo
.LBB6_5397:                             ;   in Loop: Header=BB6_4858 Depth=2
	s_or_b32 exec_lo, exec_lo, s41
.LBB6_5398:                             ;   in Loop: Header=BB6_4858 Depth=2
	s_or_b32 exec_lo, exec_lo, s40
	v_and_b32_sdwa v5, v11, v113 dst_sel:DWORD dst_unused:UNUSED_PAD src0_sel:WORD_1 src1_sel:DWORD
	s_mov_b32 s12, 0
	s_mov_b32 s40, exec_lo
	v_cmpx_lt_i16_e32 0x7f, v5
	s_xor_b32 s40, exec_lo, s40
	s_cbranch_execz .LBB6_7116
; %bb.5399:                             ;   in Loop: Header=BB6_4858 Depth=2
	s_mov_b32 s12, -1
	s_mov_b32 s41, exec_lo
	v_cmpx_eq_u16_e32 0x80, v5
; %bb.5400:                             ;   in Loop: Header=BB6_4858 Depth=2
	s_xor_b32 s12, exec_lo, -1
; %bb.5401:                             ;   in Loop: Header=BB6_4858 Depth=2
	s_or_b32 exec_lo, exec_lo, s41
	s_and_b32 s12, s12, exec_lo
                                        ; implicit-def: $vgpr5
	s_or_saveexec_b32 s40, s40
	v_mov_b32_e32 v4, 0x7f800001
	s_xor_b32 exec_lo, exec_lo, s40
	s_cbranch_execnz .LBB6_7117
.LBB6_5402:                             ;   in Loop: Header=BB6_4858 Depth=2
	s_or_b32 exec_lo, exec_lo, s40
	s_and_saveexec_b32 s40, s12
	s_cbranch_execz .LBB6_5404
.LBB6_5403:                             ;   in Loop: Header=BB6_4858 Depth=2
	v_bfe_u32 v4, v11, 16, 3
	v_bfe_u32 v7, v11, 19, 4
	v_lshlrev_b32_e32 v8, 8, v11
	v_ffbh_u32_e32 v5, v4
	v_cmp_eq_u32_e32 vcc_lo, 0, v7
	v_min_u32_e32 v5, 32, v5
	v_subrev_nc_u32_e32 v6, 28, v5
	v_sub_nc_u32_e32 v5, 29, v5
	v_lshlrev_b32_sdwa v6, v6, v11 dst_sel:DWORD dst_unused:UNUSED_PAD src0_sel:DWORD src1_sel:WORD_1
	v_cndmask_b32_e32 v5, v7, v5, vcc_lo
	v_and_b32_e32 v6, 7, v6
	v_lshl_add_u32 v5, v5, 23, 0x3b800000
	v_cndmask_b32_e32 v4, v4, v6, vcc_lo
	v_and_b32_e32 v6, 0x80000000, v8
	v_lshlrev_b32_e32 v4, 20, v4
	v_or3_b32 v4, v6, v5, v4
.LBB6_5404:                             ;   in Loop: Header=BB6_4858 Depth=2
	s_or_b32 exec_lo, exec_lo, s40
	v_mul_f32_e32 v4, s29, v4
	v_mov_b32_e32 v93, 0x80
	s_mov_b32 s40, exec_lo
	v_and_b32_e32 v5, 0x7f800000, v4
	v_cmpx_ne_u32_e32 0x7f800000, v5
	s_cbranch_execz .LBB6_5412
; %bb.5405:                             ;   in Loop: Header=BB6_4858 Depth=2
	v_mov_b32_e32 v93, 0
	s_mov_b32 s41, exec_lo
	v_cmpx_ne_u32_e32 0, v4
	s_cbranch_execz .LBB6_5411
; %bb.5406:                             ;   in Loop: Header=BB6_4858 Depth=2
	v_bfe_u32 v5, v4, 23, 8
	v_and_b32_e32 v6, 0x7fffff, v4
	v_sub_nc_u32_e32 v7, 0x78, v5
	v_cmp_gt_u32_e32 vcc_lo, 0x79, v5
	v_or_b32_e32 v8, 0x800000, v6
	v_cndmask_b32_e32 v7, 0, v7, vcc_lo
	v_cmp_eq_u32_e32 vcc_lo, 0, v5
	v_add_nc_u32_e32 v5, 0xffffff89, v5
	v_cndmask_b32_e64 v7, v7, 0x77, vcc_lo
	v_cndmask_b32_e32 v6, v8, v6, vcc_lo
	v_cndmask_b32_e64 v5, v5, 0xffffff8a, vcc_lo
	v_lshl_add_u32 v8, 0x100000, v7, -1
	v_lshrrev_b32_e32 v9, v7, v6
	v_lshlrev_b32_e64 v16, v7, 0x80000
	v_add_nc_u32_e32 v7, v7, v5
	v_and_b32_e32 v6, v8, v6
	v_bfe_u32 v10, v9, 20, 1
	v_cmp_eq_u32_e64 s12, v6, v16
	v_add_nc_u32_e32 v8, -1, v10
	v_cndmask_b32_e64 v6, 0, v8, s12
	v_lshrrev_b32_e32 v8, 23, v9
	s_mov_b32 s12, exec_lo
	v_add_nc_u32_e32 v6, v6, v9
	v_xor_b32_e32 v8, 1, v8
	v_and_b32_e32 v5, 0xfffff, v6
	v_add_nc_u32_e32 v6, v5, v9
                                        ; implicit-def: $vgpr5
	v_cmpx_ne_u32_e64 v7, v8
	s_xor_b32 s12, exec_lo, s12
; %bb.5407:                             ;   in Loop: Header=BB6_4858 Depth=2
	v_cmp_lt_u32_e32 vcc_lo, 0xffffff, v6
	v_sub_nc_u32_e32 v5, v7, v8
	v_cndmask_b32_e64 v7, 0, 1, vcc_lo
	v_add_co_ci_u32_e64 v5, null, 0, v5, vcc_lo
	v_lshrrev_b32_e32 v6, v7, v6
; %bb.5408:                             ;   in Loop: Header=BB6_4858 Depth=2
	s_andn2_saveexec_b32 s12, s12
; %bb.5409:                             ;   in Loop: Header=BB6_4858 Depth=2
	v_bfe_u32 v5, v6, 23, 1
; %bb.5410:                             ;   in Loop: Header=BB6_4858 Depth=2
	s_or_b32 exec_lo, exec_lo, s12
	v_lshrrev_b32_e32 v6, 20, v6
	v_min_i32_e32 v7, 15, v5
	v_cmp_gt_i32_e32 vcc_lo, 16, v5
	v_and_b32_sdwa v4, v4, v102 dst_sel:DWORD dst_unused:UNUSED_PAD src0_sel:BYTE_3 src1_sel:DWORD
	v_lshlrev_b32_e32 v7, 3, v7
	v_cndmask_b32_e32 v6, 7, v6, vcc_lo
	v_and_b32_e32 v7, 0xf8, v7
	v_and_b32_e32 v8, 7, v6
	v_or_b32_e32 v5, v5, v6
	v_or3_b32 v4, v7, v4, v8
	v_cmp_ne_u32_e32 vcc_lo, 0, v5
	v_cndmask_b32_e32 v93, 0, v4, vcc_lo
.LBB6_5411:                             ;   in Loop: Header=BB6_4858 Depth=2
	s_or_b32 exec_lo, exec_lo, s41
.LBB6_5412:                             ;   in Loop: Header=BB6_4858 Depth=2
	s_or_b32 exec_lo, exec_lo, s40
	v_cmp_gt_i16_sdwa s40, v11, v101 src0_sel:BYTE_3 src1_sel:DWORD
	s_mov_b32 s12, 0
	s_and_saveexec_b32 s41, s40
	s_xor_b32 s40, exec_lo, s41
	s_cbranch_execz .LBB6_7118
; %bb.5413:                             ;   in Loop: Header=BB6_4858 Depth=2
	v_cmp_eq_u16_sdwa s42, v11, v102 src0_sel:BYTE_3 src1_sel:DWORD
	s_mov_b32 s12, -1
	s_and_saveexec_b32 s41, s42
; %bb.5414:                             ;   in Loop: Header=BB6_4858 Depth=2
	s_xor_b32 s12, exec_lo, -1
; %bb.5415:                             ;   in Loop: Header=BB6_4858 Depth=2
	s_or_b32 exec_lo, exec_lo, s41
	s_and_b32 s12, s12, exec_lo
	s_or_saveexec_b32 s40, s40
	v_mov_b32_e32 v4, 0x7f800001
	s_xor_b32 exec_lo, exec_lo, s40
	s_cbranch_execnz .LBB6_7119
.LBB6_5416:                             ;   in Loop: Header=BB6_4858 Depth=2
	s_or_b32 exec_lo, exec_lo, s40
	s_and_saveexec_b32 s40, s12
	s_cbranch_execz .LBB6_5418
.LBB6_5417:                             ;   in Loop: Header=BB6_4858 Depth=2
	v_bfe_u32 v4, v11, 24, 3
	v_bfe_u32 v7, v11, 27, 4
	v_ffbh_u32_e32 v5, v4
	v_cmp_eq_u32_e32 vcc_lo, 0, v7
	v_min_u32_e32 v5, 32, v5
	v_subrev_nc_u32_e32 v6, 28, v5
	v_sub_nc_u32_e32 v5, 29, v5
	v_lshlrev_b32_sdwa v6, v6, v11 dst_sel:DWORD dst_unused:UNUSED_PAD src0_sel:DWORD src1_sel:BYTE_3
	v_cndmask_b32_e32 v5, v7, v5, vcc_lo
	v_and_b32_e32 v6, 7, v6
	v_lshl_add_u32 v5, v5, 23, 0x3b800000
	v_cndmask_b32_e32 v4, v4, v6, vcc_lo
	v_and_b32_e32 v6, 0x80000000, v11
	v_lshlrev_b32_e32 v4, 20, v4
	v_or3_b32 v4, v6, v5, v4
.LBB6_5418:                             ;   in Loop: Header=BB6_4858 Depth=2
	s_or_b32 exec_lo, exec_lo, s40
	v_mul_f32_e32 v4, s29, v4
	v_mov_b32_e32 v94, 0x8000
	s_mov_b32 s40, exec_lo
	v_and_b32_e32 v5, 0x7f800000, v4
	v_cmpx_ne_u32_e32 0x7f800000, v5
	s_cbranch_execz .LBB6_5426
; %bb.5419:                             ;   in Loop: Header=BB6_4858 Depth=2
	v_mov_b32_e32 v94, 0
	s_mov_b32 s41, exec_lo
	v_cmpx_ne_u32_e32 0, v4
	s_cbranch_execz .LBB6_5425
; %bb.5420:                             ;   in Loop: Header=BB6_4858 Depth=2
	v_bfe_u32 v5, v4, 23, 8
	v_and_b32_e32 v6, 0x7fffff, v4
	v_sub_nc_u32_e32 v7, 0x78, v5
	v_cmp_gt_u32_e32 vcc_lo, 0x79, v5
	v_or_b32_e32 v8, 0x800000, v6
	v_cndmask_b32_e32 v7, 0, v7, vcc_lo
	v_cmp_eq_u32_e32 vcc_lo, 0, v5
	v_add_nc_u32_e32 v5, 0xffffff89, v5
	v_cndmask_b32_e64 v7, v7, 0x77, vcc_lo
	v_cndmask_b32_e32 v6, v8, v6, vcc_lo
	v_cndmask_b32_e64 v5, v5, 0xffffff8a, vcc_lo
	v_lshl_add_u32 v8, 0x100000, v7, -1
	v_lshrrev_b32_e32 v9, v7, v6
	v_lshlrev_b32_e64 v11, v7, 0x80000
	v_add_nc_u32_e32 v7, v7, v5
	v_and_b32_e32 v6, v8, v6
	v_bfe_u32 v10, v9, 20, 1
	v_cmp_eq_u32_e64 s12, v6, v11
	v_add_nc_u32_e32 v8, -1, v10
	v_cndmask_b32_e64 v6, 0, v8, s12
	v_lshrrev_b32_e32 v8, 23, v9
	s_mov_b32 s12, exec_lo
	v_add_nc_u32_e32 v6, v6, v9
	v_xor_b32_e32 v8, 1, v8
	v_and_b32_e32 v5, 0xfffff, v6
	v_add_nc_u32_e32 v6, v5, v9
                                        ; implicit-def: $vgpr5
	v_cmpx_ne_u32_e64 v7, v8
	s_xor_b32 s12, exec_lo, s12
; %bb.5421:                             ;   in Loop: Header=BB6_4858 Depth=2
	v_cmp_lt_u32_e32 vcc_lo, 0xffffff, v6
	v_sub_nc_u32_e32 v5, v7, v8
	v_cndmask_b32_e64 v7, 0, 1, vcc_lo
	v_add_co_ci_u32_e64 v5, null, 0, v5, vcc_lo
	v_lshrrev_b32_e32 v6, v7, v6
; %bb.5422:                             ;   in Loop: Header=BB6_4858 Depth=2
	s_andn2_saveexec_b32 s12, s12
; %bb.5423:                             ;   in Loop: Header=BB6_4858 Depth=2
	v_bfe_u32 v5, v6, 23, 1
; %bb.5424:                             ;   in Loop: Header=BB6_4858 Depth=2
	s_or_b32 exec_lo, exec_lo, s12
	v_lshrrev_b32_e32 v6, 20, v6
	v_min_i32_e32 v7, 15, v5
	v_cmp_gt_i32_e32 vcc_lo, 16, v5
	v_and_b32_sdwa v4, v4, v102 dst_sel:DWORD dst_unused:UNUSED_PAD src0_sel:BYTE_3 src1_sel:DWORD
	v_lshlrev_b32_e32 v7, 3, v7
	v_cndmask_b32_e32 v6, 7, v6, vcc_lo
	v_and_b32_e32 v7, 0xf8, v7
	v_and_b32_e32 v8, 7, v6
	v_or_b32_e32 v5, v5, v6
	v_or3_b32 v4, v4, v7, v8
	v_cmp_ne_u32_e32 vcc_lo, 0, v5
	v_lshlrev_b32_e32 v4, 8, v4
	v_cndmask_b32_e32 v94, 0, v4, vcc_lo
.LBB6_5425:                             ;   in Loop: Header=BB6_4858 Depth=2
	s_or_b32 exec_lo, exec_lo, s41
.LBB6_5426:                             ;   in Loop: Header=BB6_4858 Depth=2
	s_or_b32 exec_lo, exec_lo, s40
	v_cmp_gt_i16_sdwa s40, v12, v101 src0_sel:BYTE_0 src1_sel:DWORD
	s_mov_b32 s12, 0
	s_and_saveexec_b32 s41, s40
	s_xor_b32 s40, exec_lo, s41
	s_cbranch_execz .LBB6_7120
; %bb.5427:                             ;   in Loop: Header=BB6_4858 Depth=2
	v_cmp_eq_u16_sdwa s42, v12, v102 src0_sel:BYTE_0 src1_sel:DWORD
	s_mov_b32 s12, -1
	s_and_saveexec_b32 s41, s42
; %bb.5428:                             ;   in Loop: Header=BB6_4858 Depth=2
	s_xor_b32 s12, exec_lo, -1
; %bb.5429:                             ;   in Loop: Header=BB6_4858 Depth=2
	s_or_b32 exec_lo, exec_lo, s41
	s_and_b32 s12, s12, exec_lo
	s_or_saveexec_b32 s40, s40
	v_mov_b32_e32 v4, 0x7f800001
	s_xor_b32 exec_lo, exec_lo, s40
	s_cbranch_execnz .LBB6_7121
.LBB6_5430:                             ;   in Loop: Header=BB6_4858 Depth=2
	s_or_b32 exec_lo, exec_lo, s40
	s_and_saveexec_b32 s40, s12
	s_cbranch_execz .LBB6_5432
.LBB6_5431:                             ;   in Loop: Header=BB6_4858 Depth=2
	v_and_b32_e32 v4, 7, v12
	v_bfe_u32 v7, v12, 3, 4
	v_lshlrev_b32_e32 v8, 24, v12
	v_ffbh_u32_e32 v5, v4
	v_cmp_eq_u32_e32 vcc_lo, 0, v7
	v_min_u32_e32 v5, 32, v5
	v_subrev_nc_u32_e32 v6, 28, v5
	v_sub_nc_u32_e32 v5, 29, v5
	v_lshlrev_b32_e32 v6, v6, v12
	v_cndmask_b32_e32 v5, v7, v5, vcc_lo
	v_and_b32_e32 v6, 7, v6
	v_lshl_add_u32 v5, v5, 23, 0x3b800000
	v_cndmask_b32_e32 v4, v4, v6, vcc_lo
	v_and_b32_e32 v6, 0x80000000, v8
	v_lshlrev_b32_e32 v4, 20, v4
	v_or3_b32 v4, v6, v5, v4
.LBB6_5432:                             ;   in Loop: Header=BB6_4858 Depth=2
	s_or_b32 exec_lo, exec_lo, s40
	v_mul_f32_e32 v4, s29, v4
	v_mov_b32_e32 v91, 0x80
	s_mov_b32 s40, exec_lo
	v_and_b32_e32 v5, 0x7f800000, v4
	v_cmpx_ne_u32_e32 0x7f800000, v5
	s_cbranch_execz .LBB6_5440
; %bb.5433:                             ;   in Loop: Header=BB6_4858 Depth=2
	v_mov_b32_e32 v91, 0
	s_mov_b32 s41, exec_lo
	v_cmpx_ne_u32_e32 0, v4
	s_cbranch_execz .LBB6_5439
; %bb.5434:                             ;   in Loop: Header=BB6_4858 Depth=2
	v_bfe_u32 v5, v4, 23, 8
	v_and_b32_e32 v6, 0x7fffff, v4
	v_sub_nc_u32_e32 v7, 0x78, v5
	v_cmp_gt_u32_e32 vcc_lo, 0x79, v5
	v_or_b32_e32 v8, 0x800000, v6
	v_cndmask_b32_e32 v7, 0, v7, vcc_lo
	v_cmp_eq_u32_e32 vcc_lo, 0, v5
	v_add_nc_u32_e32 v5, 0xffffff89, v5
	v_cndmask_b32_e64 v7, v7, 0x77, vcc_lo
	v_cndmask_b32_e32 v6, v8, v6, vcc_lo
	v_cndmask_b32_e64 v5, v5, 0xffffff8a, vcc_lo
	v_lshl_add_u32 v8, 0x100000, v7, -1
	v_lshrrev_b32_e32 v9, v7, v6
	v_lshlrev_b32_e64 v11, v7, 0x80000
	v_add_nc_u32_e32 v7, v7, v5
	v_and_b32_e32 v6, v8, v6
	v_bfe_u32 v10, v9, 20, 1
	v_cmp_eq_u32_e64 s12, v6, v11
	v_add_nc_u32_e32 v8, -1, v10
	v_cndmask_b32_e64 v6, 0, v8, s12
	v_lshrrev_b32_e32 v8, 23, v9
	s_mov_b32 s12, exec_lo
	v_add_nc_u32_e32 v6, v6, v9
	v_xor_b32_e32 v8, 1, v8
	v_and_b32_e32 v5, 0xfffff, v6
	v_add_nc_u32_e32 v6, v5, v9
                                        ; implicit-def: $vgpr5
	v_cmpx_ne_u32_e64 v7, v8
	s_xor_b32 s12, exec_lo, s12
; %bb.5435:                             ;   in Loop: Header=BB6_4858 Depth=2
	v_cmp_lt_u32_e32 vcc_lo, 0xffffff, v6
	v_sub_nc_u32_e32 v5, v7, v8
	v_cndmask_b32_e64 v7, 0, 1, vcc_lo
	v_add_co_ci_u32_e64 v5, null, 0, v5, vcc_lo
	v_lshrrev_b32_e32 v6, v7, v6
; %bb.5436:                             ;   in Loop: Header=BB6_4858 Depth=2
	s_andn2_saveexec_b32 s12, s12
; %bb.5437:                             ;   in Loop: Header=BB6_4858 Depth=2
	v_bfe_u32 v5, v6, 23, 1
; %bb.5438:                             ;   in Loop: Header=BB6_4858 Depth=2
	s_or_b32 exec_lo, exec_lo, s12
	v_lshrrev_b32_e32 v6, 20, v6
	v_min_i32_e32 v7, 15, v5
	v_cmp_gt_i32_e32 vcc_lo, 16, v5
	v_and_b32_sdwa v4, v4, v102 dst_sel:DWORD dst_unused:UNUSED_PAD src0_sel:BYTE_3 src1_sel:DWORD
	v_lshlrev_b32_e32 v7, 3, v7
	v_cndmask_b32_e32 v6, 7, v6, vcc_lo
	v_and_b32_e32 v7, 0xf8, v7
	v_and_b32_e32 v8, 7, v6
	v_or_b32_e32 v5, v5, v6
	v_or3_b32 v4, v7, v4, v8
	v_cmp_ne_u32_e32 vcc_lo, 0, v5
	v_cndmask_b32_e32 v91, 0, v4, vcc_lo
.LBB6_5439:                             ;   in Loop: Header=BB6_4858 Depth=2
	s_or_b32 exec_lo, exec_lo, s41
.LBB6_5440:                             ;   in Loop: Header=BB6_4858 Depth=2
	s_or_b32 exec_lo, exec_lo, s40
	v_cmp_gt_i16_sdwa s40, v12, v101 src0_sel:BYTE_1 src1_sel:DWORD
	s_mov_b32 s12, 0
	s_and_saveexec_b32 s41, s40
	s_xor_b32 s40, exec_lo, s41
	s_cbranch_execz .LBB6_7122
; %bb.5441:                             ;   in Loop: Header=BB6_4858 Depth=2
	v_cmp_eq_u16_sdwa s42, v12, v102 src0_sel:BYTE_1 src1_sel:DWORD
	s_mov_b32 s12, -1
	s_and_saveexec_b32 s41, s42
; %bb.5442:                             ;   in Loop: Header=BB6_4858 Depth=2
	s_xor_b32 s12, exec_lo, -1
; %bb.5443:                             ;   in Loop: Header=BB6_4858 Depth=2
	s_or_b32 exec_lo, exec_lo, s41
	s_and_b32 s12, s12, exec_lo
	s_or_saveexec_b32 s40, s40
	v_mov_b32_e32 v4, 0x7f800001
	s_xor_b32 exec_lo, exec_lo, s40
	s_cbranch_execnz .LBB6_7123
.LBB6_5444:                             ;   in Loop: Header=BB6_4858 Depth=2
	s_or_b32 exec_lo, exec_lo, s40
	s_and_saveexec_b32 s40, s12
	s_cbranch_execz .LBB6_5446
.LBB6_5445:                             ;   in Loop: Header=BB6_4858 Depth=2
	v_and_b32_sdwa v4, v103, v12 dst_sel:DWORD dst_unused:UNUSED_PAD src0_sel:DWORD src1_sel:BYTE_1
	v_and_b32_e32 v5, 7, v4
	v_bfe_u32 v8, v4, 3, 4
	v_ffbh_u32_e32 v6, v5
	v_cmp_eq_u32_e32 vcc_lo, 0, v8
	v_min_u32_e32 v6, 32, v6
	v_subrev_nc_u32_e32 v7, 28, v6
	v_sub_nc_u32_e32 v6, 29, v6
	v_lshlrev_b32_e32 v4, v7, v4
	v_lshlrev_b32_sdwa v7, v112, v12 dst_sel:DWORD dst_unused:UNUSED_PAD src0_sel:DWORD src1_sel:BYTE_1
	v_cndmask_b32_e32 v6, v8, v6, vcc_lo
	v_and_b32_e32 v4, 7, v4
	v_lshl_add_u32 v6, v6, 23, 0x3b800000
	v_cndmask_b32_e32 v4, v5, v4, vcc_lo
	v_and_b32_e32 v5, 0x80000000, v7
	v_lshlrev_b32_e32 v4, 20, v4
	v_or3_b32 v4, v5, v6, v4
.LBB6_5446:                             ;   in Loop: Header=BB6_4858 Depth=2
	s_or_b32 exec_lo, exec_lo, s40
	v_mul_f32_e32 v4, s29, v4
	v_mov_b32_e32 v92, 0x8000
	s_mov_b32 s40, exec_lo
	v_and_b32_e32 v5, 0x7f800000, v4
	v_cmpx_ne_u32_e32 0x7f800000, v5
	s_cbranch_execz .LBB6_5454
; %bb.5447:                             ;   in Loop: Header=BB6_4858 Depth=2
	v_mov_b32_e32 v92, 0
	s_mov_b32 s41, exec_lo
	v_cmpx_ne_u32_e32 0, v4
	s_cbranch_execz .LBB6_5453
; %bb.5448:                             ;   in Loop: Header=BB6_4858 Depth=2
	v_bfe_u32 v5, v4, 23, 8
	v_and_b32_e32 v6, 0x7fffff, v4
	v_sub_nc_u32_e32 v7, 0x78, v5
	v_cmp_gt_u32_e32 vcc_lo, 0x79, v5
	v_or_b32_e32 v8, 0x800000, v6
	v_cndmask_b32_e32 v7, 0, v7, vcc_lo
	v_cmp_eq_u32_e32 vcc_lo, 0, v5
	v_add_nc_u32_e32 v5, 0xffffff89, v5
	v_cndmask_b32_e64 v7, v7, 0x77, vcc_lo
	v_cndmask_b32_e32 v6, v8, v6, vcc_lo
	v_cndmask_b32_e64 v5, v5, 0xffffff8a, vcc_lo
	v_lshl_add_u32 v8, 0x100000, v7, -1
	v_lshrrev_b32_e32 v9, v7, v6
	v_lshlrev_b32_e64 v11, v7, 0x80000
	v_add_nc_u32_e32 v7, v7, v5
	v_and_b32_e32 v6, v8, v6
	v_bfe_u32 v10, v9, 20, 1
	v_cmp_eq_u32_e64 s12, v6, v11
	v_add_nc_u32_e32 v8, -1, v10
	v_cndmask_b32_e64 v6, 0, v8, s12
	v_lshrrev_b32_e32 v8, 23, v9
	s_mov_b32 s12, exec_lo
	v_add_nc_u32_e32 v6, v6, v9
	v_xor_b32_e32 v8, 1, v8
	v_and_b32_e32 v5, 0xfffff, v6
	v_add_nc_u32_e32 v6, v5, v9
                                        ; implicit-def: $vgpr5
	v_cmpx_ne_u32_e64 v7, v8
	s_xor_b32 s12, exec_lo, s12
; %bb.5449:                             ;   in Loop: Header=BB6_4858 Depth=2
	v_cmp_lt_u32_e32 vcc_lo, 0xffffff, v6
	v_sub_nc_u32_e32 v5, v7, v8
	v_cndmask_b32_e64 v7, 0, 1, vcc_lo
	v_add_co_ci_u32_e64 v5, null, 0, v5, vcc_lo
	v_lshrrev_b32_e32 v6, v7, v6
; %bb.5450:                             ;   in Loop: Header=BB6_4858 Depth=2
	s_andn2_saveexec_b32 s12, s12
; %bb.5451:                             ;   in Loop: Header=BB6_4858 Depth=2
	v_bfe_u32 v5, v6, 23, 1
; %bb.5452:                             ;   in Loop: Header=BB6_4858 Depth=2
	s_or_b32 exec_lo, exec_lo, s12
	v_lshrrev_b32_e32 v6, 20, v6
	v_min_i32_e32 v7, 15, v5
	v_cmp_gt_i32_e32 vcc_lo, 16, v5
	v_and_b32_sdwa v4, v4, v102 dst_sel:DWORD dst_unused:UNUSED_PAD src0_sel:BYTE_3 src1_sel:DWORD
	v_lshlrev_b32_e32 v7, 3, v7
	v_cndmask_b32_e32 v6, 7, v6, vcc_lo
	v_and_b32_e32 v7, 0xf8, v7
	v_and_b32_e32 v8, 7, v6
	v_or_b32_e32 v5, v5, v6
	v_or3_b32 v4, v4, v7, v8
	v_cmp_ne_u32_e32 vcc_lo, 0, v5
	v_lshlrev_b32_e32 v4, 8, v4
	v_cndmask_b32_e32 v92, 0, v4, vcc_lo
.LBB6_5453:                             ;   in Loop: Header=BB6_4858 Depth=2
	s_or_b32 exec_lo, exec_lo, s41
.LBB6_5454:                             ;   in Loop: Header=BB6_4858 Depth=2
	s_or_b32 exec_lo, exec_lo, s40
	v_and_b32_sdwa v5, v12, v113 dst_sel:DWORD dst_unused:UNUSED_PAD src0_sel:WORD_1 src1_sel:DWORD
	s_mov_b32 s12, 0
	s_mov_b32 s40, exec_lo
	v_cmpx_lt_i16_e32 0x7f, v5
	s_xor_b32 s40, exec_lo, s40
	s_cbranch_execz .LBB6_7124
; %bb.5455:                             ;   in Loop: Header=BB6_4858 Depth=2
	s_mov_b32 s12, -1
	s_mov_b32 s41, exec_lo
	v_cmpx_eq_u16_e32 0x80, v5
; %bb.5456:                             ;   in Loop: Header=BB6_4858 Depth=2
	s_xor_b32 s12, exec_lo, -1
; %bb.5457:                             ;   in Loop: Header=BB6_4858 Depth=2
	s_or_b32 exec_lo, exec_lo, s41
	s_and_b32 s12, s12, exec_lo
                                        ; implicit-def: $vgpr5
	s_or_saveexec_b32 s40, s40
	v_mov_b32_e32 v4, 0x7f800001
	s_xor_b32 exec_lo, exec_lo, s40
	s_cbranch_execnz .LBB6_7125
.LBB6_5458:                             ;   in Loop: Header=BB6_4858 Depth=2
	s_or_b32 exec_lo, exec_lo, s40
	s_and_saveexec_b32 s40, s12
	s_cbranch_execz .LBB6_5460
.LBB6_5459:                             ;   in Loop: Header=BB6_4858 Depth=2
	v_bfe_u32 v4, v12, 16, 3
	v_bfe_u32 v7, v12, 19, 4
	v_lshlrev_b32_e32 v8, 8, v12
	v_ffbh_u32_e32 v5, v4
	v_cmp_eq_u32_e32 vcc_lo, 0, v7
	v_min_u32_e32 v5, 32, v5
	v_subrev_nc_u32_e32 v6, 28, v5
	v_sub_nc_u32_e32 v5, 29, v5
	v_lshlrev_b32_sdwa v6, v6, v12 dst_sel:DWORD dst_unused:UNUSED_PAD src0_sel:DWORD src1_sel:WORD_1
	v_cndmask_b32_e32 v5, v7, v5, vcc_lo
	v_and_b32_e32 v6, 7, v6
	v_lshl_add_u32 v5, v5, 23, 0x3b800000
	v_cndmask_b32_e32 v4, v4, v6, vcc_lo
	v_and_b32_e32 v6, 0x80000000, v8
	v_lshlrev_b32_e32 v4, 20, v4
	v_or3_b32 v4, v6, v5, v4
.LBB6_5460:                             ;   in Loop: Header=BB6_4858 Depth=2
	s_or_b32 exec_lo, exec_lo, s40
	v_mul_f32_e32 v4, s29, v4
	v_mov_b32_e32 v88, 0x80
	s_mov_b32 s40, exec_lo
	v_and_b32_e32 v5, 0x7f800000, v4
	v_cmpx_ne_u32_e32 0x7f800000, v5
	s_cbranch_execz .LBB6_5468
; %bb.5461:                             ;   in Loop: Header=BB6_4858 Depth=2
	v_mov_b32_e32 v88, 0
	s_mov_b32 s41, exec_lo
	v_cmpx_ne_u32_e32 0, v4
	s_cbranch_execz .LBB6_5467
; %bb.5462:                             ;   in Loop: Header=BB6_4858 Depth=2
	v_bfe_u32 v5, v4, 23, 8
	v_and_b32_e32 v6, 0x7fffff, v4
	v_sub_nc_u32_e32 v7, 0x78, v5
	v_cmp_gt_u32_e32 vcc_lo, 0x79, v5
	v_or_b32_e32 v8, 0x800000, v6
	v_cndmask_b32_e32 v7, 0, v7, vcc_lo
	v_cmp_eq_u32_e32 vcc_lo, 0, v5
	v_add_nc_u32_e32 v5, 0xffffff89, v5
	v_cndmask_b32_e64 v7, v7, 0x77, vcc_lo
	v_cndmask_b32_e32 v6, v8, v6, vcc_lo
	v_cndmask_b32_e64 v5, v5, 0xffffff8a, vcc_lo
	v_lshl_add_u32 v8, 0x100000, v7, -1
	v_lshrrev_b32_e32 v9, v7, v6
	v_lshlrev_b32_e64 v11, v7, 0x80000
	v_add_nc_u32_e32 v7, v7, v5
	v_and_b32_e32 v6, v8, v6
	v_bfe_u32 v10, v9, 20, 1
	v_cmp_eq_u32_e64 s12, v6, v11
	v_add_nc_u32_e32 v8, -1, v10
	v_cndmask_b32_e64 v6, 0, v8, s12
	v_lshrrev_b32_e32 v8, 23, v9
	s_mov_b32 s12, exec_lo
	v_add_nc_u32_e32 v6, v6, v9
	v_xor_b32_e32 v8, 1, v8
	v_and_b32_e32 v5, 0xfffff, v6
	v_add_nc_u32_e32 v6, v5, v9
                                        ; implicit-def: $vgpr5
	v_cmpx_ne_u32_e64 v7, v8
	s_xor_b32 s12, exec_lo, s12
; %bb.5463:                             ;   in Loop: Header=BB6_4858 Depth=2
	v_cmp_lt_u32_e32 vcc_lo, 0xffffff, v6
	v_sub_nc_u32_e32 v5, v7, v8
	v_cndmask_b32_e64 v7, 0, 1, vcc_lo
	v_add_co_ci_u32_e64 v5, null, 0, v5, vcc_lo
	v_lshrrev_b32_e32 v6, v7, v6
; %bb.5464:                             ;   in Loop: Header=BB6_4858 Depth=2
	s_andn2_saveexec_b32 s12, s12
; %bb.5465:                             ;   in Loop: Header=BB6_4858 Depth=2
	v_bfe_u32 v5, v6, 23, 1
; %bb.5466:                             ;   in Loop: Header=BB6_4858 Depth=2
	s_or_b32 exec_lo, exec_lo, s12
	v_lshrrev_b32_e32 v6, 20, v6
	v_min_i32_e32 v7, 15, v5
	v_cmp_gt_i32_e32 vcc_lo, 16, v5
	v_and_b32_sdwa v4, v4, v102 dst_sel:DWORD dst_unused:UNUSED_PAD src0_sel:BYTE_3 src1_sel:DWORD
	v_lshlrev_b32_e32 v7, 3, v7
	v_cndmask_b32_e32 v6, 7, v6, vcc_lo
	v_and_b32_e32 v7, 0xf8, v7
	v_and_b32_e32 v8, 7, v6
	v_or_b32_e32 v5, v5, v6
	v_or3_b32 v4, v7, v4, v8
	v_cmp_ne_u32_e32 vcc_lo, 0, v5
	v_cndmask_b32_e32 v88, 0, v4, vcc_lo
.LBB6_5467:                             ;   in Loop: Header=BB6_4858 Depth=2
	s_or_b32 exec_lo, exec_lo, s41
.LBB6_5468:                             ;   in Loop: Header=BB6_4858 Depth=2
	s_or_b32 exec_lo, exec_lo, s40
	v_cmp_gt_i16_sdwa s40, v12, v101 src0_sel:BYTE_3 src1_sel:DWORD
	s_mov_b32 s12, 0
	s_and_saveexec_b32 s41, s40
	s_xor_b32 s40, exec_lo, s41
	s_cbranch_execz .LBB6_7126
; %bb.5469:                             ;   in Loop: Header=BB6_4858 Depth=2
	v_cmp_eq_u16_sdwa s42, v12, v102 src0_sel:BYTE_3 src1_sel:DWORD
	s_mov_b32 s12, -1
	s_and_saveexec_b32 s41, s42
; %bb.5470:                             ;   in Loop: Header=BB6_4858 Depth=2
	s_xor_b32 s12, exec_lo, -1
; %bb.5471:                             ;   in Loop: Header=BB6_4858 Depth=2
	s_or_b32 exec_lo, exec_lo, s41
	s_and_b32 s12, s12, exec_lo
	s_or_saveexec_b32 s40, s40
	v_mov_b32_e32 v4, 0x7f800001
	s_xor_b32 exec_lo, exec_lo, s40
	s_cbranch_execnz .LBB6_7127
.LBB6_5472:                             ;   in Loop: Header=BB6_4858 Depth=2
	s_or_b32 exec_lo, exec_lo, s40
	s_and_saveexec_b32 s40, s12
	s_cbranch_execz .LBB6_5474
.LBB6_5473:                             ;   in Loop: Header=BB6_4858 Depth=2
	v_bfe_u32 v4, v12, 24, 3
	v_bfe_u32 v7, v12, 27, 4
	v_ffbh_u32_e32 v5, v4
	v_cmp_eq_u32_e32 vcc_lo, 0, v7
	v_min_u32_e32 v5, 32, v5
	v_subrev_nc_u32_e32 v6, 28, v5
	v_sub_nc_u32_e32 v5, 29, v5
	v_lshlrev_b32_sdwa v6, v6, v12 dst_sel:DWORD dst_unused:UNUSED_PAD src0_sel:DWORD src1_sel:BYTE_3
	v_cndmask_b32_e32 v5, v7, v5, vcc_lo
	v_and_b32_e32 v6, 7, v6
	v_lshl_add_u32 v5, v5, 23, 0x3b800000
	v_cndmask_b32_e32 v4, v4, v6, vcc_lo
	v_and_b32_e32 v6, 0x80000000, v12
	v_lshlrev_b32_e32 v4, 20, v4
	v_or3_b32 v4, v6, v5, v4
.LBB6_5474:                             ;   in Loop: Header=BB6_4858 Depth=2
	s_or_b32 exec_lo, exec_lo, s40
	v_mul_f32_e32 v4, s29, v4
	v_mov_b32_e32 v89, 0x8000
	s_mov_b32 s40, exec_lo
	v_and_b32_e32 v5, 0x7f800000, v4
	v_cmpx_ne_u32_e32 0x7f800000, v5
	s_cbranch_execz .LBB6_5482
; %bb.5475:                             ;   in Loop: Header=BB6_4858 Depth=2
	v_mov_b32_e32 v89, 0
	s_mov_b32 s41, exec_lo
	v_cmpx_ne_u32_e32 0, v4
	s_cbranch_execz .LBB6_5481
; %bb.5476:                             ;   in Loop: Header=BB6_4858 Depth=2
	v_bfe_u32 v5, v4, 23, 8
	v_and_b32_e32 v6, 0x7fffff, v4
	v_sub_nc_u32_e32 v7, 0x78, v5
	v_cmp_gt_u32_e32 vcc_lo, 0x79, v5
	v_or_b32_e32 v8, 0x800000, v6
	v_cndmask_b32_e32 v7, 0, v7, vcc_lo
	v_cmp_eq_u32_e32 vcc_lo, 0, v5
	v_add_nc_u32_e32 v5, 0xffffff89, v5
	v_cndmask_b32_e64 v7, v7, 0x77, vcc_lo
	v_cndmask_b32_e32 v6, v8, v6, vcc_lo
	v_cndmask_b32_e64 v5, v5, 0xffffff8a, vcc_lo
	v_lshl_add_u32 v8, 0x100000, v7, -1
	v_lshrrev_b32_e32 v9, v7, v6
	v_lshlrev_b32_e64 v11, v7, 0x80000
	v_add_nc_u32_e32 v7, v7, v5
	v_and_b32_e32 v6, v8, v6
	v_bfe_u32 v10, v9, 20, 1
	v_cmp_eq_u32_e64 s12, v6, v11
	v_add_nc_u32_e32 v8, -1, v10
	v_cndmask_b32_e64 v6, 0, v8, s12
	v_lshrrev_b32_e32 v8, 23, v9
	s_mov_b32 s12, exec_lo
	v_add_nc_u32_e32 v6, v6, v9
	v_xor_b32_e32 v8, 1, v8
	v_and_b32_e32 v5, 0xfffff, v6
	v_add_nc_u32_e32 v6, v5, v9
                                        ; implicit-def: $vgpr5
	v_cmpx_ne_u32_e64 v7, v8
	s_xor_b32 s12, exec_lo, s12
; %bb.5477:                             ;   in Loop: Header=BB6_4858 Depth=2
	v_cmp_lt_u32_e32 vcc_lo, 0xffffff, v6
	v_sub_nc_u32_e32 v5, v7, v8
	v_cndmask_b32_e64 v7, 0, 1, vcc_lo
	v_add_co_ci_u32_e64 v5, null, 0, v5, vcc_lo
	v_lshrrev_b32_e32 v6, v7, v6
; %bb.5478:                             ;   in Loop: Header=BB6_4858 Depth=2
	s_andn2_saveexec_b32 s12, s12
; %bb.5479:                             ;   in Loop: Header=BB6_4858 Depth=2
	v_bfe_u32 v5, v6, 23, 1
; %bb.5480:                             ;   in Loop: Header=BB6_4858 Depth=2
	s_or_b32 exec_lo, exec_lo, s12
	v_lshrrev_b32_e32 v6, 20, v6
	v_min_i32_e32 v7, 15, v5
	v_cmp_gt_i32_e32 vcc_lo, 16, v5
	v_and_b32_sdwa v4, v4, v102 dst_sel:DWORD dst_unused:UNUSED_PAD src0_sel:BYTE_3 src1_sel:DWORD
	v_lshlrev_b32_e32 v7, 3, v7
	v_cndmask_b32_e32 v6, 7, v6, vcc_lo
	v_and_b32_e32 v7, 0xf8, v7
	v_and_b32_e32 v8, 7, v6
	v_or_b32_e32 v5, v5, v6
	v_or3_b32 v4, v4, v7, v8
	v_cmp_ne_u32_e32 vcc_lo, 0, v5
	v_lshlrev_b32_e32 v4, 8, v4
	v_cndmask_b32_e32 v89, 0, v4, vcc_lo
.LBB6_5481:                             ;   in Loop: Header=BB6_4858 Depth=2
	s_or_b32 exec_lo, exec_lo, s41
.LBB6_5482:                             ;   in Loop: Header=BB6_4858 Depth=2
	s_or_b32 exec_lo, exec_lo, s40
	v_cmp_gt_i16_sdwa s40, v13, v101 src0_sel:BYTE_0 src1_sel:DWORD
	s_mov_b32 s12, 0
	s_and_saveexec_b32 s41, s40
	s_xor_b32 s40, exec_lo, s41
	s_cbranch_execz .LBB6_7128
; %bb.5483:                             ;   in Loop: Header=BB6_4858 Depth=2
	v_cmp_eq_u16_sdwa s42, v13, v102 src0_sel:BYTE_0 src1_sel:DWORD
	s_mov_b32 s12, -1
	s_and_saveexec_b32 s41, s42
; %bb.5484:                             ;   in Loop: Header=BB6_4858 Depth=2
	s_xor_b32 s12, exec_lo, -1
; %bb.5485:                             ;   in Loop: Header=BB6_4858 Depth=2
	s_or_b32 exec_lo, exec_lo, s41
	s_and_b32 s12, s12, exec_lo
	s_or_saveexec_b32 s40, s40
	v_mov_b32_e32 v4, 0x7f800001
	s_xor_b32 exec_lo, exec_lo, s40
	s_cbranch_execnz .LBB6_7129
.LBB6_5486:                             ;   in Loop: Header=BB6_4858 Depth=2
	s_or_b32 exec_lo, exec_lo, s40
	s_and_saveexec_b32 s40, s12
	s_cbranch_execz .LBB6_5488
.LBB6_5487:                             ;   in Loop: Header=BB6_4858 Depth=2
	v_and_b32_e32 v4, 7, v13
	v_bfe_u32 v7, v13, 3, 4
	v_lshlrev_b32_e32 v8, 24, v13
	v_ffbh_u32_e32 v5, v4
	v_cmp_eq_u32_e32 vcc_lo, 0, v7
	v_min_u32_e32 v5, 32, v5
	v_subrev_nc_u32_e32 v6, 28, v5
	v_sub_nc_u32_e32 v5, 29, v5
	v_lshlrev_b32_e32 v6, v6, v13
	v_cndmask_b32_e32 v5, v7, v5, vcc_lo
	v_and_b32_e32 v6, 7, v6
	v_lshl_add_u32 v5, v5, 23, 0x3b800000
	v_cndmask_b32_e32 v4, v4, v6, vcc_lo
	v_and_b32_e32 v6, 0x80000000, v8
	v_lshlrev_b32_e32 v4, 20, v4
	v_or3_b32 v4, v6, v5, v4
.LBB6_5488:                             ;   in Loop: Header=BB6_4858 Depth=2
	s_or_b32 exec_lo, exec_lo, s40
	v_mul_f32_e32 v4, s29, v4
	v_mov_b32_e32 v77, 0x80
	s_mov_b32 s40, exec_lo
	v_and_b32_e32 v5, 0x7f800000, v4
	v_cmpx_ne_u32_e32 0x7f800000, v5
	s_cbranch_execz .LBB6_5496
; %bb.5489:                             ;   in Loop: Header=BB6_4858 Depth=2
	v_mov_b32_e32 v77, 0
	s_mov_b32 s41, exec_lo
	v_cmpx_ne_u32_e32 0, v4
	s_cbranch_execz .LBB6_5495
; %bb.5490:                             ;   in Loop: Header=BB6_4858 Depth=2
	v_bfe_u32 v5, v4, 23, 8
	v_and_b32_e32 v6, 0x7fffff, v4
	v_sub_nc_u32_e32 v7, 0x78, v5
	v_cmp_gt_u32_e32 vcc_lo, 0x79, v5
	v_or_b32_e32 v8, 0x800000, v6
	v_cndmask_b32_e32 v7, 0, v7, vcc_lo
	v_cmp_eq_u32_e32 vcc_lo, 0, v5
	v_add_nc_u32_e32 v5, 0xffffff89, v5
	v_cndmask_b32_e64 v7, v7, 0x77, vcc_lo
	v_cndmask_b32_e32 v6, v8, v6, vcc_lo
	v_cndmask_b32_e64 v5, v5, 0xffffff8a, vcc_lo
	v_lshl_add_u32 v8, 0x100000, v7, -1
	v_lshrrev_b32_e32 v9, v7, v6
	v_lshlrev_b32_e64 v11, v7, 0x80000
	v_add_nc_u32_e32 v7, v7, v5
	v_and_b32_e32 v6, v8, v6
	v_bfe_u32 v10, v9, 20, 1
	v_cmp_eq_u32_e64 s12, v6, v11
	v_add_nc_u32_e32 v8, -1, v10
	v_cndmask_b32_e64 v6, 0, v8, s12
	v_lshrrev_b32_e32 v8, 23, v9
	s_mov_b32 s12, exec_lo
	v_add_nc_u32_e32 v6, v6, v9
	v_xor_b32_e32 v8, 1, v8
	v_and_b32_e32 v5, 0xfffff, v6
	v_add_nc_u32_e32 v6, v5, v9
                                        ; implicit-def: $vgpr5
	v_cmpx_ne_u32_e64 v7, v8
	s_xor_b32 s12, exec_lo, s12
; %bb.5491:                             ;   in Loop: Header=BB6_4858 Depth=2
	v_cmp_lt_u32_e32 vcc_lo, 0xffffff, v6
	v_sub_nc_u32_e32 v5, v7, v8
	v_cndmask_b32_e64 v7, 0, 1, vcc_lo
	v_add_co_ci_u32_e64 v5, null, 0, v5, vcc_lo
	v_lshrrev_b32_e32 v6, v7, v6
; %bb.5492:                             ;   in Loop: Header=BB6_4858 Depth=2
	s_andn2_saveexec_b32 s12, s12
; %bb.5493:                             ;   in Loop: Header=BB6_4858 Depth=2
	v_bfe_u32 v5, v6, 23, 1
; %bb.5494:                             ;   in Loop: Header=BB6_4858 Depth=2
	s_or_b32 exec_lo, exec_lo, s12
	v_lshrrev_b32_e32 v6, 20, v6
	v_min_i32_e32 v7, 15, v5
	v_cmp_gt_i32_e32 vcc_lo, 16, v5
	v_and_b32_sdwa v4, v4, v102 dst_sel:DWORD dst_unused:UNUSED_PAD src0_sel:BYTE_3 src1_sel:DWORD
	v_lshlrev_b32_e32 v7, 3, v7
	v_cndmask_b32_e32 v6, 7, v6, vcc_lo
	v_and_b32_e32 v7, 0xf8, v7
	v_and_b32_e32 v8, 7, v6
	v_or_b32_e32 v5, v5, v6
	v_or3_b32 v4, v7, v4, v8
	v_cmp_ne_u32_e32 vcc_lo, 0, v5
	v_cndmask_b32_e32 v77, 0, v4, vcc_lo
.LBB6_5495:                             ;   in Loop: Header=BB6_4858 Depth=2
	s_or_b32 exec_lo, exec_lo, s41
.LBB6_5496:                             ;   in Loop: Header=BB6_4858 Depth=2
	s_or_b32 exec_lo, exec_lo, s40
	v_cmp_gt_i16_sdwa s40, v13, v101 src0_sel:BYTE_1 src1_sel:DWORD
	s_mov_b32 s12, 0
	s_and_saveexec_b32 s41, s40
	s_xor_b32 s40, exec_lo, s41
	s_cbranch_execz .LBB6_7130
; %bb.5497:                             ;   in Loop: Header=BB6_4858 Depth=2
	v_cmp_eq_u16_sdwa s42, v13, v102 src0_sel:BYTE_1 src1_sel:DWORD
	s_mov_b32 s12, -1
	s_and_saveexec_b32 s41, s42
; %bb.5498:                             ;   in Loop: Header=BB6_4858 Depth=2
	s_xor_b32 s12, exec_lo, -1
; %bb.5499:                             ;   in Loop: Header=BB6_4858 Depth=2
	s_or_b32 exec_lo, exec_lo, s41
	s_and_b32 s12, s12, exec_lo
	s_or_saveexec_b32 s40, s40
	v_mov_b32_e32 v4, 0x7f800001
	s_xor_b32 exec_lo, exec_lo, s40
	s_cbranch_execnz .LBB6_7131
.LBB6_5500:                             ;   in Loop: Header=BB6_4858 Depth=2
	s_or_b32 exec_lo, exec_lo, s40
	s_and_saveexec_b32 s40, s12
	s_cbranch_execz .LBB6_5502
.LBB6_5501:                             ;   in Loop: Header=BB6_4858 Depth=2
	v_and_b32_sdwa v4, v103, v13 dst_sel:DWORD dst_unused:UNUSED_PAD src0_sel:DWORD src1_sel:BYTE_1
	v_and_b32_e32 v5, 7, v4
	v_bfe_u32 v8, v4, 3, 4
	v_ffbh_u32_e32 v6, v5
	v_cmp_eq_u32_e32 vcc_lo, 0, v8
	v_min_u32_e32 v6, 32, v6
	v_subrev_nc_u32_e32 v7, 28, v6
	v_sub_nc_u32_e32 v6, 29, v6
	v_lshlrev_b32_e32 v4, v7, v4
	v_lshlrev_b32_sdwa v7, v112, v13 dst_sel:DWORD dst_unused:UNUSED_PAD src0_sel:DWORD src1_sel:BYTE_1
	v_cndmask_b32_e32 v6, v8, v6, vcc_lo
	v_and_b32_e32 v4, 7, v4
	v_lshl_add_u32 v6, v6, 23, 0x3b800000
	v_cndmask_b32_e32 v4, v5, v4, vcc_lo
	v_and_b32_e32 v5, 0x80000000, v7
	v_lshlrev_b32_e32 v4, 20, v4
	v_or3_b32 v4, v5, v6, v4
.LBB6_5502:                             ;   in Loop: Header=BB6_4858 Depth=2
	s_or_b32 exec_lo, exec_lo, s40
	v_mul_f32_e32 v4, s29, v4
	v_mov_b32_e32 v78, 0x8000
	s_mov_b32 s40, exec_lo
	v_and_b32_e32 v5, 0x7f800000, v4
	v_cmpx_ne_u32_e32 0x7f800000, v5
	s_cbranch_execz .LBB6_5510
; %bb.5503:                             ;   in Loop: Header=BB6_4858 Depth=2
	v_mov_b32_e32 v78, 0
	s_mov_b32 s41, exec_lo
	v_cmpx_ne_u32_e32 0, v4
	s_cbranch_execz .LBB6_5509
; %bb.5504:                             ;   in Loop: Header=BB6_4858 Depth=2
	v_bfe_u32 v5, v4, 23, 8
	v_and_b32_e32 v6, 0x7fffff, v4
	v_sub_nc_u32_e32 v7, 0x78, v5
	v_cmp_gt_u32_e32 vcc_lo, 0x79, v5
	v_or_b32_e32 v8, 0x800000, v6
	v_cndmask_b32_e32 v7, 0, v7, vcc_lo
	v_cmp_eq_u32_e32 vcc_lo, 0, v5
	v_add_nc_u32_e32 v5, 0xffffff89, v5
	v_cndmask_b32_e64 v7, v7, 0x77, vcc_lo
	v_cndmask_b32_e32 v6, v8, v6, vcc_lo
	v_cndmask_b32_e64 v5, v5, 0xffffff8a, vcc_lo
	v_lshl_add_u32 v8, 0x100000, v7, -1
	v_lshrrev_b32_e32 v9, v7, v6
	v_lshlrev_b32_e64 v11, v7, 0x80000
	v_add_nc_u32_e32 v7, v7, v5
	v_and_b32_e32 v6, v8, v6
	v_bfe_u32 v10, v9, 20, 1
	v_cmp_eq_u32_e64 s12, v6, v11
	v_add_nc_u32_e32 v8, -1, v10
	v_cndmask_b32_e64 v6, 0, v8, s12
	v_lshrrev_b32_e32 v8, 23, v9
	s_mov_b32 s12, exec_lo
	v_add_nc_u32_e32 v6, v6, v9
	v_xor_b32_e32 v8, 1, v8
	v_and_b32_e32 v5, 0xfffff, v6
	v_add_nc_u32_e32 v6, v5, v9
                                        ; implicit-def: $vgpr5
	v_cmpx_ne_u32_e64 v7, v8
	s_xor_b32 s12, exec_lo, s12
; %bb.5505:                             ;   in Loop: Header=BB6_4858 Depth=2
	v_cmp_lt_u32_e32 vcc_lo, 0xffffff, v6
	v_sub_nc_u32_e32 v5, v7, v8
	v_cndmask_b32_e64 v7, 0, 1, vcc_lo
	v_add_co_ci_u32_e64 v5, null, 0, v5, vcc_lo
	v_lshrrev_b32_e32 v6, v7, v6
; %bb.5506:                             ;   in Loop: Header=BB6_4858 Depth=2
	s_andn2_saveexec_b32 s12, s12
; %bb.5507:                             ;   in Loop: Header=BB6_4858 Depth=2
	v_bfe_u32 v5, v6, 23, 1
; %bb.5508:                             ;   in Loop: Header=BB6_4858 Depth=2
	s_or_b32 exec_lo, exec_lo, s12
	v_lshrrev_b32_e32 v6, 20, v6
	v_min_i32_e32 v7, 15, v5
	v_cmp_gt_i32_e32 vcc_lo, 16, v5
	v_and_b32_sdwa v4, v4, v102 dst_sel:DWORD dst_unused:UNUSED_PAD src0_sel:BYTE_3 src1_sel:DWORD
	v_lshlrev_b32_e32 v7, 3, v7
	v_cndmask_b32_e32 v6, 7, v6, vcc_lo
	v_and_b32_e32 v7, 0xf8, v7
	v_and_b32_e32 v8, 7, v6
	v_or_b32_e32 v5, v5, v6
	v_or3_b32 v4, v4, v7, v8
	v_cmp_ne_u32_e32 vcc_lo, 0, v5
	v_lshlrev_b32_e32 v4, 8, v4
	v_cndmask_b32_e32 v78, 0, v4, vcc_lo
.LBB6_5509:                             ;   in Loop: Header=BB6_4858 Depth=2
	s_or_b32 exec_lo, exec_lo, s41
.LBB6_5510:                             ;   in Loop: Header=BB6_4858 Depth=2
	s_or_b32 exec_lo, exec_lo, s40
	v_and_b32_sdwa v5, v13, v113 dst_sel:DWORD dst_unused:UNUSED_PAD src0_sel:WORD_1 src1_sel:DWORD
	s_mov_b32 s12, 0
	s_mov_b32 s40, exec_lo
	v_cmpx_lt_i16_e32 0x7f, v5
	s_xor_b32 s40, exec_lo, s40
	s_cbranch_execz .LBB6_7132
; %bb.5511:                             ;   in Loop: Header=BB6_4858 Depth=2
	s_mov_b32 s12, -1
	s_mov_b32 s41, exec_lo
	v_cmpx_eq_u16_e32 0x80, v5
; %bb.5512:                             ;   in Loop: Header=BB6_4858 Depth=2
	s_xor_b32 s12, exec_lo, -1
; %bb.5513:                             ;   in Loop: Header=BB6_4858 Depth=2
	s_or_b32 exec_lo, exec_lo, s41
	s_and_b32 s12, s12, exec_lo
                                        ; implicit-def: $vgpr5
	s_or_saveexec_b32 s40, s40
	v_mov_b32_e32 v4, 0x7f800001
	s_xor_b32 exec_lo, exec_lo, s40
	s_cbranch_execnz .LBB6_7133
.LBB6_5514:                             ;   in Loop: Header=BB6_4858 Depth=2
	s_or_b32 exec_lo, exec_lo, s40
	s_and_saveexec_b32 s40, s12
	s_cbranch_execz .LBB6_5516
.LBB6_5515:                             ;   in Loop: Header=BB6_4858 Depth=2
	v_bfe_u32 v4, v13, 16, 3
	v_bfe_u32 v7, v13, 19, 4
	v_lshlrev_b32_e32 v8, 8, v13
	v_ffbh_u32_e32 v5, v4
	v_cmp_eq_u32_e32 vcc_lo, 0, v7
	v_min_u32_e32 v5, 32, v5
	v_subrev_nc_u32_e32 v6, 28, v5
	v_sub_nc_u32_e32 v5, 29, v5
	v_lshlrev_b32_sdwa v6, v6, v13 dst_sel:DWORD dst_unused:UNUSED_PAD src0_sel:DWORD src1_sel:WORD_1
	v_cndmask_b32_e32 v5, v7, v5, vcc_lo
	v_and_b32_e32 v6, 7, v6
	v_lshl_add_u32 v5, v5, 23, 0x3b800000
	v_cndmask_b32_e32 v4, v4, v6, vcc_lo
	v_and_b32_e32 v6, 0x80000000, v8
	v_lshlrev_b32_e32 v4, 20, v4
	v_or3_b32 v4, v6, v5, v4
.LBB6_5516:                             ;   in Loop: Header=BB6_4858 Depth=2
	s_or_b32 exec_lo, exec_lo, s40
	v_mul_f32_e32 v4, s29, v4
	v_mov_b32_e32 v74, 0x80
	s_mov_b32 s40, exec_lo
	v_and_b32_e32 v5, 0x7f800000, v4
	v_cmpx_ne_u32_e32 0x7f800000, v5
	s_cbranch_execz .LBB6_5524
; %bb.5517:                             ;   in Loop: Header=BB6_4858 Depth=2
	v_mov_b32_e32 v74, 0
	s_mov_b32 s41, exec_lo
	v_cmpx_ne_u32_e32 0, v4
	s_cbranch_execz .LBB6_5523
; %bb.5518:                             ;   in Loop: Header=BB6_4858 Depth=2
	v_bfe_u32 v5, v4, 23, 8
	v_and_b32_e32 v6, 0x7fffff, v4
	v_sub_nc_u32_e32 v7, 0x78, v5
	v_cmp_gt_u32_e32 vcc_lo, 0x79, v5
	v_or_b32_e32 v8, 0x800000, v6
	v_cndmask_b32_e32 v7, 0, v7, vcc_lo
	v_cmp_eq_u32_e32 vcc_lo, 0, v5
	v_add_nc_u32_e32 v5, 0xffffff89, v5
	v_cndmask_b32_e64 v7, v7, 0x77, vcc_lo
	v_cndmask_b32_e32 v6, v8, v6, vcc_lo
	v_cndmask_b32_e64 v5, v5, 0xffffff8a, vcc_lo
	v_lshl_add_u32 v8, 0x100000, v7, -1
	v_lshrrev_b32_e32 v9, v7, v6
	v_lshlrev_b32_e64 v11, v7, 0x80000
	v_add_nc_u32_e32 v7, v7, v5
	v_and_b32_e32 v6, v8, v6
	v_bfe_u32 v10, v9, 20, 1
	v_cmp_eq_u32_e64 s12, v6, v11
	v_add_nc_u32_e32 v8, -1, v10
	v_cndmask_b32_e64 v6, 0, v8, s12
	v_lshrrev_b32_e32 v8, 23, v9
	s_mov_b32 s12, exec_lo
	v_add_nc_u32_e32 v6, v6, v9
	v_xor_b32_e32 v8, 1, v8
	v_and_b32_e32 v5, 0xfffff, v6
	v_add_nc_u32_e32 v6, v5, v9
                                        ; implicit-def: $vgpr5
	v_cmpx_ne_u32_e64 v7, v8
	s_xor_b32 s12, exec_lo, s12
; %bb.5519:                             ;   in Loop: Header=BB6_4858 Depth=2
	v_cmp_lt_u32_e32 vcc_lo, 0xffffff, v6
	v_sub_nc_u32_e32 v5, v7, v8
	v_cndmask_b32_e64 v7, 0, 1, vcc_lo
	v_add_co_ci_u32_e64 v5, null, 0, v5, vcc_lo
	v_lshrrev_b32_e32 v6, v7, v6
; %bb.5520:                             ;   in Loop: Header=BB6_4858 Depth=2
	s_andn2_saveexec_b32 s12, s12
; %bb.5521:                             ;   in Loop: Header=BB6_4858 Depth=2
	v_bfe_u32 v5, v6, 23, 1
; %bb.5522:                             ;   in Loop: Header=BB6_4858 Depth=2
	s_or_b32 exec_lo, exec_lo, s12
	v_lshrrev_b32_e32 v6, 20, v6
	v_min_i32_e32 v7, 15, v5
	v_cmp_gt_i32_e32 vcc_lo, 16, v5
	v_and_b32_sdwa v4, v4, v102 dst_sel:DWORD dst_unused:UNUSED_PAD src0_sel:BYTE_3 src1_sel:DWORD
	v_lshlrev_b32_e32 v7, 3, v7
	v_cndmask_b32_e32 v6, 7, v6, vcc_lo
	v_and_b32_e32 v7, 0xf8, v7
	v_and_b32_e32 v8, 7, v6
	v_or_b32_e32 v5, v5, v6
	v_or3_b32 v4, v7, v4, v8
	v_cmp_ne_u32_e32 vcc_lo, 0, v5
	v_cndmask_b32_e32 v74, 0, v4, vcc_lo
.LBB6_5523:                             ;   in Loop: Header=BB6_4858 Depth=2
	s_or_b32 exec_lo, exec_lo, s41
.LBB6_5524:                             ;   in Loop: Header=BB6_4858 Depth=2
	s_or_b32 exec_lo, exec_lo, s40
	v_cmp_gt_i16_sdwa s40, v13, v101 src0_sel:BYTE_3 src1_sel:DWORD
	s_mov_b32 s12, 0
	s_and_saveexec_b32 s41, s40
	s_xor_b32 s40, exec_lo, s41
	s_cbranch_execz .LBB6_7134
; %bb.5525:                             ;   in Loop: Header=BB6_4858 Depth=2
	v_cmp_eq_u16_sdwa s42, v13, v102 src0_sel:BYTE_3 src1_sel:DWORD
	s_mov_b32 s12, -1
	s_and_saveexec_b32 s41, s42
; %bb.5526:                             ;   in Loop: Header=BB6_4858 Depth=2
	s_xor_b32 s12, exec_lo, -1
; %bb.5527:                             ;   in Loop: Header=BB6_4858 Depth=2
	s_or_b32 exec_lo, exec_lo, s41
	s_and_b32 s12, s12, exec_lo
	s_or_saveexec_b32 s40, s40
	v_mov_b32_e32 v4, 0x7f800001
	s_xor_b32 exec_lo, exec_lo, s40
	s_cbranch_execnz .LBB6_7135
.LBB6_5528:                             ;   in Loop: Header=BB6_4858 Depth=2
	s_or_b32 exec_lo, exec_lo, s40
	s_and_saveexec_b32 s40, s12
	s_cbranch_execz .LBB6_5530
.LBB6_5529:                             ;   in Loop: Header=BB6_4858 Depth=2
	v_bfe_u32 v4, v13, 24, 3
	v_bfe_u32 v7, v13, 27, 4
	v_ffbh_u32_e32 v5, v4
	v_cmp_eq_u32_e32 vcc_lo, 0, v7
	v_min_u32_e32 v5, 32, v5
	v_subrev_nc_u32_e32 v6, 28, v5
	v_sub_nc_u32_e32 v5, 29, v5
	v_lshlrev_b32_sdwa v6, v6, v13 dst_sel:DWORD dst_unused:UNUSED_PAD src0_sel:DWORD src1_sel:BYTE_3
	v_cndmask_b32_e32 v5, v7, v5, vcc_lo
	v_and_b32_e32 v6, 7, v6
	v_lshl_add_u32 v5, v5, 23, 0x3b800000
	v_cndmask_b32_e32 v4, v4, v6, vcc_lo
	v_and_b32_e32 v6, 0x80000000, v13
	v_lshlrev_b32_e32 v4, 20, v4
	v_or3_b32 v4, v6, v5, v4
.LBB6_5530:                             ;   in Loop: Header=BB6_4858 Depth=2
	s_or_b32 exec_lo, exec_lo, s40
	v_mul_f32_e32 v4, s29, v4
	v_mov_b32_e32 v75, 0x8000
	s_mov_b32 s40, exec_lo
	v_and_b32_e32 v5, 0x7f800000, v4
	v_cmpx_ne_u32_e32 0x7f800000, v5
	s_cbranch_execz .LBB6_5538
; %bb.5531:                             ;   in Loop: Header=BB6_4858 Depth=2
	v_mov_b32_e32 v75, 0
	s_mov_b32 s41, exec_lo
	v_cmpx_ne_u32_e32 0, v4
	s_cbranch_execz .LBB6_5537
; %bb.5532:                             ;   in Loop: Header=BB6_4858 Depth=2
	v_bfe_u32 v5, v4, 23, 8
	v_and_b32_e32 v6, 0x7fffff, v4
	v_sub_nc_u32_e32 v7, 0x78, v5
	v_cmp_gt_u32_e32 vcc_lo, 0x79, v5
	v_or_b32_e32 v8, 0x800000, v6
	v_cndmask_b32_e32 v7, 0, v7, vcc_lo
	v_cmp_eq_u32_e32 vcc_lo, 0, v5
	v_add_nc_u32_e32 v5, 0xffffff89, v5
	v_cndmask_b32_e64 v7, v7, 0x77, vcc_lo
	v_cndmask_b32_e32 v6, v8, v6, vcc_lo
	v_cndmask_b32_e64 v5, v5, 0xffffff8a, vcc_lo
	v_lshl_add_u32 v8, 0x100000, v7, -1
	v_lshrrev_b32_e32 v9, v7, v6
	v_lshlrev_b32_e64 v11, v7, 0x80000
	v_add_nc_u32_e32 v7, v7, v5
	v_and_b32_e32 v6, v8, v6
	v_bfe_u32 v10, v9, 20, 1
	v_cmp_eq_u32_e64 s12, v6, v11
	v_add_nc_u32_e32 v8, -1, v10
	v_cndmask_b32_e64 v6, 0, v8, s12
	v_lshrrev_b32_e32 v8, 23, v9
	s_mov_b32 s12, exec_lo
	v_add_nc_u32_e32 v6, v6, v9
	v_xor_b32_e32 v8, 1, v8
	v_and_b32_e32 v5, 0xfffff, v6
	v_add_nc_u32_e32 v6, v5, v9
                                        ; implicit-def: $vgpr5
	v_cmpx_ne_u32_e64 v7, v8
	s_xor_b32 s12, exec_lo, s12
; %bb.5533:                             ;   in Loop: Header=BB6_4858 Depth=2
	v_cmp_lt_u32_e32 vcc_lo, 0xffffff, v6
	v_sub_nc_u32_e32 v5, v7, v8
	v_cndmask_b32_e64 v7, 0, 1, vcc_lo
	v_add_co_ci_u32_e64 v5, null, 0, v5, vcc_lo
	v_lshrrev_b32_e32 v6, v7, v6
; %bb.5534:                             ;   in Loop: Header=BB6_4858 Depth=2
	s_andn2_saveexec_b32 s12, s12
; %bb.5535:                             ;   in Loop: Header=BB6_4858 Depth=2
	v_bfe_u32 v5, v6, 23, 1
; %bb.5536:                             ;   in Loop: Header=BB6_4858 Depth=2
	s_or_b32 exec_lo, exec_lo, s12
	v_lshrrev_b32_e32 v6, 20, v6
	v_min_i32_e32 v7, 15, v5
	v_cmp_gt_i32_e32 vcc_lo, 16, v5
	v_and_b32_sdwa v4, v4, v102 dst_sel:DWORD dst_unused:UNUSED_PAD src0_sel:BYTE_3 src1_sel:DWORD
	v_lshlrev_b32_e32 v7, 3, v7
	v_cndmask_b32_e32 v6, 7, v6, vcc_lo
	v_and_b32_e32 v7, 0xf8, v7
	v_and_b32_e32 v8, 7, v6
	v_or_b32_e32 v5, v5, v6
	v_or3_b32 v4, v4, v7, v8
	v_cmp_ne_u32_e32 vcc_lo, 0, v5
	v_lshlrev_b32_e32 v4, 8, v4
	v_cndmask_b32_e32 v75, 0, v4, vcc_lo
.LBB6_5537:                             ;   in Loop: Header=BB6_4858 Depth=2
	s_or_b32 exec_lo, exec_lo, s41
.LBB6_5538:                             ;   in Loop: Header=BB6_4858 Depth=2
	s_or_b32 exec_lo, exec_lo, s40
	global_load_dwordx4 v[10:13], v[68:69], off offset:1536 slc
	s_mov_b32 s12, 0
	s_waitcnt vmcnt(0)
	v_cmp_gt_i16_sdwa s40, v10, v101 src0_sel:BYTE_0 src1_sel:DWORD
	s_and_saveexec_b32 s41, s40
	s_xor_b32 s40, exec_lo, s41
	s_cbranch_execz .LBB6_7136
; %bb.5539:                             ;   in Loop: Header=BB6_4858 Depth=2
	v_cmp_eq_u16_sdwa s42, v10, v102 src0_sel:BYTE_0 src1_sel:DWORD
	s_mov_b32 s12, -1
	s_and_saveexec_b32 s41, s42
; %bb.5540:                             ;   in Loop: Header=BB6_4858 Depth=2
	s_xor_b32 s12, exec_lo, -1
; %bb.5541:                             ;   in Loop: Header=BB6_4858 Depth=2
	s_or_b32 exec_lo, exec_lo, s41
	s_and_b32 s12, s12, exec_lo
	s_or_saveexec_b32 s40, s40
	v_mov_b32_e32 v4, 0x7f800001
	s_xor_b32 exec_lo, exec_lo, s40
	s_cbranch_execnz .LBB6_7137
.LBB6_5542:                             ;   in Loop: Header=BB6_4858 Depth=2
	s_or_b32 exec_lo, exec_lo, s40
	s_and_saveexec_b32 s40, s12
	s_cbranch_execz .LBB6_5544
.LBB6_5543:                             ;   in Loop: Header=BB6_4858 Depth=2
	v_and_b32_e32 v4, 7, v10
	v_bfe_u32 v7, v10, 3, 4
	v_lshlrev_b32_e32 v8, 24, v10
	v_ffbh_u32_e32 v5, v4
	v_cmp_eq_u32_e32 vcc_lo, 0, v7
	v_min_u32_e32 v5, 32, v5
	v_subrev_nc_u32_e32 v6, 28, v5
	v_sub_nc_u32_e32 v5, 29, v5
	v_lshlrev_b32_e32 v6, v6, v10
	v_cndmask_b32_e32 v5, v7, v5, vcc_lo
	v_and_b32_e32 v6, 7, v6
	v_lshl_add_u32 v5, v5, 23, 0x3b800000
	v_cndmask_b32_e32 v4, v4, v6, vcc_lo
	v_and_b32_e32 v6, 0x80000000, v8
	v_lshlrev_b32_e32 v4, 20, v4
	v_or3_b32 v4, v6, v5, v4
.LBB6_5544:                             ;   in Loop: Header=BB6_4858 Depth=2
	s_or_b32 exec_lo, exec_lo, s40
	v_mul_f32_e32 v4, s29, v4
	v_mov_b32_e32 v72, 0x80
	s_mov_b32 s40, exec_lo
	v_and_b32_e32 v5, 0x7f800000, v4
	v_cmpx_ne_u32_e32 0x7f800000, v5
	s_cbranch_execz .LBB6_5552
; %bb.5545:                             ;   in Loop: Header=BB6_4858 Depth=2
	v_mov_b32_e32 v72, 0
	s_mov_b32 s41, exec_lo
	v_cmpx_ne_u32_e32 0, v4
	s_cbranch_execz .LBB6_5551
; %bb.5546:                             ;   in Loop: Header=BB6_4858 Depth=2
	v_bfe_u32 v5, v4, 23, 8
	v_and_b32_e32 v6, 0x7fffff, v4
	v_sub_nc_u32_e32 v7, 0x78, v5
	v_cmp_gt_u32_e32 vcc_lo, 0x79, v5
	v_or_b32_e32 v8, 0x800000, v6
	v_cndmask_b32_e32 v7, 0, v7, vcc_lo
	v_cmp_eq_u32_e32 vcc_lo, 0, v5
	v_add_nc_u32_e32 v5, 0xffffff89, v5
	v_cndmask_b32_e64 v7, v7, 0x77, vcc_lo
	v_cndmask_b32_e32 v6, v8, v6, vcc_lo
	v_cndmask_b32_e64 v5, v5, 0xffffff8a, vcc_lo
	v_lshl_add_u32 v8, 0x100000, v7, -1
	v_lshrrev_b32_e32 v9, v7, v6
	v_lshlrev_b32_e64 v17, v7, 0x80000
	v_add_nc_u32_e32 v7, v7, v5
	v_and_b32_e32 v6, v8, v6
	v_bfe_u32 v16, v9, 20, 1
	v_cmp_eq_u32_e64 s12, v6, v17
	v_add_nc_u32_e32 v8, -1, v16
	v_cndmask_b32_e64 v6, 0, v8, s12
	v_lshrrev_b32_e32 v8, 23, v9
	s_mov_b32 s12, exec_lo
	v_add_nc_u32_e32 v6, v6, v9
	v_xor_b32_e32 v8, 1, v8
	v_and_b32_e32 v5, 0xfffff, v6
	v_add_nc_u32_e32 v6, v5, v9
                                        ; implicit-def: $vgpr5
	v_cmpx_ne_u32_e64 v7, v8
	s_xor_b32 s12, exec_lo, s12
; %bb.5547:                             ;   in Loop: Header=BB6_4858 Depth=2
	v_cmp_lt_u32_e32 vcc_lo, 0xffffff, v6
	v_sub_nc_u32_e32 v5, v7, v8
	v_cndmask_b32_e64 v7, 0, 1, vcc_lo
	v_add_co_ci_u32_e64 v5, null, 0, v5, vcc_lo
	v_lshrrev_b32_e32 v6, v7, v6
; %bb.5548:                             ;   in Loop: Header=BB6_4858 Depth=2
	s_andn2_saveexec_b32 s12, s12
; %bb.5549:                             ;   in Loop: Header=BB6_4858 Depth=2
	v_bfe_u32 v5, v6, 23, 1
; %bb.5550:                             ;   in Loop: Header=BB6_4858 Depth=2
	s_or_b32 exec_lo, exec_lo, s12
	v_lshrrev_b32_e32 v6, 20, v6
	v_min_i32_e32 v7, 15, v5
	v_cmp_gt_i32_e32 vcc_lo, 16, v5
	v_and_b32_sdwa v4, v4, v102 dst_sel:DWORD dst_unused:UNUSED_PAD src0_sel:BYTE_3 src1_sel:DWORD
	v_lshlrev_b32_e32 v7, 3, v7
	v_cndmask_b32_e32 v6, 7, v6, vcc_lo
	v_and_b32_e32 v7, 0xf8, v7
	v_and_b32_e32 v8, 7, v6
	v_or_b32_e32 v5, v5, v6
	v_or3_b32 v4, v7, v4, v8
	v_cmp_ne_u32_e32 vcc_lo, 0, v5
	v_cndmask_b32_e32 v72, 0, v4, vcc_lo
.LBB6_5551:                             ;   in Loop: Header=BB6_4858 Depth=2
	s_or_b32 exec_lo, exec_lo, s41
.LBB6_5552:                             ;   in Loop: Header=BB6_4858 Depth=2
	s_or_b32 exec_lo, exec_lo, s40
	v_cmp_gt_i16_sdwa s40, v10, v101 src0_sel:BYTE_1 src1_sel:DWORD
	s_mov_b32 s12, 0
	s_and_saveexec_b32 s41, s40
	s_xor_b32 s40, exec_lo, s41
	s_cbranch_execz .LBB6_7138
; %bb.5553:                             ;   in Loop: Header=BB6_4858 Depth=2
	v_cmp_eq_u16_sdwa s42, v10, v102 src0_sel:BYTE_1 src1_sel:DWORD
	s_mov_b32 s12, -1
	s_and_saveexec_b32 s41, s42
; %bb.5554:                             ;   in Loop: Header=BB6_4858 Depth=2
	s_xor_b32 s12, exec_lo, -1
; %bb.5555:                             ;   in Loop: Header=BB6_4858 Depth=2
	s_or_b32 exec_lo, exec_lo, s41
	s_and_b32 s12, s12, exec_lo
	s_or_saveexec_b32 s40, s40
	v_mov_b32_e32 v4, 0x7f800001
	s_xor_b32 exec_lo, exec_lo, s40
	s_cbranch_execnz .LBB6_7139
.LBB6_5556:                             ;   in Loop: Header=BB6_4858 Depth=2
	s_or_b32 exec_lo, exec_lo, s40
	s_and_saveexec_b32 s40, s12
	s_cbranch_execz .LBB6_5558
.LBB6_5557:                             ;   in Loop: Header=BB6_4858 Depth=2
	v_and_b32_sdwa v4, v103, v10 dst_sel:DWORD dst_unused:UNUSED_PAD src0_sel:DWORD src1_sel:BYTE_1
	v_and_b32_e32 v5, 7, v4
	v_bfe_u32 v8, v4, 3, 4
	v_ffbh_u32_e32 v6, v5
	v_cmp_eq_u32_e32 vcc_lo, 0, v8
	v_min_u32_e32 v6, 32, v6
	v_subrev_nc_u32_e32 v7, 28, v6
	v_sub_nc_u32_e32 v6, 29, v6
	v_lshlrev_b32_e32 v4, v7, v4
	v_lshlrev_b32_sdwa v7, v112, v10 dst_sel:DWORD dst_unused:UNUSED_PAD src0_sel:DWORD src1_sel:BYTE_1
	v_cndmask_b32_e32 v6, v8, v6, vcc_lo
	v_and_b32_e32 v4, 7, v4
	v_lshl_add_u32 v6, v6, 23, 0x3b800000
	v_cndmask_b32_e32 v4, v5, v4, vcc_lo
	v_and_b32_e32 v5, 0x80000000, v7
	v_lshlrev_b32_e32 v4, 20, v4
	v_or3_b32 v4, v5, v6, v4
.LBB6_5558:                             ;   in Loop: Header=BB6_4858 Depth=2
	s_or_b32 exec_lo, exec_lo, s40
	v_mul_f32_e32 v4, s29, v4
	v_mov_b32_e32 v73, 0x8000
	s_mov_b32 s40, exec_lo
	v_and_b32_e32 v5, 0x7f800000, v4
	v_cmpx_ne_u32_e32 0x7f800000, v5
	s_cbranch_execz .LBB6_5566
; %bb.5559:                             ;   in Loop: Header=BB6_4858 Depth=2
	v_mov_b32_e32 v73, 0
	s_mov_b32 s41, exec_lo
	v_cmpx_ne_u32_e32 0, v4
	s_cbranch_execz .LBB6_5565
; %bb.5560:                             ;   in Loop: Header=BB6_4858 Depth=2
	v_bfe_u32 v5, v4, 23, 8
	v_and_b32_e32 v6, 0x7fffff, v4
	v_sub_nc_u32_e32 v7, 0x78, v5
	v_cmp_gt_u32_e32 vcc_lo, 0x79, v5
	v_or_b32_e32 v8, 0x800000, v6
	v_cndmask_b32_e32 v7, 0, v7, vcc_lo
	v_cmp_eq_u32_e32 vcc_lo, 0, v5
	v_add_nc_u32_e32 v5, 0xffffff89, v5
	v_cndmask_b32_e64 v7, v7, 0x77, vcc_lo
	v_cndmask_b32_e32 v6, v8, v6, vcc_lo
	v_cndmask_b32_e64 v5, v5, 0xffffff8a, vcc_lo
	v_lshl_add_u32 v8, 0x100000, v7, -1
	v_lshrrev_b32_e32 v9, v7, v6
	v_lshlrev_b32_e64 v17, v7, 0x80000
	v_add_nc_u32_e32 v7, v7, v5
	v_and_b32_e32 v6, v8, v6
	v_bfe_u32 v16, v9, 20, 1
	v_cmp_eq_u32_e64 s12, v6, v17
	v_add_nc_u32_e32 v8, -1, v16
	v_cndmask_b32_e64 v6, 0, v8, s12
	v_lshrrev_b32_e32 v8, 23, v9
	s_mov_b32 s12, exec_lo
	v_add_nc_u32_e32 v6, v6, v9
	v_xor_b32_e32 v8, 1, v8
	v_and_b32_e32 v5, 0xfffff, v6
	v_add_nc_u32_e32 v6, v5, v9
                                        ; implicit-def: $vgpr5
	v_cmpx_ne_u32_e64 v7, v8
	s_xor_b32 s12, exec_lo, s12
; %bb.5561:                             ;   in Loop: Header=BB6_4858 Depth=2
	v_cmp_lt_u32_e32 vcc_lo, 0xffffff, v6
	v_sub_nc_u32_e32 v5, v7, v8
	v_cndmask_b32_e64 v7, 0, 1, vcc_lo
	v_add_co_ci_u32_e64 v5, null, 0, v5, vcc_lo
	v_lshrrev_b32_e32 v6, v7, v6
; %bb.5562:                             ;   in Loop: Header=BB6_4858 Depth=2
	s_andn2_saveexec_b32 s12, s12
; %bb.5563:                             ;   in Loop: Header=BB6_4858 Depth=2
	v_bfe_u32 v5, v6, 23, 1
; %bb.5564:                             ;   in Loop: Header=BB6_4858 Depth=2
	s_or_b32 exec_lo, exec_lo, s12
	v_lshrrev_b32_e32 v6, 20, v6
	v_min_i32_e32 v7, 15, v5
	v_cmp_gt_i32_e32 vcc_lo, 16, v5
	v_and_b32_sdwa v4, v4, v102 dst_sel:DWORD dst_unused:UNUSED_PAD src0_sel:BYTE_3 src1_sel:DWORD
	v_lshlrev_b32_e32 v7, 3, v7
	v_cndmask_b32_e32 v6, 7, v6, vcc_lo
	v_and_b32_e32 v7, 0xf8, v7
	v_and_b32_e32 v8, 7, v6
	v_or_b32_e32 v5, v5, v6
	v_or3_b32 v4, v4, v7, v8
	v_cmp_ne_u32_e32 vcc_lo, 0, v5
	v_lshlrev_b32_e32 v4, 8, v4
	v_cndmask_b32_e32 v73, 0, v4, vcc_lo
.LBB6_5565:                             ;   in Loop: Header=BB6_4858 Depth=2
	s_or_b32 exec_lo, exec_lo, s41
.LBB6_5566:                             ;   in Loop: Header=BB6_4858 Depth=2
	s_or_b32 exec_lo, exec_lo, s40
	v_and_b32_sdwa v5, v10, v113 dst_sel:DWORD dst_unused:UNUSED_PAD src0_sel:WORD_1 src1_sel:DWORD
	s_mov_b32 s12, 0
	s_mov_b32 s40, exec_lo
	v_cmpx_lt_i16_e32 0x7f, v5
	s_xor_b32 s40, exec_lo, s40
	s_cbranch_execz .LBB6_7140
; %bb.5567:                             ;   in Loop: Header=BB6_4858 Depth=2
	s_mov_b32 s12, -1
	s_mov_b32 s41, exec_lo
	v_cmpx_eq_u16_e32 0x80, v5
; %bb.5568:                             ;   in Loop: Header=BB6_4858 Depth=2
	s_xor_b32 s12, exec_lo, -1
; %bb.5569:                             ;   in Loop: Header=BB6_4858 Depth=2
	s_or_b32 exec_lo, exec_lo, s41
	s_and_b32 s12, s12, exec_lo
                                        ; implicit-def: $vgpr5
	s_or_saveexec_b32 s40, s40
	v_mov_b32_e32 v4, 0x7f800001
	s_xor_b32 exec_lo, exec_lo, s40
	s_cbranch_execnz .LBB6_7141
.LBB6_5570:                             ;   in Loop: Header=BB6_4858 Depth=2
	s_or_b32 exec_lo, exec_lo, s40
	s_and_saveexec_b32 s40, s12
	s_cbranch_execz .LBB6_5572
.LBB6_5571:                             ;   in Loop: Header=BB6_4858 Depth=2
	v_bfe_u32 v4, v10, 16, 3
	v_bfe_u32 v7, v10, 19, 4
	v_lshlrev_b32_e32 v8, 8, v10
	v_ffbh_u32_e32 v5, v4
	v_cmp_eq_u32_e32 vcc_lo, 0, v7
	v_min_u32_e32 v5, 32, v5
	v_subrev_nc_u32_e32 v6, 28, v5
	v_sub_nc_u32_e32 v5, 29, v5
	v_lshlrev_b32_sdwa v6, v6, v10 dst_sel:DWORD dst_unused:UNUSED_PAD src0_sel:DWORD src1_sel:WORD_1
	v_cndmask_b32_e32 v5, v7, v5, vcc_lo
	v_and_b32_e32 v6, 7, v6
	v_lshl_add_u32 v5, v5, 23, 0x3b800000
	v_cndmask_b32_e32 v4, v4, v6, vcc_lo
	v_and_b32_e32 v6, 0x80000000, v8
	v_lshlrev_b32_e32 v4, 20, v4
	v_or3_b32 v4, v6, v5, v4
.LBB6_5572:                             ;   in Loop: Header=BB6_4858 Depth=2
	s_or_b32 exec_lo, exec_lo, s40
	v_mul_f32_e32 v4, s29, v4
	v_mov_b32_e32 v61, 0x80
	s_mov_b32 s40, exec_lo
	v_and_b32_e32 v5, 0x7f800000, v4
	v_cmpx_ne_u32_e32 0x7f800000, v5
	s_cbranch_execz .LBB6_5580
; %bb.5573:                             ;   in Loop: Header=BB6_4858 Depth=2
	v_mov_b32_e32 v61, 0
	s_mov_b32 s41, exec_lo
	v_cmpx_ne_u32_e32 0, v4
	s_cbranch_execz .LBB6_5579
; %bb.5574:                             ;   in Loop: Header=BB6_4858 Depth=2
	v_bfe_u32 v5, v4, 23, 8
	v_and_b32_e32 v6, 0x7fffff, v4
	v_sub_nc_u32_e32 v7, 0x78, v5
	v_cmp_gt_u32_e32 vcc_lo, 0x79, v5
	v_or_b32_e32 v8, 0x800000, v6
	v_cndmask_b32_e32 v7, 0, v7, vcc_lo
	v_cmp_eq_u32_e32 vcc_lo, 0, v5
	v_add_nc_u32_e32 v5, 0xffffff89, v5
	v_cndmask_b32_e64 v7, v7, 0x77, vcc_lo
	v_cndmask_b32_e32 v6, v8, v6, vcc_lo
	v_cndmask_b32_e64 v5, v5, 0xffffff8a, vcc_lo
	v_lshl_add_u32 v8, 0x100000, v7, -1
	v_lshrrev_b32_e32 v9, v7, v6
	v_lshlrev_b32_e64 v17, v7, 0x80000
	v_add_nc_u32_e32 v7, v7, v5
	v_and_b32_e32 v6, v8, v6
	v_bfe_u32 v16, v9, 20, 1
	v_cmp_eq_u32_e64 s12, v6, v17
	v_add_nc_u32_e32 v8, -1, v16
	v_cndmask_b32_e64 v6, 0, v8, s12
	v_lshrrev_b32_e32 v8, 23, v9
	s_mov_b32 s12, exec_lo
	v_add_nc_u32_e32 v6, v6, v9
	v_xor_b32_e32 v8, 1, v8
	v_and_b32_e32 v5, 0xfffff, v6
	v_add_nc_u32_e32 v6, v5, v9
                                        ; implicit-def: $vgpr5
	v_cmpx_ne_u32_e64 v7, v8
	s_xor_b32 s12, exec_lo, s12
; %bb.5575:                             ;   in Loop: Header=BB6_4858 Depth=2
	v_cmp_lt_u32_e32 vcc_lo, 0xffffff, v6
	v_sub_nc_u32_e32 v5, v7, v8
	v_cndmask_b32_e64 v7, 0, 1, vcc_lo
	v_add_co_ci_u32_e64 v5, null, 0, v5, vcc_lo
	v_lshrrev_b32_e32 v6, v7, v6
; %bb.5576:                             ;   in Loop: Header=BB6_4858 Depth=2
	s_andn2_saveexec_b32 s12, s12
; %bb.5577:                             ;   in Loop: Header=BB6_4858 Depth=2
	v_bfe_u32 v5, v6, 23, 1
; %bb.5578:                             ;   in Loop: Header=BB6_4858 Depth=2
	s_or_b32 exec_lo, exec_lo, s12
	v_lshrrev_b32_e32 v6, 20, v6
	v_min_i32_e32 v7, 15, v5
	v_cmp_gt_i32_e32 vcc_lo, 16, v5
	v_and_b32_sdwa v4, v4, v102 dst_sel:DWORD dst_unused:UNUSED_PAD src0_sel:BYTE_3 src1_sel:DWORD
	v_lshlrev_b32_e32 v7, 3, v7
	v_cndmask_b32_e32 v6, 7, v6, vcc_lo
	v_and_b32_e32 v7, 0xf8, v7
	v_and_b32_e32 v8, 7, v6
	v_or_b32_e32 v5, v5, v6
	v_or3_b32 v4, v7, v4, v8
	v_cmp_ne_u32_e32 vcc_lo, 0, v5
	v_cndmask_b32_e32 v61, 0, v4, vcc_lo
.LBB6_5579:                             ;   in Loop: Header=BB6_4858 Depth=2
	s_or_b32 exec_lo, exec_lo, s41
.LBB6_5580:                             ;   in Loop: Header=BB6_4858 Depth=2
	s_or_b32 exec_lo, exec_lo, s40
	v_cmp_gt_i16_sdwa s40, v10, v101 src0_sel:BYTE_3 src1_sel:DWORD
	s_mov_b32 s12, 0
	s_and_saveexec_b32 s41, s40
	s_xor_b32 s40, exec_lo, s41
	s_cbranch_execz .LBB6_7142
; %bb.5581:                             ;   in Loop: Header=BB6_4858 Depth=2
	v_cmp_eq_u16_sdwa s42, v10, v102 src0_sel:BYTE_3 src1_sel:DWORD
	s_mov_b32 s12, -1
	s_and_saveexec_b32 s41, s42
; %bb.5582:                             ;   in Loop: Header=BB6_4858 Depth=2
	s_xor_b32 s12, exec_lo, -1
; %bb.5583:                             ;   in Loop: Header=BB6_4858 Depth=2
	s_or_b32 exec_lo, exec_lo, s41
	s_and_b32 s12, s12, exec_lo
	s_or_saveexec_b32 s40, s40
	v_mov_b32_e32 v4, 0x7f800001
	s_xor_b32 exec_lo, exec_lo, s40
	s_cbranch_execnz .LBB6_7143
.LBB6_5584:                             ;   in Loop: Header=BB6_4858 Depth=2
	s_or_b32 exec_lo, exec_lo, s40
	s_and_saveexec_b32 s40, s12
	s_cbranch_execz .LBB6_5586
.LBB6_5585:                             ;   in Loop: Header=BB6_4858 Depth=2
	v_bfe_u32 v4, v10, 24, 3
	v_bfe_u32 v7, v10, 27, 4
	v_ffbh_u32_e32 v5, v4
	v_cmp_eq_u32_e32 vcc_lo, 0, v7
	v_min_u32_e32 v5, 32, v5
	v_subrev_nc_u32_e32 v6, 28, v5
	v_sub_nc_u32_e32 v5, 29, v5
	v_lshlrev_b32_sdwa v6, v6, v10 dst_sel:DWORD dst_unused:UNUSED_PAD src0_sel:DWORD src1_sel:BYTE_3
	v_cndmask_b32_e32 v5, v7, v5, vcc_lo
	v_and_b32_e32 v6, 7, v6
	v_lshl_add_u32 v5, v5, 23, 0x3b800000
	v_cndmask_b32_e32 v4, v4, v6, vcc_lo
	v_and_b32_e32 v6, 0x80000000, v10
	v_lshlrev_b32_e32 v4, 20, v4
	v_or3_b32 v4, v6, v5, v4
.LBB6_5586:                             ;   in Loop: Header=BB6_4858 Depth=2
	s_or_b32 exec_lo, exec_lo, s40
	v_mul_f32_e32 v4, s29, v4
	v_mov_b32_e32 v62, 0x8000
	s_mov_b32 s40, exec_lo
	v_and_b32_e32 v5, 0x7f800000, v4
	v_cmpx_ne_u32_e32 0x7f800000, v5
	s_cbranch_execz .LBB6_5594
; %bb.5587:                             ;   in Loop: Header=BB6_4858 Depth=2
	v_mov_b32_e32 v62, 0
	s_mov_b32 s41, exec_lo
	v_cmpx_ne_u32_e32 0, v4
	s_cbranch_execz .LBB6_5593
; %bb.5588:                             ;   in Loop: Header=BB6_4858 Depth=2
	v_bfe_u32 v5, v4, 23, 8
	v_and_b32_e32 v6, 0x7fffff, v4
	v_sub_nc_u32_e32 v7, 0x78, v5
	v_cmp_gt_u32_e32 vcc_lo, 0x79, v5
	v_or_b32_e32 v8, 0x800000, v6
	v_cndmask_b32_e32 v7, 0, v7, vcc_lo
	v_cmp_eq_u32_e32 vcc_lo, 0, v5
	v_add_nc_u32_e32 v5, 0xffffff89, v5
	v_cndmask_b32_e64 v7, v7, 0x77, vcc_lo
	v_cndmask_b32_e32 v6, v8, v6, vcc_lo
	v_cndmask_b32_e64 v5, v5, 0xffffff8a, vcc_lo
	v_lshl_add_u32 v8, 0x100000, v7, -1
	v_lshrrev_b32_e32 v9, v7, v6
	v_lshlrev_b32_e64 v16, v7, 0x80000
	v_add_nc_u32_e32 v7, v7, v5
	v_and_b32_e32 v6, v8, v6
	v_bfe_u32 v10, v9, 20, 1
	v_cmp_eq_u32_e64 s12, v6, v16
	v_add_nc_u32_e32 v8, -1, v10
	v_cndmask_b32_e64 v6, 0, v8, s12
	v_lshrrev_b32_e32 v8, 23, v9
	s_mov_b32 s12, exec_lo
	v_add_nc_u32_e32 v6, v6, v9
	v_xor_b32_e32 v8, 1, v8
	v_and_b32_e32 v5, 0xfffff, v6
	v_add_nc_u32_e32 v6, v5, v9
                                        ; implicit-def: $vgpr5
	v_cmpx_ne_u32_e64 v7, v8
	s_xor_b32 s12, exec_lo, s12
; %bb.5589:                             ;   in Loop: Header=BB6_4858 Depth=2
	v_cmp_lt_u32_e32 vcc_lo, 0xffffff, v6
	v_sub_nc_u32_e32 v5, v7, v8
	v_cndmask_b32_e64 v7, 0, 1, vcc_lo
	v_add_co_ci_u32_e64 v5, null, 0, v5, vcc_lo
	v_lshrrev_b32_e32 v6, v7, v6
; %bb.5590:                             ;   in Loop: Header=BB6_4858 Depth=2
	s_andn2_saveexec_b32 s12, s12
; %bb.5591:                             ;   in Loop: Header=BB6_4858 Depth=2
	v_bfe_u32 v5, v6, 23, 1
; %bb.5592:                             ;   in Loop: Header=BB6_4858 Depth=2
	s_or_b32 exec_lo, exec_lo, s12
	v_lshrrev_b32_e32 v6, 20, v6
	v_min_i32_e32 v7, 15, v5
	v_cmp_gt_i32_e32 vcc_lo, 16, v5
	v_and_b32_sdwa v4, v4, v102 dst_sel:DWORD dst_unused:UNUSED_PAD src0_sel:BYTE_3 src1_sel:DWORD
	v_lshlrev_b32_e32 v7, 3, v7
	v_cndmask_b32_e32 v6, 7, v6, vcc_lo
	v_and_b32_e32 v7, 0xf8, v7
	v_and_b32_e32 v8, 7, v6
	v_or_b32_e32 v5, v5, v6
	v_or3_b32 v4, v4, v7, v8
	v_cmp_ne_u32_e32 vcc_lo, 0, v5
	v_lshlrev_b32_e32 v4, 8, v4
	v_cndmask_b32_e32 v62, 0, v4, vcc_lo
.LBB6_5593:                             ;   in Loop: Header=BB6_4858 Depth=2
	s_or_b32 exec_lo, exec_lo, s41
.LBB6_5594:                             ;   in Loop: Header=BB6_4858 Depth=2
	s_or_b32 exec_lo, exec_lo, s40
	v_cmp_gt_i16_sdwa s40, v11, v101 src0_sel:BYTE_0 src1_sel:DWORD
	s_mov_b32 s12, 0
	s_and_saveexec_b32 s41, s40
	s_xor_b32 s40, exec_lo, s41
	s_cbranch_execz .LBB6_7144
; %bb.5595:                             ;   in Loop: Header=BB6_4858 Depth=2
	v_cmp_eq_u16_sdwa s42, v11, v102 src0_sel:BYTE_0 src1_sel:DWORD
	s_mov_b32 s12, -1
	s_and_saveexec_b32 s41, s42
; %bb.5596:                             ;   in Loop: Header=BB6_4858 Depth=2
	s_xor_b32 s12, exec_lo, -1
; %bb.5597:                             ;   in Loop: Header=BB6_4858 Depth=2
	s_or_b32 exec_lo, exec_lo, s41
	s_and_b32 s12, s12, exec_lo
	s_or_saveexec_b32 s40, s40
	v_mov_b32_e32 v4, 0x7f800001
	s_xor_b32 exec_lo, exec_lo, s40
	s_cbranch_execnz .LBB6_7145
.LBB6_5598:                             ;   in Loop: Header=BB6_4858 Depth=2
	s_or_b32 exec_lo, exec_lo, s40
	s_and_saveexec_b32 s40, s12
	s_cbranch_execz .LBB6_5600
.LBB6_5599:                             ;   in Loop: Header=BB6_4858 Depth=2
	v_and_b32_e32 v4, 7, v11
	v_bfe_u32 v7, v11, 3, 4
	v_lshlrev_b32_e32 v8, 24, v11
	v_ffbh_u32_e32 v5, v4
	v_cmp_eq_u32_e32 vcc_lo, 0, v7
	v_min_u32_e32 v5, 32, v5
	v_subrev_nc_u32_e32 v6, 28, v5
	v_sub_nc_u32_e32 v5, 29, v5
	v_lshlrev_b32_e32 v6, v6, v11
	v_cndmask_b32_e32 v5, v7, v5, vcc_lo
	v_and_b32_e32 v6, 7, v6
	v_lshl_add_u32 v5, v5, 23, 0x3b800000
	v_cndmask_b32_e32 v4, v4, v6, vcc_lo
	v_and_b32_e32 v6, 0x80000000, v8
	v_lshlrev_b32_e32 v4, 20, v4
	v_or3_b32 v4, v6, v5, v4
.LBB6_5600:                             ;   in Loop: Header=BB6_4858 Depth=2
	s_or_b32 exec_lo, exec_lo, s40
	v_mul_f32_e32 v4, s29, v4
	v_mov_b32_e32 v58, 0x80
	s_mov_b32 s40, exec_lo
	v_and_b32_e32 v5, 0x7f800000, v4
	v_cmpx_ne_u32_e32 0x7f800000, v5
	s_cbranch_execz .LBB6_5608
; %bb.5601:                             ;   in Loop: Header=BB6_4858 Depth=2
	v_mov_b32_e32 v58, 0
	s_mov_b32 s41, exec_lo
	v_cmpx_ne_u32_e32 0, v4
	s_cbranch_execz .LBB6_5607
; %bb.5602:                             ;   in Loop: Header=BB6_4858 Depth=2
	v_bfe_u32 v5, v4, 23, 8
	v_and_b32_e32 v6, 0x7fffff, v4
	v_sub_nc_u32_e32 v7, 0x78, v5
	v_cmp_gt_u32_e32 vcc_lo, 0x79, v5
	v_or_b32_e32 v8, 0x800000, v6
	v_cndmask_b32_e32 v7, 0, v7, vcc_lo
	v_cmp_eq_u32_e32 vcc_lo, 0, v5
	v_add_nc_u32_e32 v5, 0xffffff89, v5
	v_cndmask_b32_e64 v7, v7, 0x77, vcc_lo
	v_cndmask_b32_e32 v6, v8, v6, vcc_lo
	v_cndmask_b32_e64 v5, v5, 0xffffff8a, vcc_lo
	v_lshl_add_u32 v8, 0x100000, v7, -1
	v_lshrrev_b32_e32 v9, v7, v6
	v_lshlrev_b32_e64 v16, v7, 0x80000
	v_add_nc_u32_e32 v7, v7, v5
	v_and_b32_e32 v6, v8, v6
	v_bfe_u32 v10, v9, 20, 1
	v_cmp_eq_u32_e64 s12, v6, v16
	v_add_nc_u32_e32 v8, -1, v10
	v_cndmask_b32_e64 v6, 0, v8, s12
	v_lshrrev_b32_e32 v8, 23, v9
	s_mov_b32 s12, exec_lo
	v_add_nc_u32_e32 v6, v6, v9
	v_xor_b32_e32 v8, 1, v8
	v_and_b32_e32 v5, 0xfffff, v6
	v_add_nc_u32_e32 v6, v5, v9
                                        ; implicit-def: $vgpr5
	v_cmpx_ne_u32_e64 v7, v8
	s_xor_b32 s12, exec_lo, s12
; %bb.5603:                             ;   in Loop: Header=BB6_4858 Depth=2
	v_cmp_lt_u32_e32 vcc_lo, 0xffffff, v6
	v_sub_nc_u32_e32 v5, v7, v8
	v_cndmask_b32_e64 v7, 0, 1, vcc_lo
	v_add_co_ci_u32_e64 v5, null, 0, v5, vcc_lo
	v_lshrrev_b32_e32 v6, v7, v6
; %bb.5604:                             ;   in Loop: Header=BB6_4858 Depth=2
	s_andn2_saveexec_b32 s12, s12
; %bb.5605:                             ;   in Loop: Header=BB6_4858 Depth=2
	v_bfe_u32 v5, v6, 23, 1
; %bb.5606:                             ;   in Loop: Header=BB6_4858 Depth=2
	s_or_b32 exec_lo, exec_lo, s12
	v_lshrrev_b32_e32 v6, 20, v6
	v_min_i32_e32 v7, 15, v5
	v_cmp_gt_i32_e32 vcc_lo, 16, v5
	v_and_b32_sdwa v4, v4, v102 dst_sel:DWORD dst_unused:UNUSED_PAD src0_sel:BYTE_3 src1_sel:DWORD
	v_lshlrev_b32_e32 v7, 3, v7
	v_cndmask_b32_e32 v6, 7, v6, vcc_lo
	v_and_b32_e32 v7, 0xf8, v7
	v_and_b32_e32 v8, 7, v6
	v_or_b32_e32 v5, v5, v6
	v_or3_b32 v4, v7, v4, v8
	v_cmp_ne_u32_e32 vcc_lo, 0, v5
	v_cndmask_b32_e32 v58, 0, v4, vcc_lo
.LBB6_5607:                             ;   in Loop: Header=BB6_4858 Depth=2
	s_or_b32 exec_lo, exec_lo, s41
.LBB6_5608:                             ;   in Loop: Header=BB6_4858 Depth=2
	s_or_b32 exec_lo, exec_lo, s40
	v_cmp_gt_i16_sdwa s40, v11, v101 src0_sel:BYTE_1 src1_sel:DWORD
	s_mov_b32 s12, 0
	s_and_saveexec_b32 s41, s40
	s_xor_b32 s40, exec_lo, s41
	s_cbranch_execz .LBB6_7146
; %bb.5609:                             ;   in Loop: Header=BB6_4858 Depth=2
	v_cmp_eq_u16_sdwa s42, v11, v102 src0_sel:BYTE_1 src1_sel:DWORD
	s_mov_b32 s12, -1
	s_and_saveexec_b32 s41, s42
; %bb.5610:                             ;   in Loop: Header=BB6_4858 Depth=2
	s_xor_b32 s12, exec_lo, -1
; %bb.5611:                             ;   in Loop: Header=BB6_4858 Depth=2
	s_or_b32 exec_lo, exec_lo, s41
	s_and_b32 s12, s12, exec_lo
	s_or_saveexec_b32 s40, s40
	v_mov_b32_e32 v4, 0x7f800001
	s_xor_b32 exec_lo, exec_lo, s40
	s_cbranch_execnz .LBB6_7147
.LBB6_5612:                             ;   in Loop: Header=BB6_4858 Depth=2
	s_or_b32 exec_lo, exec_lo, s40
	s_and_saveexec_b32 s40, s12
	s_cbranch_execz .LBB6_5614
.LBB6_5613:                             ;   in Loop: Header=BB6_4858 Depth=2
	v_and_b32_sdwa v4, v103, v11 dst_sel:DWORD dst_unused:UNUSED_PAD src0_sel:DWORD src1_sel:BYTE_1
	v_and_b32_e32 v5, 7, v4
	v_bfe_u32 v8, v4, 3, 4
	v_ffbh_u32_e32 v6, v5
	v_cmp_eq_u32_e32 vcc_lo, 0, v8
	v_min_u32_e32 v6, 32, v6
	v_subrev_nc_u32_e32 v7, 28, v6
	v_sub_nc_u32_e32 v6, 29, v6
	v_lshlrev_b32_e32 v4, v7, v4
	v_lshlrev_b32_sdwa v7, v112, v11 dst_sel:DWORD dst_unused:UNUSED_PAD src0_sel:DWORD src1_sel:BYTE_1
	v_cndmask_b32_e32 v6, v8, v6, vcc_lo
	v_and_b32_e32 v4, 7, v4
	v_lshl_add_u32 v6, v6, 23, 0x3b800000
	v_cndmask_b32_e32 v4, v5, v4, vcc_lo
	v_and_b32_e32 v5, 0x80000000, v7
	v_lshlrev_b32_e32 v4, 20, v4
	v_or3_b32 v4, v5, v6, v4
.LBB6_5614:                             ;   in Loop: Header=BB6_4858 Depth=2
	s_or_b32 exec_lo, exec_lo, s40
	v_mul_f32_e32 v4, s29, v4
	v_mov_b32_e32 v59, 0x8000
	s_mov_b32 s40, exec_lo
	v_and_b32_e32 v5, 0x7f800000, v4
	v_cmpx_ne_u32_e32 0x7f800000, v5
	s_cbranch_execz .LBB6_5622
; %bb.5615:                             ;   in Loop: Header=BB6_4858 Depth=2
	v_mov_b32_e32 v59, 0
	s_mov_b32 s41, exec_lo
	v_cmpx_ne_u32_e32 0, v4
	s_cbranch_execz .LBB6_5621
; %bb.5616:                             ;   in Loop: Header=BB6_4858 Depth=2
	v_bfe_u32 v5, v4, 23, 8
	v_and_b32_e32 v6, 0x7fffff, v4
	v_sub_nc_u32_e32 v7, 0x78, v5
	v_cmp_gt_u32_e32 vcc_lo, 0x79, v5
	v_or_b32_e32 v8, 0x800000, v6
	v_cndmask_b32_e32 v7, 0, v7, vcc_lo
	v_cmp_eq_u32_e32 vcc_lo, 0, v5
	v_add_nc_u32_e32 v5, 0xffffff89, v5
	v_cndmask_b32_e64 v7, v7, 0x77, vcc_lo
	v_cndmask_b32_e32 v6, v8, v6, vcc_lo
	v_cndmask_b32_e64 v5, v5, 0xffffff8a, vcc_lo
	v_lshl_add_u32 v8, 0x100000, v7, -1
	v_lshrrev_b32_e32 v9, v7, v6
	v_lshlrev_b32_e64 v16, v7, 0x80000
	v_add_nc_u32_e32 v7, v7, v5
	v_and_b32_e32 v6, v8, v6
	v_bfe_u32 v10, v9, 20, 1
	v_cmp_eq_u32_e64 s12, v6, v16
	v_add_nc_u32_e32 v8, -1, v10
	v_cndmask_b32_e64 v6, 0, v8, s12
	v_lshrrev_b32_e32 v8, 23, v9
	s_mov_b32 s12, exec_lo
	v_add_nc_u32_e32 v6, v6, v9
	v_xor_b32_e32 v8, 1, v8
	v_and_b32_e32 v5, 0xfffff, v6
	v_add_nc_u32_e32 v6, v5, v9
                                        ; implicit-def: $vgpr5
	v_cmpx_ne_u32_e64 v7, v8
	s_xor_b32 s12, exec_lo, s12
; %bb.5617:                             ;   in Loop: Header=BB6_4858 Depth=2
	v_cmp_lt_u32_e32 vcc_lo, 0xffffff, v6
	v_sub_nc_u32_e32 v5, v7, v8
	v_cndmask_b32_e64 v7, 0, 1, vcc_lo
	v_add_co_ci_u32_e64 v5, null, 0, v5, vcc_lo
	v_lshrrev_b32_e32 v6, v7, v6
; %bb.5618:                             ;   in Loop: Header=BB6_4858 Depth=2
	s_andn2_saveexec_b32 s12, s12
; %bb.5619:                             ;   in Loop: Header=BB6_4858 Depth=2
	v_bfe_u32 v5, v6, 23, 1
; %bb.5620:                             ;   in Loop: Header=BB6_4858 Depth=2
	s_or_b32 exec_lo, exec_lo, s12
	v_lshrrev_b32_e32 v6, 20, v6
	v_min_i32_e32 v7, 15, v5
	v_cmp_gt_i32_e32 vcc_lo, 16, v5
	v_and_b32_sdwa v4, v4, v102 dst_sel:DWORD dst_unused:UNUSED_PAD src0_sel:BYTE_3 src1_sel:DWORD
	v_lshlrev_b32_e32 v7, 3, v7
	v_cndmask_b32_e32 v6, 7, v6, vcc_lo
	v_and_b32_e32 v7, 0xf8, v7
	v_and_b32_e32 v8, 7, v6
	v_or_b32_e32 v5, v5, v6
	v_or3_b32 v4, v4, v7, v8
	v_cmp_ne_u32_e32 vcc_lo, 0, v5
	v_lshlrev_b32_e32 v4, 8, v4
	v_cndmask_b32_e32 v59, 0, v4, vcc_lo
.LBB6_5621:                             ;   in Loop: Header=BB6_4858 Depth=2
	s_or_b32 exec_lo, exec_lo, s41
.LBB6_5622:                             ;   in Loop: Header=BB6_4858 Depth=2
	s_or_b32 exec_lo, exec_lo, s40
	v_and_b32_sdwa v5, v11, v113 dst_sel:DWORD dst_unused:UNUSED_PAD src0_sel:WORD_1 src1_sel:DWORD
	s_mov_b32 s12, 0
	s_mov_b32 s40, exec_lo
	v_cmpx_lt_i16_e32 0x7f, v5
	s_xor_b32 s40, exec_lo, s40
	s_cbranch_execz .LBB6_7148
; %bb.5623:                             ;   in Loop: Header=BB6_4858 Depth=2
	s_mov_b32 s12, -1
	s_mov_b32 s41, exec_lo
	v_cmpx_eq_u16_e32 0x80, v5
; %bb.5624:                             ;   in Loop: Header=BB6_4858 Depth=2
	s_xor_b32 s12, exec_lo, -1
; %bb.5625:                             ;   in Loop: Header=BB6_4858 Depth=2
	s_or_b32 exec_lo, exec_lo, s41
	s_and_b32 s12, s12, exec_lo
                                        ; implicit-def: $vgpr5
	s_or_saveexec_b32 s40, s40
	v_mov_b32_e32 v4, 0x7f800001
	s_xor_b32 exec_lo, exec_lo, s40
	s_cbranch_execnz .LBB6_7149
.LBB6_5626:                             ;   in Loop: Header=BB6_4858 Depth=2
	s_or_b32 exec_lo, exec_lo, s40
	s_and_saveexec_b32 s40, s12
	s_cbranch_execz .LBB6_5628
.LBB6_5627:                             ;   in Loop: Header=BB6_4858 Depth=2
	v_bfe_u32 v4, v11, 16, 3
	v_bfe_u32 v7, v11, 19, 4
	v_lshlrev_b32_e32 v8, 8, v11
	v_ffbh_u32_e32 v5, v4
	v_cmp_eq_u32_e32 vcc_lo, 0, v7
	v_min_u32_e32 v5, 32, v5
	v_subrev_nc_u32_e32 v6, 28, v5
	v_sub_nc_u32_e32 v5, 29, v5
	v_lshlrev_b32_sdwa v6, v6, v11 dst_sel:DWORD dst_unused:UNUSED_PAD src0_sel:DWORD src1_sel:WORD_1
	v_cndmask_b32_e32 v5, v7, v5, vcc_lo
	v_and_b32_e32 v6, 7, v6
	v_lshl_add_u32 v5, v5, 23, 0x3b800000
	v_cndmask_b32_e32 v4, v4, v6, vcc_lo
	v_and_b32_e32 v6, 0x80000000, v8
	v_lshlrev_b32_e32 v4, 20, v4
	v_or3_b32 v4, v6, v5, v4
.LBB6_5628:                             ;   in Loop: Header=BB6_4858 Depth=2
	s_or_b32 exec_lo, exec_lo, s40
	v_mul_f32_e32 v4, s29, v4
	v_mov_b32_e32 v47, 0x80
	s_mov_b32 s40, exec_lo
	v_and_b32_e32 v5, 0x7f800000, v4
	v_cmpx_ne_u32_e32 0x7f800000, v5
	s_cbranch_execz .LBB6_5636
; %bb.5629:                             ;   in Loop: Header=BB6_4858 Depth=2
	v_mov_b32_e32 v47, 0
	s_mov_b32 s41, exec_lo
	v_cmpx_ne_u32_e32 0, v4
	s_cbranch_execz .LBB6_5635
; %bb.5630:                             ;   in Loop: Header=BB6_4858 Depth=2
	v_bfe_u32 v5, v4, 23, 8
	v_and_b32_e32 v6, 0x7fffff, v4
	v_sub_nc_u32_e32 v7, 0x78, v5
	v_cmp_gt_u32_e32 vcc_lo, 0x79, v5
	v_or_b32_e32 v8, 0x800000, v6
	v_cndmask_b32_e32 v7, 0, v7, vcc_lo
	v_cmp_eq_u32_e32 vcc_lo, 0, v5
	v_add_nc_u32_e32 v5, 0xffffff89, v5
	v_cndmask_b32_e64 v7, v7, 0x77, vcc_lo
	v_cndmask_b32_e32 v6, v8, v6, vcc_lo
	v_cndmask_b32_e64 v5, v5, 0xffffff8a, vcc_lo
	v_lshl_add_u32 v8, 0x100000, v7, -1
	v_lshrrev_b32_e32 v9, v7, v6
	v_lshlrev_b32_e64 v16, v7, 0x80000
	v_add_nc_u32_e32 v7, v7, v5
	v_and_b32_e32 v6, v8, v6
	v_bfe_u32 v10, v9, 20, 1
	v_cmp_eq_u32_e64 s12, v6, v16
	v_add_nc_u32_e32 v8, -1, v10
	v_cndmask_b32_e64 v6, 0, v8, s12
	v_lshrrev_b32_e32 v8, 23, v9
	s_mov_b32 s12, exec_lo
	v_add_nc_u32_e32 v6, v6, v9
	v_xor_b32_e32 v8, 1, v8
	v_and_b32_e32 v5, 0xfffff, v6
	v_add_nc_u32_e32 v6, v5, v9
                                        ; implicit-def: $vgpr5
	v_cmpx_ne_u32_e64 v7, v8
	s_xor_b32 s12, exec_lo, s12
; %bb.5631:                             ;   in Loop: Header=BB6_4858 Depth=2
	v_cmp_lt_u32_e32 vcc_lo, 0xffffff, v6
	v_sub_nc_u32_e32 v5, v7, v8
	v_cndmask_b32_e64 v7, 0, 1, vcc_lo
	v_add_co_ci_u32_e64 v5, null, 0, v5, vcc_lo
	v_lshrrev_b32_e32 v6, v7, v6
; %bb.5632:                             ;   in Loop: Header=BB6_4858 Depth=2
	s_andn2_saveexec_b32 s12, s12
; %bb.5633:                             ;   in Loop: Header=BB6_4858 Depth=2
	v_bfe_u32 v5, v6, 23, 1
; %bb.5634:                             ;   in Loop: Header=BB6_4858 Depth=2
	s_or_b32 exec_lo, exec_lo, s12
	v_lshrrev_b32_e32 v6, 20, v6
	v_min_i32_e32 v7, 15, v5
	v_cmp_gt_i32_e32 vcc_lo, 16, v5
	v_and_b32_sdwa v4, v4, v102 dst_sel:DWORD dst_unused:UNUSED_PAD src0_sel:BYTE_3 src1_sel:DWORD
	v_lshlrev_b32_e32 v7, 3, v7
	v_cndmask_b32_e32 v6, 7, v6, vcc_lo
	v_and_b32_e32 v7, 0xf8, v7
	v_and_b32_e32 v8, 7, v6
	v_or_b32_e32 v5, v5, v6
	v_or3_b32 v4, v7, v4, v8
	v_cmp_ne_u32_e32 vcc_lo, 0, v5
	v_cndmask_b32_e32 v47, 0, v4, vcc_lo
.LBB6_5635:                             ;   in Loop: Header=BB6_4858 Depth=2
	s_or_b32 exec_lo, exec_lo, s41
.LBB6_5636:                             ;   in Loop: Header=BB6_4858 Depth=2
	s_or_b32 exec_lo, exec_lo, s40
	v_cmp_gt_i16_sdwa s40, v11, v101 src0_sel:BYTE_3 src1_sel:DWORD
	s_mov_b32 s12, 0
	s_and_saveexec_b32 s41, s40
	s_xor_b32 s40, exec_lo, s41
	s_cbranch_execz .LBB6_7150
; %bb.5637:                             ;   in Loop: Header=BB6_4858 Depth=2
	v_cmp_eq_u16_sdwa s42, v11, v102 src0_sel:BYTE_3 src1_sel:DWORD
	s_mov_b32 s12, -1
	s_and_saveexec_b32 s41, s42
; %bb.5638:                             ;   in Loop: Header=BB6_4858 Depth=2
	s_xor_b32 s12, exec_lo, -1
; %bb.5639:                             ;   in Loop: Header=BB6_4858 Depth=2
	s_or_b32 exec_lo, exec_lo, s41
	s_and_b32 s12, s12, exec_lo
	s_or_saveexec_b32 s40, s40
	v_mov_b32_e32 v4, 0x7f800001
	s_xor_b32 exec_lo, exec_lo, s40
	s_cbranch_execnz .LBB6_7151
.LBB6_5640:                             ;   in Loop: Header=BB6_4858 Depth=2
	s_or_b32 exec_lo, exec_lo, s40
	s_and_saveexec_b32 s40, s12
	s_cbranch_execz .LBB6_5642
.LBB6_5641:                             ;   in Loop: Header=BB6_4858 Depth=2
	v_bfe_u32 v4, v11, 24, 3
	v_bfe_u32 v7, v11, 27, 4
	v_ffbh_u32_e32 v5, v4
	v_cmp_eq_u32_e32 vcc_lo, 0, v7
	v_min_u32_e32 v5, 32, v5
	v_subrev_nc_u32_e32 v6, 28, v5
	v_sub_nc_u32_e32 v5, 29, v5
	v_lshlrev_b32_sdwa v6, v6, v11 dst_sel:DWORD dst_unused:UNUSED_PAD src0_sel:DWORD src1_sel:BYTE_3
	v_cndmask_b32_e32 v5, v7, v5, vcc_lo
	v_and_b32_e32 v6, 7, v6
	v_lshl_add_u32 v5, v5, 23, 0x3b800000
	v_cndmask_b32_e32 v4, v4, v6, vcc_lo
	v_and_b32_e32 v6, 0x80000000, v11
	v_lshlrev_b32_e32 v4, 20, v4
	v_or3_b32 v4, v6, v5, v4
.LBB6_5642:                             ;   in Loop: Header=BB6_4858 Depth=2
	s_or_b32 exec_lo, exec_lo, s40
	v_mul_f32_e32 v4, s29, v4
	v_mov_b32_e32 v56, 0x8000
	s_mov_b32 s40, exec_lo
	v_and_b32_e32 v5, 0x7f800000, v4
	v_cmpx_ne_u32_e32 0x7f800000, v5
	s_cbranch_execz .LBB6_5650
; %bb.5643:                             ;   in Loop: Header=BB6_4858 Depth=2
	v_mov_b32_e32 v56, 0
	s_mov_b32 s41, exec_lo
	v_cmpx_ne_u32_e32 0, v4
	s_cbranch_execz .LBB6_5649
; %bb.5644:                             ;   in Loop: Header=BB6_4858 Depth=2
	v_bfe_u32 v5, v4, 23, 8
	v_and_b32_e32 v6, 0x7fffff, v4
	v_sub_nc_u32_e32 v7, 0x78, v5
	v_cmp_gt_u32_e32 vcc_lo, 0x79, v5
	v_or_b32_e32 v8, 0x800000, v6
	v_cndmask_b32_e32 v7, 0, v7, vcc_lo
	v_cmp_eq_u32_e32 vcc_lo, 0, v5
	v_add_nc_u32_e32 v5, 0xffffff89, v5
	v_cndmask_b32_e64 v7, v7, 0x77, vcc_lo
	v_cndmask_b32_e32 v6, v8, v6, vcc_lo
	v_cndmask_b32_e64 v5, v5, 0xffffff8a, vcc_lo
	v_lshl_add_u32 v8, 0x100000, v7, -1
	v_lshrrev_b32_e32 v9, v7, v6
	v_lshlrev_b32_e64 v11, v7, 0x80000
	v_add_nc_u32_e32 v7, v7, v5
	v_and_b32_e32 v6, v8, v6
	v_bfe_u32 v10, v9, 20, 1
	v_cmp_eq_u32_e64 s12, v6, v11
	v_add_nc_u32_e32 v8, -1, v10
	v_cndmask_b32_e64 v6, 0, v8, s12
	v_lshrrev_b32_e32 v8, 23, v9
	s_mov_b32 s12, exec_lo
	v_add_nc_u32_e32 v6, v6, v9
	v_xor_b32_e32 v8, 1, v8
	v_and_b32_e32 v5, 0xfffff, v6
	v_add_nc_u32_e32 v6, v5, v9
                                        ; implicit-def: $vgpr5
	v_cmpx_ne_u32_e64 v7, v8
	s_xor_b32 s12, exec_lo, s12
; %bb.5645:                             ;   in Loop: Header=BB6_4858 Depth=2
	v_cmp_lt_u32_e32 vcc_lo, 0xffffff, v6
	v_sub_nc_u32_e32 v5, v7, v8
	v_cndmask_b32_e64 v7, 0, 1, vcc_lo
	v_add_co_ci_u32_e64 v5, null, 0, v5, vcc_lo
	v_lshrrev_b32_e32 v6, v7, v6
; %bb.5646:                             ;   in Loop: Header=BB6_4858 Depth=2
	s_andn2_saveexec_b32 s12, s12
; %bb.5647:                             ;   in Loop: Header=BB6_4858 Depth=2
	v_bfe_u32 v5, v6, 23, 1
; %bb.5648:                             ;   in Loop: Header=BB6_4858 Depth=2
	s_or_b32 exec_lo, exec_lo, s12
	v_lshrrev_b32_e32 v6, 20, v6
	v_min_i32_e32 v7, 15, v5
	v_cmp_gt_i32_e32 vcc_lo, 16, v5
	v_and_b32_sdwa v4, v4, v102 dst_sel:DWORD dst_unused:UNUSED_PAD src0_sel:BYTE_3 src1_sel:DWORD
	v_lshlrev_b32_e32 v7, 3, v7
	v_cndmask_b32_e32 v6, 7, v6, vcc_lo
	v_and_b32_e32 v7, 0xf8, v7
	v_and_b32_e32 v8, 7, v6
	v_or_b32_e32 v5, v5, v6
	v_or3_b32 v4, v4, v7, v8
	v_cmp_ne_u32_e32 vcc_lo, 0, v5
	v_lshlrev_b32_e32 v4, 8, v4
	v_cndmask_b32_e32 v56, 0, v4, vcc_lo
.LBB6_5649:                             ;   in Loop: Header=BB6_4858 Depth=2
	s_or_b32 exec_lo, exec_lo, s41
.LBB6_5650:                             ;   in Loop: Header=BB6_4858 Depth=2
	s_or_b32 exec_lo, exec_lo, s40
	v_cmp_gt_i16_sdwa s40, v12, v101 src0_sel:BYTE_0 src1_sel:DWORD
	s_mov_b32 s12, 0
	s_and_saveexec_b32 s41, s40
	s_xor_b32 s40, exec_lo, s41
	s_cbranch_execz .LBB6_7152
; %bb.5651:                             ;   in Loop: Header=BB6_4858 Depth=2
	v_cmp_eq_u16_sdwa s42, v12, v102 src0_sel:BYTE_0 src1_sel:DWORD
	s_mov_b32 s12, -1
	s_and_saveexec_b32 s41, s42
; %bb.5652:                             ;   in Loop: Header=BB6_4858 Depth=2
	s_xor_b32 s12, exec_lo, -1
; %bb.5653:                             ;   in Loop: Header=BB6_4858 Depth=2
	s_or_b32 exec_lo, exec_lo, s41
	s_and_b32 s12, s12, exec_lo
	s_or_saveexec_b32 s40, s40
	v_mov_b32_e32 v4, 0x7f800001
	s_xor_b32 exec_lo, exec_lo, s40
	s_cbranch_execnz .LBB6_7153
.LBB6_5654:                             ;   in Loop: Header=BB6_4858 Depth=2
	s_or_b32 exec_lo, exec_lo, s40
	s_and_saveexec_b32 s40, s12
	s_cbranch_execz .LBB6_5656
.LBB6_5655:                             ;   in Loop: Header=BB6_4858 Depth=2
	v_and_b32_e32 v4, 7, v12
	v_bfe_u32 v7, v12, 3, 4
	v_lshlrev_b32_e32 v8, 24, v12
	v_ffbh_u32_e32 v5, v4
	v_cmp_eq_u32_e32 vcc_lo, 0, v7
	v_min_u32_e32 v5, 32, v5
	v_subrev_nc_u32_e32 v6, 28, v5
	v_sub_nc_u32_e32 v5, 29, v5
	v_lshlrev_b32_e32 v6, v6, v12
	v_cndmask_b32_e32 v5, v7, v5, vcc_lo
	v_and_b32_e32 v6, 7, v6
	v_lshl_add_u32 v5, v5, 23, 0x3b800000
	v_cndmask_b32_e32 v4, v4, v6, vcc_lo
	v_and_b32_e32 v6, 0x80000000, v8
	v_lshlrev_b32_e32 v4, 20, v4
	v_or3_b32 v4, v6, v5, v4
.LBB6_5656:                             ;   in Loop: Header=BB6_4858 Depth=2
	s_or_b32 exec_lo, exec_lo, s40
	v_mul_f32_e32 v4, s29, v4
	v_mov_b32_e32 v45, 0x80
	s_mov_b32 s40, exec_lo
	v_and_b32_e32 v5, 0x7f800000, v4
	v_cmpx_ne_u32_e32 0x7f800000, v5
	s_cbranch_execz .LBB6_5664
; %bb.5657:                             ;   in Loop: Header=BB6_4858 Depth=2
	v_mov_b32_e32 v45, 0
	s_mov_b32 s41, exec_lo
	v_cmpx_ne_u32_e32 0, v4
	s_cbranch_execz .LBB6_5663
; %bb.5658:                             ;   in Loop: Header=BB6_4858 Depth=2
	v_bfe_u32 v5, v4, 23, 8
	v_and_b32_e32 v6, 0x7fffff, v4
	v_sub_nc_u32_e32 v7, 0x78, v5
	v_cmp_gt_u32_e32 vcc_lo, 0x79, v5
	v_or_b32_e32 v8, 0x800000, v6
	v_cndmask_b32_e32 v7, 0, v7, vcc_lo
	v_cmp_eq_u32_e32 vcc_lo, 0, v5
	v_add_nc_u32_e32 v5, 0xffffff89, v5
	v_cndmask_b32_e64 v7, v7, 0x77, vcc_lo
	v_cndmask_b32_e32 v6, v8, v6, vcc_lo
	v_cndmask_b32_e64 v5, v5, 0xffffff8a, vcc_lo
	v_lshl_add_u32 v8, 0x100000, v7, -1
	v_lshrrev_b32_e32 v9, v7, v6
	v_lshlrev_b32_e64 v11, v7, 0x80000
	v_add_nc_u32_e32 v7, v7, v5
	v_and_b32_e32 v6, v8, v6
	v_bfe_u32 v10, v9, 20, 1
	v_cmp_eq_u32_e64 s12, v6, v11
	v_add_nc_u32_e32 v8, -1, v10
	v_cndmask_b32_e64 v6, 0, v8, s12
	v_lshrrev_b32_e32 v8, 23, v9
	s_mov_b32 s12, exec_lo
	v_add_nc_u32_e32 v6, v6, v9
	v_xor_b32_e32 v8, 1, v8
	v_and_b32_e32 v5, 0xfffff, v6
	v_add_nc_u32_e32 v6, v5, v9
                                        ; implicit-def: $vgpr5
	v_cmpx_ne_u32_e64 v7, v8
	s_xor_b32 s12, exec_lo, s12
; %bb.5659:                             ;   in Loop: Header=BB6_4858 Depth=2
	v_cmp_lt_u32_e32 vcc_lo, 0xffffff, v6
	v_sub_nc_u32_e32 v5, v7, v8
	v_cndmask_b32_e64 v7, 0, 1, vcc_lo
	v_add_co_ci_u32_e64 v5, null, 0, v5, vcc_lo
	v_lshrrev_b32_e32 v6, v7, v6
; %bb.5660:                             ;   in Loop: Header=BB6_4858 Depth=2
	s_andn2_saveexec_b32 s12, s12
; %bb.5661:                             ;   in Loop: Header=BB6_4858 Depth=2
	v_bfe_u32 v5, v6, 23, 1
; %bb.5662:                             ;   in Loop: Header=BB6_4858 Depth=2
	s_or_b32 exec_lo, exec_lo, s12
	v_lshrrev_b32_e32 v6, 20, v6
	v_min_i32_e32 v7, 15, v5
	v_cmp_gt_i32_e32 vcc_lo, 16, v5
	v_and_b32_sdwa v4, v4, v102 dst_sel:DWORD dst_unused:UNUSED_PAD src0_sel:BYTE_3 src1_sel:DWORD
	v_lshlrev_b32_e32 v7, 3, v7
	v_cndmask_b32_e32 v6, 7, v6, vcc_lo
	v_and_b32_e32 v7, 0xf8, v7
	v_and_b32_e32 v8, 7, v6
	v_or_b32_e32 v5, v5, v6
	v_or3_b32 v4, v7, v4, v8
	v_cmp_ne_u32_e32 vcc_lo, 0, v5
	v_cndmask_b32_e32 v45, 0, v4, vcc_lo
.LBB6_5663:                             ;   in Loop: Header=BB6_4858 Depth=2
	s_or_b32 exec_lo, exec_lo, s41
.LBB6_5664:                             ;   in Loop: Header=BB6_4858 Depth=2
	s_or_b32 exec_lo, exec_lo, s40
	v_cmp_gt_i16_sdwa s40, v12, v101 src0_sel:BYTE_1 src1_sel:DWORD
	s_mov_b32 s12, 0
	s_and_saveexec_b32 s41, s40
	s_xor_b32 s40, exec_lo, s41
	s_cbranch_execz .LBB6_7154
; %bb.5665:                             ;   in Loop: Header=BB6_4858 Depth=2
	v_cmp_eq_u16_sdwa s42, v12, v102 src0_sel:BYTE_1 src1_sel:DWORD
	s_mov_b32 s12, -1
	s_and_saveexec_b32 s41, s42
; %bb.5666:                             ;   in Loop: Header=BB6_4858 Depth=2
	s_xor_b32 s12, exec_lo, -1
; %bb.5667:                             ;   in Loop: Header=BB6_4858 Depth=2
	s_or_b32 exec_lo, exec_lo, s41
	s_and_b32 s12, s12, exec_lo
	s_or_saveexec_b32 s40, s40
	v_mov_b32_e32 v4, 0x7f800001
	s_xor_b32 exec_lo, exec_lo, s40
	s_cbranch_execnz .LBB6_7155
.LBB6_5668:                             ;   in Loop: Header=BB6_4858 Depth=2
	s_or_b32 exec_lo, exec_lo, s40
	s_and_saveexec_b32 s40, s12
	s_cbranch_execz .LBB6_5670
.LBB6_5669:                             ;   in Loop: Header=BB6_4858 Depth=2
	v_and_b32_sdwa v4, v103, v12 dst_sel:DWORD dst_unused:UNUSED_PAD src0_sel:DWORD src1_sel:BYTE_1
	v_and_b32_e32 v5, 7, v4
	v_bfe_u32 v8, v4, 3, 4
	v_ffbh_u32_e32 v6, v5
	v_cmp_eq_u32_e32 vcc_lo, 0, v8
	v_min_u32_e32 v6, 32, v6
	v_subrev_nc_u32_e32 v7, 28, v6
	v_sub_nc_u32_e32 v6, 29, v6
	v_lshlrev_b32_e32 v4, v7, v4
	v_lshlrev_b32_sdwa v7, v112, v12 dst_sel:DWORD dst_unused:UNUSED_PAD src0_sel:DWORD src1_sel:BYTE_1
	v_cndmask_b32_e32 v6, v8, v6, vcc_lo
	v_and_b32_e32 v4, 7, v4
	v_lshl_add_u32 v6, v6, 23, 0x3b800000
	v_cndmask_b32_e32 v4, v5, v4, vcc_lo
	v_and_b32_e32 v5, 0x80000000, v7
	v_lshlrev_b32_e32 v4, 20, v4
	v_or3_b32 v4, v5, v6, v4
.LBB6_5670:                             ;   in Loop: Header=BB6_4858 Depth=2
	s_or_b32 exec_lo, exec_lo, s40
	v_mul_f32_e32 v4, s29, v4
	v_mov_b32_e32 v46, 0x8000
	s_mov_b32 s40, exec_lo
	v_and_b32_e32 v5, 0x7f800000, v4
	v_cmpx_ne_u32_e32 0x7f800000, v5
	s_cbranch_execz .LBB6_5678
; %bb.5671:                             ;   in Loop: Header=BB6_4858 Depth=2
	v_mov_b32_e32 v46, 0
	s_mov_b32 s41, exec_lo
	v_cmpx_ne_u32_e32 0, v4
	s_cbranch_execz .LBB6_5677
; %bb.5672:                             ;   in Loop: Header=BB6_4858 Depth=2
	v_bfe_u32 v5, v4, 23, 8
	v_and_b32_e32 v6, 0x7fffff, v4
	v_sub_nc_u32_e32 v7, 0x78, v5
	v_cmp_gt_u32_e32 vcc_lo, 0x79, v5
	v_or_b32_e32 v8, 0x800000, v6
	v_cndmask_b32_e32 v7, 0, v7, vcc_lo
	v_cmp_eq_u32_e32 vcc_lo, 0, v5
	v_add_nc_u32_e32 v5, 0xffffff89, v5
	v_cndmask_b32_e64 v7, v7, 0x77, vcc_lo
	v_cndmask_b32_e32 v6, v8, v6, vcc_lo
	v_cndmask_b32_e64 v5, v5, 0xffffff8a, vcc_lo
	v_lshl_add_u32 v8, 0x100000, v7, -1
	v_lshrrev_b32_e32 v9, v7, v6
	v_lshlrev_b32_e64 v11, v7, 0x80000
	v_add_nc_u32_e32 v7, v7, v5
	v_and_b32_e32 v6, v8, v6
	v_bfe_u32 v10, v9, 20, 1
	v_cmp_eq_u32_e64 s12, v6, v11
	v_add_nc_u32_e32 v8, -1, v10
	v_cndmask_b32_e64 v6, 0, v8, s12
	v_lshrrev_b32_e32 v8, 23, v9
	s_mov_b32 s12, exec_lo
	v_add_nc_u32_e32 v6, v6, v9
	v_xor_b32_e32 v8, 1, v8
	v_and_b32_e32 v5, 0xfffff, v6
	v_add_nc_u32_e32 v6, v5, v9
                                        ; implicit-def: $vgpr5
	v_cmpx_ne_u32_e64 v7, v8
	s_xor_b32 s12, exec_lo, s12
; %bb.5673:                             ;   in Loop: Header=BB6_4858 Depth=2
	v_cmp_lt_u32_e32 vcc_lo, 0xffffff, v6
	v_sub_nc_u32_e32 v5, v7, v8
	v_cndmask_b32_e64 v7, 0, 1, vcc_lo
	v_add_co_ci_u32_e64 v5, null, 0, v5, vcc_lo
	v_lshrrev_b32_e32 v6, v7, v6
; %bb.5674:                             ;   in Loop: Header=BB6_4858 Depth=2
	s_andn2_saveexec_b32 s12, s12
; %bb.5675:                             ;   in Loop: Header=BB6_4858 Depth=2
	v_bfe_u32 v5, v6, 23, 1
; %bb.5676:                             ;   in Loop: Header=BB6_4858 Depth=2
	s_or_b32 exec_lo, exec_lo, s12
	v_lshrrev_b32_e32 v6, 20, v6
	v_min_i32_e32 v7, 15, v5
	v_cmp_gt_i32_e32 vcc_lo, 16, v5
	v_and_b32_sdwa v4, v4, v102 dst_sel:DWORD dst_unused:UNUSED_PAD src0_sel:BYTE_3 src1_sel:DWORD
	v_lshlrev_b32_e32 v7, 3, v7
	v_cndmask_b32_e32 v6, 7, v6, vcc_lo
	v_and_b32_e32 v7, 0xf8, v7
	v_and_b32_e32 v8, 7, v6
	v_or_b32_e32 v5, v5, v6
	v_or3_b32 v4, v4, v7, v8
	v_cmp_ne_u32_e32 vcc_lo, 0, v5
	v_lshlrev_b32_e32 v4, 8, v4
	v_cndmask_b32_e32 v46, 0, v4, vcc_lo
.LBB6_5677:                             ;   in Loop: Header=BB6_4858 Depth=2
	s_or_b32 exec_lo, exec_lo, s41
.LBB6_5678:                             ;   in Loop: Header=BB6_4858 Depth=2
	s_or_b32 exec_lo, exec_lo, s40
	v_and_b32_sdwa v5, v12, v113 dst_sel:DWORD dst_unused:UNUSED_PAD src0_sel:WORD_1 src1_sel:DWORD
	s_mov_b32 s12, 0
	s_mov_b32 s40, exec_lo
	v_cmpx_lt_i16_e32 0x7f, v5
	s_xor_b32 s40, exec_lo, s40
	s_cbranch_execz .LBB6_7156
; %bb.5679:                             ;   in Loop: Header=BB6_4858 Depth=2
	s_mov_b32 s12, -1
	s_mov_b32 s41, exec_lo
	v_cmpx_eq_u16_e32 0x80, v5
; %bb.5680:                             ;   in Loop: Header=BB6_4858 Depth=2
	s_xor_b32 s12, exec_lo, -1
; %bb.5681:                             ;   in Loop: Header=BB6_4858 Depth=2
	s_or_b32 exec_lo, exec_lo, s41
	s_and_b32 s12, s12, exec_lo
                                        ; implicit-def: $vgpr5
	s_or_saveexec_b32 s40, s40
	v_mov_b32_e32 v4, 0x7f800001
	s_xor_b32 exec_lo, exec_lo, s40
	s_cbranch_execnz .LBB6_7157
.LBB6_5682:                             ;   in Loop: Header=BB6_4858 Depth=2
	s_or_b32 exec_lo, exec_lo, s40
	s_and_saveexec_b32 s40, s12
	s_cbranch_execz .LBB6_5684
.LBB6_5683:                             ;   in Loop: Header=BB6_4858 Depth=2
	v_bfe_u32 v4, v12, 16, 3
	v_bfe_u32 v7, v12, 19, 4
	v_lshlrev_b32_e32 v8, 8, v12
	v_ffbh_u32_e32 v5, v4
	v_cmp_eq_u32_e32 vcc_lo, 0, v7
	v_min_u32_e32 v5, 32, v5
	v_subrev_nc_u32_e32 v6, 28, v5
	v_sub_nc_u32_e32 v5, 29, v5
	v_lshlrev_b32_sdwa v6, v6, v12 dst_sel:DWORD dst_unused:UNUSED_PAD src0_sel:DWORD src1_sel:WORD_1
	v_cndmask_b32_e32 v5, v7, v5, vcc_lo
	v_and_b32_e32 v6, 7, v6
	v_lshl_add_u32 v5, v5, 23, 0x3b800000
	v_cndmask_b32_e32 v4, v4, v6, vcc_lo
	v_and_b32_e32 v6, 0x80000000, v8
	v_lshlrev_b32_e32 v4, 20, v4
	v_or3_b32 v4, v6, v5, v4
.LBB6_5684:                             ;   in Loop: Header=BB6_4858 Depth=2
	s_or_b32 exec_lo, exec_lo, s40
	v_mul_f32_e32 v4, s29, v4
	v_mov_b32_e32 v42, 0x80
	s_mov_b32 s40, exec_lo
	v_and_b32_e32 v5, 0x7f800000, v4
	v_cmpx_ne_u32_e32 0x7f800000, v5
	s_cbranch_execz .LBB6_5692
; %bb.5685:                             ;   in Loop: Header=BB6_4858 Depth=2
	v_mov_b32_e32 v42, 0
	s_mov_b32 s41, exec_lo
	v_cmpx_ne_u32_e32 0, v4
	s_cbranch_execz .LBB6_5691
; %bb.5686:                             ;   in Loop: Header=BB6_4858 Depth=2
	v_bfe_u32 v6, v4, 23, 8
	v_and_b32_e32 v5, 0x7fffff, v4
	v_cmp_gt_u32_e64 s12, 0x79, v6
	v_sub_nc_u32_e32 v7, 0x78, v6
	v_cmp_eq_u32_e32 vcc_lo, 0, v6
	v_or_b32_e32 v8, 0x800000, v5
	v_cndmask_b32_e64 v7, 0, v7, s12
	v_cndmask_b32_e32 v5, v8, v5, vcc_lo
	v_cndmask_b32_e64 v7, v7, 0x77, vcc_lo
	v_lshl_add_u32 v8, 0x100000, v7, -1
	v_lshlrev_b32_e64 v9, v7, 0x80000
	v_and_b32_e32 v8, v8, v5
	v_cmp_eq_u32_e64 s12, v8, v9
	v_lshrrev_b32_e32 v8, v7, v5
	v_add_nc_u32_e32 v5, 0xffffff89, v6
	v_lshrrev_b32_e32 v6, 23, v8
	v_cndmask_b32_e64 v5, v5, 0xffffff8a, vcc_lo
	v_xor_b32_e32 v6, 1, v6
	v_add_nc_u32_e32 v5, v7, v5
	v_bfe_u32 v7, v8, 20, 1
	v_add_nc_u32_e32 v7, -1, v7
	v_cndmask_b32_e64 v7, 0, v7, s12
	s_mov_b32 s12, exec_lo
	v_add_nc_u32_e32 v7, v7, v8
	v_and_b32_e32 v7, 0xfffff, v7
	v_add_nc_u32_e32 v8, v7, v8
                                        ; implicit-def: $vgpr7
	v_cmpx_ne_u32_e64 v5, v6
	s_xor_b32 s12, exec_lo, s12
; %bb.5687:                             ;   in Loop: Header=BB6_4858 Depth=2
	v_cmp_lt_u32_e32 vcc_lo, 0xffffff, v8
	v_sub_nc_u32_e32 v5, v5, v6
	v_cndmask_b32_e64 v6, 0, 1, vcc_lo
	v_add_co_ci_u32_e64 v7, null, 0, v5, vcc_lo
	v_lshrrev_b32_e32 v8, v6, v8
; %bb.5688:                             ;   in Loop: Header=BB6_4858 Depth=2
	s_andn2_saveexec_b32 s12, s12
; %bb.5689:                             ;   in Loop: Header=BB6_4858 Depth=2
	v_bfe_u32 v7, v8, 23, 1
; %bb.5690:                             ;   in Loop: Header=BB6_4858 Depth=2
	s_or_b32 exec_lo, exec_lo, s12
	v_lshrrev_b32_e32 v5, 20, v8
	v_min_i32_e32 v6, 15, v7
	v_cmp_gt_i32_e32 vcc_lo, 16, v7
	v_and_b32_sdwa v4, v4, v102 dst_sel:DWORD dst_unused:UNUSED_PAD src0_sel:BYTE_3 src1_sel:DWORD
	v_lshlrev_b32_e32 v6, 3, v6
	v_cndmask_b32_e32 v5, 7, v5, vcc_lo
	v_and_b32_e32 v6, 0xf8, v6
	v_and_b32_e32 v8, 7, v5
	v_or_b32_e32 v5, v7, v5
	v_or3_b32 v4, v6, v4, v8
	v_cmp_ne_u32_e32 vcc_lo, 0, v5
	v_cndmask_b32_e32 v42, 0, v4, vcc_lo
.LBB6_5691:                             ;   in Loop: Header=BB6_4858 Depth=2
	s_or_b32 exec_lo, exec_lo, s41
.LBB6_5692:                             ;   in Loop: Header=BB6_4858 Depth=2
	s_or_b32 exec_lo, exec_lo, s40
	v_cmp_gt_i16_sdwa s40, v12, v101 src0_sel:BYTE_3 src1_sel:DWORD
	s_mov_b32 s12, 0
	s_and_saveexec_b32 s41, s40
	s_xor_b32 s40, exec_lo, s41
	s_cbranch_execz .LBB6_7158
; %bb.5693:                             ;   in Loop: Header=BB6_4858 Depth=2
	v_cmp_eq_u16_sdwa s42, v12, v102 src0_sel:BYTE_3 src1_sel:DWORD
	s_mov_b32 s12, -1
	s_and_saveexec_b32 s41, s42
; %bb.5694:                             ;   in Loop: Header=BB6_4858 Depth=2
	s_xor_b32 s12, exec_lo, -1
; %bb.5695:                             ;   in Loop: Header=BB6_4858 Depth=2
	s_or_b32 exec_lo, exec_lo, s41
	s_and_b32 s12, s12, exec_lo
	s_or_saveexec_b32 s40, s40
	v_mov_b32_e32 v4, 0x7f800001
	s_xor_b32 exec_lo, exec_lo, s40
	s_cbranch_execnz .LBB6_7159
.LBB6_5696:                             ;   in Loop: Header=BB6_4858 Depth=2
	s_or_b32 exec_lo, exec_lo, s40
	s_and_saveexec_b32 s40, s12
	s_cbranch_execz .LBB6_5698
.LBB6_5697:                             ;   in Loop: Header=BB6_4858 Depth=2
	v_bfe_u32 v4, v12, 24, 3
	v_bfe_u32 v7, v12, 27, 4
	v_ffbh_u32_e32 v5, v4
	v_cmp_eq_u32_e32 vcc_lo, 0, v7
	v_min_u32_e32 v5, 32, v5
	v_subrev_nc_u32_e32 v6, 28, v5
	v_sub_nc_u32_e32 v5, 29, v5
	v_lshlrev_b32_sdwa v6, v6, v12 dst_sel:DWORD dst_unused:UNUSED_PAD src0_sel:DWORD src1_sel:BYTE_3
	v_cndmask_b32_e32 v5, v7, v5, vcc_lo
	v_and_b32_e32 v6, 7, v6
	v_lshl_add_u32 v5, v5, 23, 0x3b800000
	v_cndmask_b32_e32 v4, v4, v6, vcc_lo
	v_and_b32_e32 v6, 0x80000000, v12
	v_lshlrev_b32_e32 v4, 20, v4
	v_or3_b32 v4, v6, v5, v4
.LBB6_5698:                             ;   in Loop: Header=BB6_4858 Depth=2
	s_or_b32 exec_lo, exec_lo, s40
	v_mul_f32_e32 v4, s29, v4
	v_mov_b32_e32 v44, 0x8000
	s_mov_b32 s40, exec_lo
	v_and_b32_e32 v5, 0x7f800000, v4
	v_cmpx_ne_u32_e32 0x7f800000, v5
	s_cbranch_execz .LBB6_5706
; %bb.5699:                             ;   in Loop: Header=BB6_4858 Depth=2
	v_mov_b32_e32 v44, 0
	s_mov_b32 s41, exec_lo
	v_cmpx_ne_u32_e32 0, v4
	s_cbranch_execz .LBB6_5705
; %bb.5700:                             ;   in Loop: Header=BB6_4858 Depth=2
	v_bfe_u32 v6, v4, 23, 8
	v_and_b32_e32 v5, 0x7fffff, v4
	v_cmp_gt_u32_e64 s12, 0x79, v6
	v_sub_nc_u32_e32 v7, 0x78, v6
	v_cmp_eq_u32_e32 vcc_lo, 0, v6
	v_or_b32_e32 v8, 0x800000, v5
	v_cndmask_b32_e64 v7, 0, v7, s12
	v_cndmask_b32_e32 v5, v8, v5, vcc_lo
	v_cndmask_b32_e64 v7, v7, 0x77, vcc_lo
	v_lshl_add_u32 v8, 0x100000, v7, -1
	v_lshlrev_b32_e64 v9, v7, 0x80000
	v_and_b32_e32 v8, v8, v5
	v_cmp_eq_u32_e64 s12, v8, v9
	v_lshrrev_b32_e32 v8, v7, v5
	v_add_nc_u32_e32 v5, 0xffffff89, v6
	v_lshrrev_b32_e32 v6, 23, v8
	v_cndmask_b32_e64 v5, v5, 0xffffff8a, vcc_lo
	v_xor_b32_e32 v6, 1, v6
	v_add_nc_u32_e32 v5, v7, v5
	v_bfe_u32 v7, v8, 20, 1
	v_add_nc_u32_e32 v7, -1, v7
	v_cndmask_b32_e64 v7, 0, v7, s12
	s_mov_b32 s12, exec_lo
	v_add_nc_u32_e32 v7, v7, v8
	v_and_b32_e32 v7, 0xfffff, v7
	v_add_nc_u32_e32 v8, v7, v8
                                        ; implicit-def: $vgpr7
	v_cmpx_ne_u32_e64 v5, v6
	s_xor_b32 s12, exec_lo, s12
; %bb.5701:                             ;   in Loop: Header=BB6_4858 Depth=2
	v_cmp_lt_u32_e32 vcc_lo, 0xffffff, v8
	v_sub_nc_u32_e32 v5, v5, v6
	v_cndmask_b32_e64 v6, 0, 1, vcc_lo
	v_add_co_ci_u32_e64 v7, null, 0, v5, vcc_lo
	v_lshrrev_b32_e32 v8, v6, v8
; %bb.5702:                             ;   in Loop: Header=BB6_4858 Depth=2
	s_andn2_saveexec_b32 s12, s12
; %bb.5703:                             ;   in Loop: Header=BB6_4858 Depth=2
	v_bfe_u32 v7, v8, 23, 1
; %bb.5704:                             ;   in Loop: Header=BB6_4858 Depth=2
	s_or_b32 exec_lo, exec_lo, s12
	v_lshrrev_b32_e32 v5, 20, v8
	v_min_i32_e32 v6, 15, v7
	v_cmp_gt_i32_e32 vcc_lo, 16, v7
	v_and_b32_sdwa v4, v4, v102 dst_sel:DWORD dst_unused:UNUSED_PAD src0_sel:BYTE_3 src1_sel:DWORD
	v_lshlrev_b32_e32 v6, 3, v6
	v_cndmask_b32_e32 v5, 7, v5, vcc_lo
	v_and_b32_e32 v6, 0xf8, v6
	v_and_b32_e32 v8, 7, v5
	v_or_b32_e32 v5, v7, v5
	v_or3_b32 v4, v4, v6, v8
	v_cmp_ne_u32_e32 vcc_lo, 0, v5
	v_lshlrev_b32_e32 v4, 8, v4
	v_cndmask_b32_e32 v44, 0, v4, vcc_lo
.LBB6_5705:                             ;   in Loop: Header=BB6_4858 Depth=2
	s_or_b32 exec_lo, exec_lo, s41
.LBB6_5706:                             ;   in Loop: Header=BB6_4858 Depth=2
	s_or_b32 exec_lo, exec_lo, s40
	v_cmp_gt_i16_sdwa s40, v13, v101 src0_sel:BYTE_0 src1_sel:DWORD
	s_mov_b32 s12, 0
	s_and_saveexec_b32 s41, s40
	s_xor_b32 s40, exec_lo, s41
	s_cbranch_execz .LBB6_7160
; %bb.5707:                             ;   in Loop: Header=BB6_4858 Depth=2
	v_cmp_eq_u16_sdwa s42, v13, v102 src0_sel:BYTE_0 src1_sel:DWORD
	s_mov_b32 s12, -1
	s_and_saveexec_b32 s41, s42
; %bb.5708:                             ;   in Loop: Header=BB6_4858 Depth=2
	s_xor_b32 s12, exec_lo, -1
; %bb.5709:                             ;   in Loop: Header=BB6_4858 Depth=2
	s_or_b32 exec_lo, exec_lo, s41
	s_and_b32 s12, s12, exec_lo
	s_or_saveexec_b32 s40, s40
	v_mov_b32_e32 v4, 0x7f800001
	s_xor_b32 exec_lo, exec_lo, s40
	s_cbranch_execnz .LBB6_7161
.LBB6_5710:                             ;   in Loop: Header=BB6_4858 Depth=2
	s_or_b32 exec_lo, exec_lo, s40
	s_and_saveexec_b32 s40, s12
	s_cbranch_execz .LBB6_5712
.LBB6_5711:                             ;   in Loop: Header=BB6_4858 Depth=2
	v_and_b32_e32 v4, 7, v13
	v_bfe_u32 v7, v13, 3, 4
	v_lshlrev_b32_e32 v8, 24, v13
	v_ffbh_u32_e32 v5, v4
	v_cmp_eq_u32_e32 vcc_lo, 0, v7
	v_min_u32_e32 v5, 32, v5
	v_subrev_nc_u32_e32 v6, 28, v5
	v_sub_nc_u32_e32 v5, 29, v5
	v_lshlrev_b32_e32 v6, v6, v13
	v_cndmask_b32_e32 v5, v7, v5, vcc_lo
	v_and_b32_e32 v6, 7, v6
	v_lshl_add_u32 v5, v5, 23, 0x3b800000
	v_cndmask_b32_e32 v4, v4, v6, vcc_lo
	v_and_b32_e32 v6, 0x80000000, v8
	v_lshlrev_b32_e32 v4, 20, v4
	v_or3_b32 v4, v6, v5, v4
.LBB6_5712:                             ;   in Loop: Header=BB6_4858 Depth=2
	s_or_b32 exec_lo, exec_lo, s40
	v_mul_f32_e32 v4, s29, v4
	v_mov_b32_e32 v118, 0x80
	s_mov_b32 s40, exec_lo
	v_and_b32_e32 v5, 0x7f800000, v4
	v_cmpx_ne_u32_e32 0x7f800000, v5
	s_cbranch_execz .LBB6_5720
; %bb.5713:                             ;   in Loop: Header=BB6_4858 Depth=2
	v_mov_b32_e32 v118, 0
	s_mov_b32 s41, exec_lo
	v_cmpx_ne_u32_e32 0, v4
	s_cbranch_execz .LBB6_5719
; %bb.5714:                             ;   in Loop: Header=BB6_4858 Depth=2
	v_bfe_u32 v6, v4, 23, 8
	v_and_b32_e32 v5, 0x7fffff, v4
	v_cmp_gt_u32_e64 s12, 0x79, v6
	v_sub_nc_u32_e32 v7, 0x78, v6
	v_cmp_eq_u32_e32 vcc_lo, 0, v6
	v_or_b32_e32 v8, 0x800000, v5
	v_cndmask_b32_e64 v7, 0, v7, s12
	v_cndmask_b32_e32 v5, v8, v5, vcc_lo
	v_cndmask_b32_e64 v7, v7, 0x77, vcc_lo
	v_lshl_add_u32 v8, 0x100000, v7, -1
	v_lshlrev_b32_e64 v9, v7, 0x80000
	v_and_b32_e32 v8, v8, v5
	v_cmp_eq_u32_e64 s12, v8, v9
	v_lshrrev_b32_e32 v8, v7, v5
	v_add_nc_u32_e32 v5, 0xffffff89, v6
	v_lshrrev_b32_e32 v6, 23, v8
	v_cndmask_b32_e64 v5, v5, 0xffffff8a, vcc_lo
	v_xor_b32_e32 v6, 1, v6
	v_add_nc_u32_e32 v5, v7, v5
	v_bfe_u32 v7, v8, 20, 1
	v_add_nc_u32_e32 v7, -1, v7
	v_cndmask_b32_e64 v7, 0, v7, s12
	s_mov_b32 s12, exec_lo
	v_add_nc_u32_e32 v7, v7, v8
	v_and_b32_e32 v7, 0xfffff, v7
	v_add_nc_u32_e32 v8, v7, v8
                                        ; implicit-def: $vgpr7
	v_cmpx_ne_u32_e64 v5, v6
	s_xor_b32 s12, exec_lo, s12
; %bb.5715:                             ;   in Loop: Header=BB6_4858 Depth=2
	v_cmp_lt_u32_e32 vcc_lo, 0xffffff, v8
	v_sub_nc_u32_e32 v5, v5, v6
	v_cndmask_b32_e64 v6, 0, 1, vcc_lo
	v_add_co_ci_u32_e64 v7, null, 0, v5, vcc_lo
	v_lshrrev_b32_e32 v8, v6, v8
; %bb.5716:                             ;   in Loop: Header=BB6_4858 Depth=2
	s_andn2_saveexec_b32 s12, s12
; %bb.5717:                             ;   in Loop: Header=BB6_4858 Depth=2
	v_bfe_u32 v7, v8, 23, 1
; %bb.5718:                             ;   in Loop: Header=BB6_4858 Depth=2
	s_or_b32 exec_lo, exec_lo, s12
	v_lshrrev_b32_e32 v5, 20, v8
	v_min_i32_e32 v6, 15, v7
	v_cmp_gt_i32_e32 vcc_lo, 16, v7
	v_and_b32_sdwa v4, v4, v102 dst_sel:DWORD dst_unused:UNUSED_PAD src0_sel:BYTE_3 src1_sel:DWORD
	v_lshlrev_b32_e32 v6, 3, v6
	v_cndmask_b32_e32 v5, 7, v5, vcc_lo
	v_and_b32_e32 v6, 0xf8, v6
	v_and_b32_e32 v8, 7, v5
	v_or_b32_e32 v5, v7, v5
	v_or3_b32 v4, v6, v4, v8
	v_cmp_ne_u32_e32 vcc_lo, 0, v5
	v_cndmask_b32_e32 v118, 0, v4, vcc_lo
.LBB6_5719:                             ;   in Loop: Header=BB6_4858 Depth=2
	s_or_b32 exec_lo, exec_lo, s41
.LBB6_5720:                             ;   in Loop: Header=BB6_4858 Depth=2
	s_or_b32 exec_lo, exec_lo, s40
	v_cmp_gt_i16_sdwa s40, v13, v101 src0_sel:BYTE_1 src1_sel:DWORD
	s_mov_b32 s12, 0
	s_and_saveexec_b32 s41, s40
	s_xor_b32 s40, exec_lo, s41
	s_cbranch_execz .LBB6_7162
; %bb.5721:                             ;   in Loop: Header=BB6_4858 Depth=2
	v_cmp_eq_u16_sdwa s42, v13, v102 src0_sel:BYTE_1 src1_sel:DWORD
	s_mov_b32 s12, -1
	s_and_saveexec_b32 s41, s42
; %bb.5722:                             ;   in Loop: Header=BB6_4858 Depth=2
	s_xor_b32 s12, exec_lo, -1
; %bb.5723:                             ;   in Loop: Header=BB6_4858 Depth=2
	s_or_b32 exec_lo, exec_lo, s41
	s_and_b32 s12, s12, exec_lo
	s_or_saveexec_b32 s40, s40
	v_mov_b32_e32 v4, 0x7f800001
	s_xor_b32 exec_lo, exec_lo, s40
	s_cbranch_execnz .LBB6_7163
.LBB6_5724:                             ;   in Loop: Header=BB6_4858 Depth=2
	s_or_b32 exec_lo, exec_lo, s40
	s_and_saveexec_b32 s40, s12
	s_cbranch_execz .LBB6_5726
.LBB6_5725:                             ;   in Loop: Header=BB6_4858 Depth=2
	v_and_b32_sdwa v4, v103, v13 dst_sel:DWORD dst_unused:UNUSED_PAD src0_sel:DWORD src1_sel:BYTE_1
	v_and_b32_e32 v5, 7, v4
	v_bfe_u32 v8, v4, 3, 4
	v_ffbh_u32_e32 v6, v5
	v_cmp_eq_u32_e32 vcc_lo, 0, v8
	v_min_u32_e32 v6, 32, v6
	v_subrev_nc_u32_e32 v7, 28, v6
	v_sub_nc_u32_e32 v6, 29, v6
	v_lshlrev_b32_e32 v4, v7, v4
	v_lshlrev_b32_sdwa v7, v112, v13 dst_sel:DWORD dst_unused:UNUSED_PAD src0_sel:DWORD src1_sel:BYTE_1
	v_cndmask_b32_e32 v6, v8, v6, vcc_lo
	v_and_b32_e32 v4, 7, v4
	v_lshl_add_u32 v6, v6, 23, 0x3b800000
	v_cndmask_b32_e32 v4, v5, v4, vcc_lo
	v_and_b32_e32 v5, 0x80000000, v7
	v_lshlrev_b32_e32 v4, 20, v4
	v_or3_b32 v4, v5, v6, v4
.LBB6_5726:                             ;   in Loop: Header=BB6_4858 Depth=2
	s_or_b32 exec_lo, exec_lo, s40
	v_mul_f32_e32 v4, s29, v4
	v_mov_b32_e32 v41, 0x8000
	s_mov_b32 s40, exec_lo
	v_and_b32_e32 v5, 0x7f800000, v4
	v_cmpx_ne_u32_e32 0x7f800000, v5
	s_cbranch_execz .LBB6_5734
; %bb.5727:                             ;   in Loop: Header=BB6_4858 Depth=2
	v_mov_b32_e32 v41, 0
	s_mov_b32 s41, exec_lo
	v_cmpx_ne_u32_e32 0, v4
	s_cbranch_execz .LBB6_5733
; %bb.5728:                             ;   in Loop: Header=BB6_4858 Depth=2
	v_bfe_u32 v6, v4, 23, 8
	v_and_b32_e32 v5, 0x7fffff, v4
	v_cmp_gt_u32_e64 s12, 0x79, v6
	v_sub_nc_u32_e32 v7, 0x78, v6
	v_cmp_eq_u32_e32 vcc_lo, 0, v6
	v_or_b32_e32 v8, 0x800000, v5
	v_cndmask_b32_e64 v7, 0, v7, s12
	v_cndmask_b32_e32 v5, v8, v5, vcc_lo
	v_cndmask_b32_e64 v7, v7, 0x77, vcc_lo
	v_lshl_add_u32 v8, 0x100000, v7, -1
	v_lshlrev_b32_e64 v9, v7, 0x80000
	v_and_b32_e32 v8, v8, v5
	v_cmp_eq_u32_e64 s12, v8, v9
	v_lshrrev_b32_e32 v8, v7, v5
	v_add_nc_u32_e32 v5, 0xffffff89, v6
	v_lshrrev_b32_e32 v6, 23, v8
	v_cndmask_b32_e64 v5, v5, 0xffffff8a, vcc_lo
	v_xor_b32_e32 v6, 1, v6
	v_add_nc_u32_e32 v5, v7, v5
	v_bfe_u32 v7, v8, 20, 1
	v_add_nc_u32_e32 v7, -1, v7
	v_cndmask_b32_e64 v7, 0, v7, s12
	s_mov_b32 s12, exec_lo
	v_add_nc_u32_e32 v7, v7, v8
	v_and_b32_e32 v7, 0xfffff, v7
	v_add_nc_u32_e32 v8, v7, v8
                                        ; implicit-def: $vgpr7
	v_cmpx_ne_u32_e64 v5, v6
	s_xor_b32 s12, exec_lo, s12
; %bb.5729:                             ;   in Loop: Header=BB6_4858 Depth=2
	v_cmp_lt_u32_e32 vcc_lo, 0xffffff, v8
	v_sub_nc_u32_e32 v5, v5, v6
	v_cndmask_b32_e64 v6, 0, 1, vcc_lo
	v_add_co_ci_u32_e64 v7, null, 0, v5, vcc_lo
	v_lshrrev_b32_e32 v8, v6, v8
; %bb.5730:                             ;   in Loop: Header=BB6_4858 Depth=2
	s_andn2_saveexec_b32 s12, s12
; %bb.5731:                             ;   in Loop: Header=BB6_4858 Depth=2
	v_bfe_u32 v7, v8, 23, 1
; %bb.5732:                             ;   in Loop: Header=BB6_4858 Depth=2
	s_or_b32 exec_lo, exec_lo, s12
	v_lshrrev_b32_e32 v5, 20, v8
	v_min_i32_e32 v6, 15, v7
	v_cmp_gt_i32_e32 vcc_lo, 16, v7
	v_and_b32_sdwa v4, v4, v102 dst_sel:DWORD dst_unused:UNUSED_PAD src0_sel:BYTE_3 src1_sel:DWORD
	v_lshlrev_b32_e32 v6, 3, v6
	v_cndmask_b32_e32 v5, 7, v5, vcc_lo
	v_and_b32_e32 v6, 0xf8, v6
	v_and_b32_e32 v8, 7, v5
	v_or_b32_e32 v5, v7, v5
	v_or3_b32 v4, v4, v6, v8
	v_cmp_ne_u32_e32 vcc_lo, 0, v5
	v_lshlrev_b32_e32 v4, 8, v4
	v_cndmask_b32_e32 v41, 0, v4, vcc_lo
.LBB6_5733:                             ;   in Loop: Header=BB6_4858 Depth=2
	s_or_b32 exec_lo, exec_lo, s41
.LBB6_5734:                             ;   in Loop: Header=BB6_4858 Depth=2
	s_or_b32 exec_lo, exec_lo, s40
	v_and_b32_sdwa v5, v13, v113 dst_sel:DWORD dst_unused:UNUSED_PAD src0_sel:WORD_1 src1_sel:DWORD
	s_mov_b32 s40, 0
	s_mov_b32 s12, exec_lo
	v_cmpx_lt_i16_e32 0x7f, v5
	s_xor_b32 s12, exec_lo, s12
	s_cbranch_execz .LBB6_7164
; %bb.5735:                             ;   in Loop: Header=BB6_4858 Depth=2
	s_mov_b32 s40, -1
	s_mov_b32 s41, exec_lo
	v_cmpx_eq_u16_e32 0x80, v5
; %bb.5736:                             ;   in Loop: Header=BB6_4858 Depth=2
	s_xor_b32 s40, exec_lo, -1
; %bb.5737:                             ;   in Loop: Header=BB6_4858 Depth=2
	s_or_b32 exec_lo, exec_lo, s41
	s_and_b32 s40, s40, exec_lo
                                        ; implicit-def: $vgpr5
	s_or_saveexec_b32 s12, s12
	v_mov_b32_e32 v4, 0x7f800001
	s_xor_b32 exec_lo, exec_lo, s12
	s_cbranch_execnz .LBB6_7165
.LBB6_5738:                             ;   in Loop: Header=BB6_4858 Depth=2
	s_or_b32 exec_lo, exec_lo, s12
	s_and_saveexec_b32 s12, s40
	s_cbranch_execz .LBB6_5740
.LBB6_5739:                             ;   in Loop: Header=BB6_4858 Depth=2
	v_bfe_u32 v4, v13, 16, 3
	v_bfe_u32 v5, v13, 19, 4
	v_ffbh_u32_e32 v6, v4
	v_cmp_eq_u32_e32 vcc_lo, 0, v5
	v_min_u32_e32 v6, 32, v6
	v_subrev_nc_u32_e32 v7, 28, v6
	v_sub_nc_u32_e32 v6, 29, v6
	v_lshlrev_b32_sdwa v7, v7, v13 dst_sel:DWORD dst_unused:UNUSED_PAD src0_sel:DWORD src1_sel:WORD_1
	v_cndmask_b32_e32 v5, v5, v6, vcc_lo
	v_lshlrev_b32_e32 v6, 8, v13
	v_and_b32_e32 v7, 7, v7
	v_lshl_add_u32 v5, v5, 23, 0x3b800000
	v_and_b32_e32 v6, 0x80000000, v6
	v_cndmask_b32_e32 v4, v4, v7, vcc_lo
	v_lshlrev_b32_e32 v4, 20, v4
	v_or3_b32 v4, v6, v5, v4
.LBB6_5740:                             ;   in Loop: Header=BB6_4858 Depth=2
	s_or_b32 exec_lo, exec_lo, s12
	v_mul_f32_e32 v4, s29, v4
	v_mov_b32_e32 v117, 0x80
	s_mov_b32 s40, exec_lo
	v_and_b32_e32 v5, 0x7f800000, v4
	v_cmpx_ne_u32_e32 0x7f800000, v5
	s_cbranch_execz .LBB6_5748
; %bb.5741:                             ;   in Loop: Header=BB6_4858 Depth=2
	v_mov_b32_e32 v117, 0
	s_mov_b32 s41, exec_lo
	v_cmpx_ne_u32_e32 0, v4
	s_cbranch_execz .LBB6_5747
; %bb.5742:                             ;   in Loop: Header=BB6_4858 Depth=2
	v_bfe_u32 v6, v4, 23, 8
	v_and_b32_e32 v5, 0x7fffff, v4
	v_cmp_gt_u32_e64 s12, 0x79, v6
	v_sub_nc_u32_e32 v7, 0x78, v6
	v_cmp_eq_u32_e32 vcc_lo, 0, v6
	v_or_b32_e32 v8, 0x800000, v5
	v_cndmask_b32_e64 v7, 0, v7, s12
	v_cndmask_b32_e32 v5, v8, v5, vcc_lo
	v_cndmask_b32_e64 v7, v7, 0x77, vcc_lo
	v_lshl_add_u32 v8, 0x100000, v7, -1
	v_lshlrev_b32_e64 v9, v7, 0x80000
	v_and_b32_e32 v8, v8, v5
	v_cmp_eq_u32_e64 s12, v8, v9
	v_lshrrev_b32_e32 v8, v7, v5
	v_add_nc_u32_e32 v5, 0xffffff89, v6
	v_lshrrev_b32_e32 v6, 23, v8
	v_cndmask_b32_e64 v5, v5, 0xffffff8a, vcc_lo
	v_xor_b32_e32 v6, 1, v6
	v_add_nc_u32_e32 v5, v7, v5
	v_bfe_u32 v7, v8, 20, 1
	v_add_nc_u32_e32 v7, -1, v7
	v_cndmask_b32_e64 v7, 0, v7, s12
	s_mov_b32 s12, exec_lo
	v_add_nc_u32_e32 v7, v7, v8
	v_and_b32_e32 v7, 0xfffff, v7
	v_add_nc_u32_e32 v7, v7, v8
                                        ; implicit-def: $vgpr8
	v_cmpx_ne_u32_e64 v5, v6
	s_xor_b32 s12, exec_lo, s12
; %bb.5743:                             ;   in Loop: Header=BB6_4858 Depth=2
	v_cmp_lt_u32_e32 vcc_lo, 0xffffff, v7
	v_sub_nc_u32_e32 v5, v5, v6
	v_cndmask_b32_e64 v6, 0, 1, vcc_lo
	v_add_co_ci_u32_e64 v8, null, 0, v5, vcc_lo
	v_lshrrev_b32_e32 v7, v6, v7
; %bb.5744:                             ;   in Loop: Header=BB6_4858 Depth=2
	s_andn2_saveexec_b32 s12, s12
; %bb.5745:                             ;   in Loop: Header=BB6_4858 Depth=2
	v_bfe_u32 v8, v7, 23, 1
; %bb.5746:                             ;   in Loop: Header=BB6_4858 Depth=2
	s_or_b32 exec_lo, exec_lo, s12
	v_lshrrev_b32_e32 v5, 20, v7
	v_min_i32_e32 v6, 15, v8
	v_cmp_gt_i32_e32 vcc_lo, 16, v8
	v_and_b32_sdwa v4, v4, v102 dst_sel:DWORD dst_unused:UNUSED_PAD src0_sel:BYTE_3 src1_sel:DWORD
	v_lshlrev_b32_e32 v6, 3, v6
	v_cndmask_b32_e32 v5, 7, v5, vcc_lo
	v_and_b32_e32 v6, 0xf8, v6
	v_or_b32_e32 v7, v8, v5
	v_and_b32_e32 v5, 7, v5
	v_cmp_ne_u32_e32 vcc_lo, 0, v7
	v_or3_b32 v4, v6, v4, v5
	v_cndmask_b32_e32 v117, 0, v4, vcc_lo
.LBB6_5747:                             ;   in Loop: Header=BB6_4858 Depth=2
	s_or_b32 exec_lo, exec_lo, s41
.LBB6_5748:                             ;   in Loop: Header=BB6_4858 Depth=2
	s_or_b32 exec_lo, exec_lo, s40
	v_cmp_gt_i16_sdwa s40, v13, v101 src0_sel:BYTE_3 src1_sel:DWORD
	s_mov_b32 s12, 0
	s_and_saveexec_b32 s41, s40
	s_xor_b32 s40, exec_lo, s41
	s_cbranch_execz .LBB6_7166
; %bb.5749:                             ;   in Loop: Header=BB6_4858 Depth=2
	v_cmp_eq_u16_sdwa s42, v13, v102 src0_sel:BYTE_3 src1_sel:DWORD
	s_mov_b32 s12, -1
	s_and_saveexec_b32 s41, s42
; %bb.5750:                             ;   in Loop: Header=BB6_4858 Depth=2
	s_xor_b32 s12, exec_lo, -1
; %bb.5751:                             ;   in Loop: Header=BB6_4858 Depth=2
	s_or_b32 exec_lo, exec_lo, s41
	s_and_b32 s12, s12, exec_lo
	s_or_saveexec_b32 s40, s40
	v_mov_b32_e32 v4, 0x7f800001
	s_xor_b32 exec_lo, exec_lo, s40
	s_cbranch_execnz .LBB6_7167
.LBB6_5752:                             ;   in Loop: Header=BB6_4858 Depth=2
	s_or_b32 exec_lo, exec_lo, s40
	s_and_saveexec_b32 s40, s12
	s_cbranch_execz .LBB6_5754
.LBB6_5753:                             ;   in Loop: Header=BB6_4858 Depth=2
	v_bfe_u32 v4, v13, 24, 3
	v_bfe_u32 v7, v13, 27, 4
	v_ffbh_u32_e32 v5, v4
	v_cmp_eq_u32_e32 vcc_lo, 0, v7
	v_min_u32_e32 v5, 32, v5
	v_subrev_nc_u32_e32 v6, 28, v5
	v_sub_nc_u32_e32 v5, 29, v5
	v_lshlrev_b32_sdwa v6, v6, v13 dst_sel:DWORD dst_unused:UNUSED_PAD src0_sel:DWORD src1_sel:BYTE_3
	v_cndmask_b32_e32 v5, v7, v5, vcc_lo
	v_and_b32_e32 v6, 7, v6
	v_lshl_add_u32 v5, v5, 23, 0x3b800000
	v_cndmask_b32_e32 v4, v4, v6, vcc_lo
	v_and_b32_e32 v6, 0x80000000, v13
	v_lshlrev_b32_e32 v4, 20, v4
	v_or3_b32 v4, v6, v5, v4
.LBB6_5754:                             ;   in Loop: Header=BB6_4858 Depth=2
	s_or_b32 exec_lo, exec_lo, s40
	v_mul_f32_e32 v4, s29, v4
	v_mov_b32_e32 v40, 0x8000
	s_mov_b32 s29, exec_lo
	v_and_b32_e32 v5, 0x7f800000, v4
	v_cmpx_ne_u32_e32 0x7f800000, v5
	s_cbranch_execz .LBB6_5762
; %bb.5755:                             ;   in Loop: Header=BB6_4858 Depth=2
	v_mov_b32_e32 v40, 0
	s_mov_b32 s40, exec_lo
	v_cmpx_ne_u32_e32 0, v4
	s_cbranch_execz .LBB6_5761
; %bb.5756:                             ;   in Loop: Header=BB6_4858 Depth=2
	v_bfe_u32 v6, v4, 23, 8
	v_and_b32_e32 v5, 0x7fffff, v4
	v_cmp_gt_u32_e64 s12, 0x79, v6
	v_sub_nc_u32_e32 v7, 0x78, v6
	v_cmp_eq_u32_e32 vcc_lo, 0, v6
	v_or_b32_e32 v8, 0x800000, v5
	v_cndmask_b32_e64 v7, 0, v7, s12
	v_cndmask_b32_e32 v5, v8, v5, vcc_lo
	v_cndmask_b32_e64 v7, v7, 0x77, vcc_lo
	v_lshl_add_u32 v8, 0x100000, v7, -1
	v_lshlrev_b32_e64 v9, v7, 0x80000
	v_and_b32_e32 v8, v8, v5
	v_cmp_eq_u32_e64 s12, v8, v9
	v_lshrrev_b32_e32 v8, v7, v5
	v_add_nc_u32_e32 v5, 0xffffff89, v6
	v_lshrrev_b32_e32 v6, 23, v8
	v_cndmask_b32_e64 v5, v5, 0xffffff8a, vcc_lo
	v_xor_b32_e32 v6, 1, v6
	v_add_nc_u32_e32 v5, v7, v5
	v_bfe_u32 v7, v8, 20, 1
	v_add_nc_u32_e32 v7, -1, v7
	v_cndmask_b32_e64 v7, 0, v7, s12
	s_mov_b32 s12, exec_lo
	v_add_nc_u32_e32 v7, v7, v8
	v_and_b32_e32 v7, 0xfffff, v7
	v_add_nc_u32_e32 v7, v7, v8
                                        ; implicit-def: $vgpr8
	v_cmpx_ne_u32_e64 v5, v6
	s_xor_b32 s12, exec_lo, s12
; %bb.5757:                             ;   in Loop: Header=BB6_4858 Depth=2
	v_cmp_lt_u32_e32 vcc_lo, 0xffffff, v7
	v_sub_nc_u32_e32 v5, v5, v6
	v_cndmask_b32_e64 v6, 0, 1, vcc_lo
	v_add_co_ci_u32_e64 v8, null, 0, v5, vcc_lo
	v_lshrrev_b32_e32 v7, v6, v7
; %bb.5758:                             ;   in Loop: Header=BB6_4858 Depth=2
	s_andn2_saveexec_b32 s12, s12
; %bb.5759:                             ;   in Loop: Header=BB6_4858 Depth=2
	v_bfe_u32 v8, v7, 23, 1
; %bb.5760:                             ;   in Loop: Header=BB6_4858 Depth=2
	s_or_b32 exec_lo, exec_lo, s12
	v_lshrrev_b32_e32 v5, 20, v7
	v_min_i32_e32 v6, 15, v8
	v_cmp_gt_i32_e32 vcc_lo, 16, v8
	v_and_b32_sdwa v4, v4, v102 dst_sel:DWORD dst_unused:UNUSED_PAD src0_sel:BYTE_3 src1_sel:DWORD
	v_lshlrev_b32_e32 v6, 3, v6
	v_cndmask_b32_e32 v5, 7, v5, vcc_lo
	v_and_b32_e32 v6, 0xf8, v6
	v_or_b32_e32 v7, v8, v5
	v_and_b32_e32 v5, 7, v5
	v_cmp_ne_u32_e32 vcc_lo, 0, v7
	v_or3_b32 v4, v4, v6, v5
	v_lshlrev_b32_e32 v4, 8, v4
	v_cndmask_b32_e32 v40, 0, v4, vcc_lo
.LBB6_5761:                             ;   in Loop: Header=BB6_4858 Depth=2
	s_or_b32 exec_lo, exec_lo, s40
.LBB6_5762:                             ;   in Loop: Header=BB6_4858 Depth=2
	s_or_b32 exec_lo, exec_lo, s29
	v_or_b32_e32 v4, v15, v14
	s_clause 0x3
	global_load_dwordx4 v[22:25], v[80:81], off slc
	global_load_dwordx4 v[18:21], v[80:81], off offset:512 slc
	global_load_dwordx4 v[14:17], v[80:81], off offset:1024 slc
	global_load_dwordx4 v[10:13], v[80:81], off offset:1536 slc
	s_mov_b32 s29, 0
	v_cmp_gt_i16_sdwa s12, v4, v101 src0_sel:BYTE_0 src1_sel:DWORD
	s_and_saveexec_b32 s40, s12
	s_xor_b32 s12, exec_lo, s40
	s_cbranch_execz .LBB6_7168
; %bb.5763:                             ;   in Loop: Header=BB6_4858 Depth=2
	v_cmp_eq_u16_sdwa s41, v4, v102 src0_sel:BYTE_0 src1_sel:DWORD
	s_mov_b32 s29, -1
	s_and_saveexec_b32 s40, s41
; %bb.5764:                             ;   in Loop: Header=BB6_4858 Depth=2
	s_xor_b32 s29, exec_lo, -1
; %bb.5765:                             ;   in Loop: Header=BB6_4858 Depth=2
	s_or_b32 exec_lo, exec_lo, s40
	s_and_b32 s29, s29, exec_lo
	s_or_saveexec_b32 s12, s12
	v_mov_b32_e32 v5, 0x7f800001
	s_xor_b32 exec_lo, exec_lo, s12
	s_cbranch_execnz .LBB6_7169
.LBB6_5766:                             ;   in Loop: Header=BB6_4858 Depth=2
	s_or_b32 exec_lo, exec_lo, s12
	s_and_saveexec_b32 s12, s29
	s_cbranch_execz .LBB6_5768
.LBB6_5767:                             ;   in Loop: Header=BB6_4858 Depth=2
	v_and_b32_e32 v5, 7, v4
	v_bfe_u32 v6, v4, 3, 4
	v_ffbh_u32_e32 v7, v5
	v_cmp_eq_u32_e32 vcc_lo, 0, v6
	v_min_u32_e32 v7, 32, v7
	v_subrev_nc_u32_e32 v8, 28, v7
	v_sub_nc_u32_e32 v7, 29, v7
	v_lshlrev_b32_e32 v8, v8, v4
	v_cndmask_b32_e32 v6, v6, v7, vcc_lo
	v_lshlrev_b32_e32 v7, 24, v4
	v_and_b32_e32 v8, 7, v8
	v_lshl_add_u32 v6, v6, 23, 0x3b800000
	v_and_b32_e32 v7, 0x80000000, v7
	v_cndmask_b32_e32 v5, v5, v8, vcc_lo
	v_lshlrev_b32_e32 v5, 20, v5
	v_or3_b32 v5, v7, v6, v5
.LBB6_5768:                             ;   in Loop: Header=BB6_4858 Depth=2
	s_or_b32 exec_lo, exec_lo, s12
	s_waitcnt vmcnt(3)
	v_cmp_gt_i16_sdwa s12, v22, v101 src0_sel:BYTE_0 src1_sel:DWORD
	s_mov_b32 s29, 0
	s_and_saveexec_b32 s40, s12
	s_xor_b32 s12, exec_lo, s40
	s_cbranch_execz .LBB6_7170
; %bb.5769:                             ;   in Loop: Header=BB6_4858 Depth=2
	v_cmp_eq_u16_sdwa s41, v22, v102 src0_sel:BYTE_0 src1_sel:DWORD
	s_mov_b32 s29, -1
	s_and_saveexec_b32 s40, s41
; %bb.5770:                             ;   in Loop: Header=BB6_4858 Depth=2
	s_xor_b32 s29, exec_lo, -1
; %bb.5771:                             ;   in Loop: Header=BB6_4858 Depth=2
	s_or_b32 exec_lo, exec_lo, s40
	s_and_b32 s29, s29, exec_lo
	s_or_saveexec_b32 s12, s12
	v_mov_b32_e32 v6, 0x7f800001
	s_xor_b32 exec_lo, exec_lo, s12
	s_cbranch_execnz .LBB6_7171
.LBB6_5772:                             ;   in Loop: Header=BB6_4858 Depth=2
	s_or_b32 exec_lo, exec_lo, s12
	s_and_saveexec_b32 s12, s29
	s_cbranch_execz .LBB6_5774
.LBB6_5773:                             ;   in Loop: Header=BB6_4858 Depth=2
	v_and_b32_e32 v6, 7, v22
	v_bfe_u32 v7, v22, 3, 4
	v_ffbh_u32_e32 v8, v6
	v_cmp_eq_u32_e32 vcc_lo, 0, v7
	v_min_u32_e32 v8, 32, v8
	v_subrev_nc_u32_e32 v9, 28, v8
	v_sub_nc_u32_e32 v8, 29, v8
	v_lshlrev_b32_e32 v9, v9, v22
	v_cndmask_b32_e32 v7, v7, v8, vcc_lo
	v_lshlrev_b32_e32 v8, 24, v22
	v_and_b32_e32 v9, 7, v9
	v_lshl_add_u32 v7, v7, 23, 0x3b800000
	v_and_b32_e32 v8, 0x80000000, v8
	v_cndmask_b32_e32 v6, v6, v9, vcc_lo
	v_lshlrev_b32_e32 v6, 20, v6
	v_or3_b32 v6, v8, v7, v6
.LBB6_5774:                             ;   in Loop: Header=BB6_4858 Depth=2
	s_or_b32 exec_lo, exec_lo, s12
	v_add_f32_e32 v5, v5, v6
	v_mov_b32_e32 v116, 0x80
	s_mov_b32 s29, exec_lo
	v_and_b32_e32 v6, 0x7f800000, v5
	v_cmpx_ne_u32_e32 0x7f800000, v6
	s_cbranch_execz .LBB6_5782
; %bb.5775:                             ;   in Loop: Header=BB6_4858 Depth=2
	v_mov_b32_e32 v116, 0
	s_mov_b32 s40, exec_lo
	v_cmpx_ne_u32_e32 0, v5
	s_cbranch_execz .LBB6_5781
; %bb.5776:                             ;   in Loop: Header=BB6_4858 Depth=2
	v_bfe_u32 v7, v5, 23, 8
	v_and_b32_e32 v6, 0x7fffff, v5
	v_cmp_gt_u32_e64 s12, 0x79, v7
	v_sub_nc_u32_e32 v8, 0x78, v7
	v_cmp_eq_u32_e32 vcc_lo, 0, v7
	v_or_b32_e32 v9, 0x800000, v6
	v_cndmask_b32_e64 v8, 0, v8, s12
	v_cndmask_b32_e32 v6, v9, v6, vcc_lo
	v_cndmask_b32_e64 v8, v8, 0x77, vcc_lo
	v_lshl_add_u32 v9, 0x100000, v8, -1
	v_lshlrev_b32_e64 v32, v8, 0x80000
	v_and_b32_e32 v9, v9, v6
	v_cmp_eq_u32_e64 s12, v9, v32
	v_lshrrev_b32_e32 v9, v8, v6
	v_add_nc_u32_e32 v6, 0xffffff89, v7
	v_lshrrev_b32_e32 v7, 23, v9
	v_cndmask_b32_e64 v6, v6, 0xffffff8a, vcc_lo
	v_xor_b32_e32 v7, 1, v7
	v_add_nc_u32_e32 v6, v8, v6
	v_bfe_u32 v8, v9, 20, 1
	v_add_nc_u32_e32 v8, -1, v8
	v_cndmask_b32_e64 v8, 0, v8, s12
	s_mov_b32 s12, exec_lo
	v_add_nc_u32_e32 v8, v8, v9
	v_and_b32_e32 v8, 0xfffff, v8
	v_add_nc_u32_e32 v8, v8, v9
                                        ; implicit-def: $vgpr9
	v_cmpx_ne_u32_e64 v6, v7
	s_xor_b32 s12, exec_lo, s12
; %bb.5777:                             ;   in Loop: Header=BB6_4858 Depth=2
	v_cmp_lt_u32_e32 vcc_lo, 0xffffff, v8
	v_sub_nc_u32_e32 v6, v6, v7
	v_cndmask_b32_e64 v7, 0, 1, vcc_lo
	v_add_co_ci_u32_e64 v9, null, 0, v6, vcc_lo
	v_lshrrev_b32_e32 v8, v7, v8
; %bb.5778:                             ;   in Loop: Header=BB6_4858 Depth=2
	s_andn2_saveexec_b32 s12, s12
; %bb.5779:                             ;   in Loop: Header=BB6_4858 Depth=2
	v_bfe_u32 v9, v8, 23, 1
; %bb.5780:                             ;   in Loop: Header=BB6_4858 Depth=2
	s_or_b32 exec_lo, exec_lo, s12
	v_lshrrev_b32_e32 v6, 20, v8
	v_min_i32_e32 v7, 15, v9
	v_cmp_gt_i32_e32 vcc_lo, 16, v9
	v_and_b32_sdwa v5, v5, v102 dst_sel:DWORD dst_unused:UNUSED_PAD src0_sel:BYTE_3 src1_sel:DWORD
	v_lshlrev_b32_e32 v7, 3, v7
	v_cndmask_b32_e32 v6, 7, v6, vcc_lo
	v_and_b32_e32 v7, 0xf8, v7
	v_or_b32_e32 v8, v9, v6
	v_and_b32_e32 v6, 7, v6
	v_cmp_ne_u32_e32 vcc_lo, 0, v8
	v_or3_b32 v5, v7, v5, v6
	v_cndmask_b32_e32 v116, 0, v5, vcc_lo
.LBB6_5781:                             ;   in Loop: Header=BB6_4858 Depth=2
	s_or_b32 exec_lo, exec_lo, s40
.LBB6_5782:                             ;   in Loop: Header=BB6_4858 Depth=2
	s_or_b32 exec_lo, exec_lo, s29
	v_cmp_gt_i16_sdwa s12, v4, v101 src0_sel:BYTE_1 src1_sel:DWORD
	s_mov_b32 s29, 0
	s_and_saveexec_b32 s40, s12
	s_xor_b32 s12, exec_lo, s40
	s_cbranch_execz .LBB6_7172
; %bb.5783:                             ;   in Loop: Header=BB6_4858 Depth=2
	v_cmp_eq_u16_sdwa s41, v4, v102 src0_sel:BYTE_1 src1_sel:DWORD
	s_mov_b32 s29, -1
	s_and_saveexec_b32 s40, s41
; %bb.5784:                             ;   in Loop: Header=BB6_4858 Depth=2
	s_xor_b32 s29, exec_lo, -1
; %bb.5785:                             ;   in Loop: Header=BB6_4858 Depth=2
	s_or_b32 exec_lo, exec_lo, s40
	s_and_b32 s29, s29, exec_lo
	s_or_saveexec_b32 s12, s12
	v_mov_b32_e32 v5, 0x7f800001
	s_xor_b32 exec_lo, exec_lo, s12
	s_cbranch_execnz .LBB6_7173
.LBB6_5786:                             ;   in Loop: Header=BB6_4858 Depth=2
	s_or_b32 exec_lo, exec_lo, s12
	s_and_saveexec_b32 s12, s29
	s_cbranch_execz .LBB6_5788
.LBB6_5787:                             ;   in Loop: Header=BB6_4858 Depth=2
	v_and_b32_sdwa v5, v103, v4 dst_sel:DWORD dst_unused:UNUSED_PAD src0_sel:DWORD src1_sel:BYTE_1
	v_and_b32_e32 v6, 7, v5
	v_bfe_u32 v9, v5, 3, 4
	v_ffbh_u32_e32 v7, v6
	v_cmp_eq_u32_e32 vcc_lo, 0, v9
	v_min_u32_e32 v7, 32, v7
	v_subrev_nc_u32_e32 v8, 28, v7
	v_sub_nc_u32_e32 v7, 29, v7
	v_lshlrev_b32_e32 v5, v8, v5
	v_lshlrev_b32_sdwa v8, v112, v4 dst_sel:DWORD dst_unused:UNUSED_PAD src0_sel:DWORD src1_sel:BYTE_1
	v_cndmask_b32_e32 v7, v9, v7, vcc_lo
	v_and_b32_e32 v5, 7, v5
	v_lshl_add_u32 v7, v7, 23, 0x3b800000
	v_cndmask_b32_e32 v5, v6, v5, vcc_lo
	v_and_b32_e32 v6, 0x80000000, v8
	v_lshlrev_b32_e32 v5, 20, v5
	v_or3_b32 v5, v6, v7, v5
.LBB6_5788:                             ;   in Loop: Header=BB6_4858 Depth=2
	s_or_b32 exec_lo, exec_lo, s12
	v_cmp_gt_i16_sdwa s12, v22, v101 src0_sel:BYTE_1 src1_sel:DWORD
	s_mov_b32 s29, 0
	s_and_saveexec_b32 s40, s12
	s_xor_b32 s12, exec_lo, s40
	s_cbranch_execz .LBB6_7174
; %bb.5789:                             ;   in Loop: Header=BB6_4858 Depth=2
	v_cmp_eq_u16_sdwa s41, v22, v102 src0_sel:BYTE_1 src1_sel:DWORD
	s_mov_b32 s29, -1
	s_and_saveexec_b32 s40, s41
; %bb.5790:                             ;   in Loop: Header=BB6_4858 Depth=2
	s_xor_b32 s29, exec_lo, -1
; %bb.5791:                             ;   in Loop: Header=BB6_4858 Depth=2
	s_or_b32 exec_lo, exec_lo, s40
	s_and_b32 s29, s29, exec_lo
	s_or_saveexec_b32 s12, s12
	v_mov_b32_e32 v6, 0x7f800001
	s_xor_b32 exec_lo, exec_lo, s12
	s_cbranch_execnz .LBB6_7175
.LBB6_5792:                             ;   in Loop: Header=BB6_4858 Depth=2
	s_or_b32 exec_lo, exec_lo, s12
	s_and_saveexec_b32 s12, s29
	s_cbranch_execz .LBB6_5794
.LBB6_5793:                             ;   in Loop: Header=BB6_4858 Depth=2
	v_and_b32_sdwa v6, v103, v22 dst_sel:DWORD dst_unused:UNUSED_PAD src0_sel:DWORD src1_sel:BYTE_1
	v_and_b32_e32 v7, 7, v6
	v_bfe_u32 v32, v6, 3, 4
	v_ffbh_u32_e32 v8, v7
	v_cmp_eq_u32_e32 vcc_lo, 0, v32
	v_min_u32_e32 v8, 32, v8
	v_subrev_nc_u32_e32 v9, 28, v8
	v_sub_nc_u32_e32 v8, 29, v8
	v_lshlrev_b32_e32 v6, v9, v6
	v_lshlrev_b32_sdwa v9, v112, v22 dst_sel:DWORD dst_unused:UNUSED_PAD src0_sel:DWORD src1_sel:BYTE_1
	v_cndmask_b32_e32 v8, v32, v8, vcc_lo
	v_and_b32_e32 v6, 7, v6
	v_lshl_add_u32 v8, v8, 23, 0x3b800000
	v_cndmask_b32_e32 v6, v7, v6, vcc_lo
	v_and_b32_e32 v7, 0x80000000, v9
	v_lshlrev_b32_e32 v6, 20, v6
	v_or3_b32 v6, v7, v8, v6
.LBB6_5794:                             ;   in Loop: Header=BB6_4858 Depth=2
	s_or_b32 exec_lo, exec_lo, s12
	v_add_f32_e32 v5, v5, v6
	v_mov_b32_e32 v119, 0x8000
	s_mov_b32 s29, exec_lo
	v_and_b32_e32 v6, 0x7f800000, v5
	v_cmpx_ne_u32_e32 0x7f800000, v6
	s_cbranch_execz .LBB6_5802
; %bb.5795:                             ;   in Loop: Header=BB6_4858 Depth=2
	v_mov_b32_e32 v119, 0
	s_mov_b32 s40, exec_lo
	v_cmpx_ne_u32_e32 0, v5
	s_cbranch_execz .LBB6_5801
; %bb.5796:                             ;   in Loop: Header=BB6_4858 Depth=2
	v_bfe_u32 v7, v5, 23, 8
	v_and_b32_e32 v6, 0x7fffff, v5
	v_cmp_gt_u32_e64 s12, 0x79, v7
	v_sub_nc_u32_e32 v8, 0x78, v7
	v_cmp_eq_u32_e32 vcc_lo, 0, v7
	v_or_b32_e32 v9, 0x800000, v6
	v_cndmask_b32_e64 v8, 0, v8, s12
	v_cndmask_b32_e32 v6, v9, v6, vcc_lo
	v_cndmask_b32_e64 v8, v8, 0x77, vcc_lo
	v_lshl_add_u32 v9, 0x100000, v8, -1
	v_lshlrev_b32_e64 v32, v8, 0x80000
	v_and_b32_e32 v9, v9, v6
	v_cmp_eq_u32_e64 s12, v9, v32
	v_lshrrev_b32_e32 v9, v8, v6
	v_add_nc_u32_e32 v6, 0xffffff89, v7
	v_lshrrev_b32_e32 v7, 23, v9
	v_cndmask_b32_e64 v6, v6, 0xffffff8a, vcc_lo
	v_xor_b32_e32 v7, 1, v7
	v_add_nc_u32_e32 v6, v8, v6
	v_bfe_u32 v8, v9, 20, 1
	v_add_nc_u32_e32 v8, -1, v8
	v_cndmask_b32_e64 v8, 0, v8, s12
	s_mov_b32 s12, exec_lo
	v_add_nc_u32_e32 v8, v8, v9
	v_and_b32_e32 v8, 0xfffff, v8
	v_add_nc_u32_e32 v8, v8, v9
                                        ; implicit-def: $vgpr9
	v_cmpx_ne_u32_e64 v6, v7
	s_xor_b32 s12, exec_lo, s12
; %bb.5797:                             ;   in Loop: Header=BB6_4858 Depth=2
	v_cmp_lt_u32_e32 vcc_lo, 0xffffff, v8
	v_sub_nc_u32_e32 v6, v6, v7
	v_cndmask_b32_e64 v7, 0, 1, vcc_lo
	v_add_co_ci_u32_e64 v9, null, 0, v6, vcc_lo
	v_lshrrev_b32_e32 v8, v7, v8
; %bb.5798:                             ;   in Loop: Header=BB6_4858 Depth=2
	s_andn2_saveexec_b32 s12, s12
; %bb.5799:                             ;   in Loop: Header=BB6_4858 Depth=2
	v_bfe_u32 v9, v8, 23, 1
; %bb.5800:                             ;   in Loop: Header=BB6_4858 Depth=2
	s_or_b32 exec_lo, exec_lo, s12
	v_lshrrev_b32_e32 v6, 20, v8
	v_min_i32_e32 v7, 15, v9
	v_cmp_gt_i32_e32 vcc_lo, 16, v9
	v_and_b32_sdwa v5, v5, v102 dst_sel:DWORD dst_unused:UNUSED_PAD src0_sel:BYTE_3 src1_sel:DWORD
	v_lshlrev_b32_e32 v7, 3, v7
	v_cndmask_b32_e32 v6, 7, v6, vcc_lo
	v_and_b32_e32 v7, 0xf8, v7
	v_or_b32_e32 v8, v9, v6
	v_and_b32_e32 v6, 7, v6
	v_cmp_ne_u32_e32 vcc_lo, 0, v8
	v_or3_b32 v5, v5, v7, v6
	v_lshlrev_b32_e32 v5, 8, v5
	v_cndmask_b32_e32 v119, 0, v5, vcc_lo
.LBB6_5801:                             ;   in Loop: Header=BB6_4858 Depth=2
	s_or_b32 exec_lo, exec_lo, s40
.LBB6_5802:                             ;   in Loop: Header=BB6_4858 Depth=2
	s_or_b32 exec_lo, exec_lo, s29
	v_or_b32_e32 v6, v63, v43
	s_mov_b32 s29, 0
	v_cmp_gt_i16_sdwa s12, v6, v101 src0_sel:BYTE_0 src1_sel:DWORD
	s_and_saveexec_b32 s40, s12
	s_xor_b32 s12, exec_lo, s40
	s_cbranch_execz .LBB6_7176
; %bb.5803:                             ;   in Loop: Header=BB6_4858 Depth=2
	v_cmp_eq_u16_sdwa s41, v6, v102 src0_sel:BYTE_0 src1_sel:DWORD
	s_mov_b32 s29, -1
	s_and_saveexec_b32 s40, s41
; %bb.5804:                             ;   in Loop: Header=BB6_4858 Depth=2
	s_xor_b32 s29, exec_lo, -1
; %bb.5805:                             ;   in Loop: Header=BB6_4858 Depth=2
	s_or_b32 exec_lo, exec_lo, s40
	s_and_b32 s29, s29, exec_lo
	s_or_saveexec_b32 s12, s12
	v_mov_b32_e32 v5, 0x7f800001
	s_xor_b32 exec_lo, exec_lo, s12
	s_cbranch_execnz .LBB6_7177
.LBB6_5806:                             ;   in Loop: Header=BB6_4858 Depth=2
	s_or_b32 exec_lo, exec_lo, s12
	v_lshl_or_b32 v4, v6, 16, v4
	s_and_saveexec_b32 s12, s29
	s_cbranch_execz .LBB6_5808
.LBB6_5807:                             ;   in Loop: Header=BB6_4858 Depth=2
	v_bfe_u32 v5, v4, 16, 3
	v_bfe_u32 v6, v4, 19, 4
	v_ffbh_u32_e32 v7, v5
	v_cmp_eq_u32_e32 vcc_lo, 0, v6
	v_min_u32_e32 v7, 32, v7
	v_subrev_nc_u32_e32 v8, 28, v7
	v_sub_nc_u32_e32 v7, 29, v7
	v_lshlrev_b32_sdwa v8, v8, v4 dst_sel:DWORD dst_unused:UNUSED_PAD src0_sel:DWORD src1_sel:WORD_1
	v_cndmask_b32_e32 v6, v6, v7, vcc_lo
	v_lshlrev_b32_e32 v7, 8, v4
	v_and_b32_e32 v8, 7, v8
	v_lshl_add_u32 v6, v6, 23, 0x3b800000
	v_and_b32_e32 v7, 0x80000000, v7
	v_cndmask_b32_e32 v5, v5, v8, vcc_lo
	v_lshlrev_b32_e32 v5, 20, v5
	v_or3_b32 v5, v7, v6, v5
.LBB6_5808:                             ;   in Loop: Header=BB6_4858 Depth=2
	s_or_b32 exec_lo, exec_lo, s12
	v_and_b32_sdwa v7, v22, v113 dst_sel:DWORD dst_unused:UNUSED_PAD src0_sel:WORD_1 src1_sel:DWORD
	s_mov_b32 s29, 0
	s_mov_b32 s12, exec_lo
	v_cmpx_lt_i16_e32 0x7f, v7
	s_xor_b32 s12, exec_lo, s12
	s_cbranch_execz .LBB6_7178
; %bb.5809:                             ;   in Loop: Header=BB6_4858 Depth=2
	s_mov_b32 s29, -1
	s_mov_b32 s40, exec_lo
	v_cmpx_eq_u16_e32 0x80, v7
; %bb.5810:                             ;   in Loop: Header=BB6_4858 Depth=2
	s_xor_b32 s29, exec_lo, -1
; %bb.5811:                             ;   in Loop: Header=BB6_4858 Depth=2
	s_or_b32 exec_lo, exec_lo, s40
	s_and_b32 s29, s29, exec_lo
                                        ; implicit-def: $vgpr7
	s_or_saveexec_b32 s12, s12
	v_mov_b32_e32 v6, 0x7f800001
	s_xor_b32 exec_lo, exec_lo, s12
	s_cbranch_execnz .LBB6_7179
.LBB6_5812:                             ;   in Loop: Header=BB6_4858 Depth=2
	s_or_b32 exec_lo, exec_lo, s12
	s_and_saveexec_b32 s12, s29
	s_cbranch_execz .LBB6_5814
.LBB6_5813:                             ;   in Loop: Header=BB6_4858 Depth=2
	v_bfe_u32 v6, v22, 16, 3
	v_bfe_u32 v7, v22, 19, 4
	v_ffbh_u32_e32 v8, v6
	v_cmp_eq_u32_e32 vcc_lo, 0, v7
	v_min_u32_e32 v8, 32, v8
	v_subrev_nc_u32_e32 v9, 28, v8
	v_sub_nc_u32_e32 v8, 29, v8
	v_lshlrev_b32_sdwa v9, v9, v22 dst_sel:DWORD dst_unused:UNUSED_PAD src0_sel:DWORD src1_sel:WORD_1
	v_cndmask_b32_e32 v7, v7, v8, vcc_lo
	v_lshlrev_b32_e32 v8, 8, v22
	v_and_b32_e32 v9, 7, v9
	v_lshl_add_u32 v7, v7, 23, 0x3b800000
	v_and_b32_e32 v8, 0x80000000, v8
	v_cndmask_b32_e32 v6, v6, v9, vcc_lo
	v_lshlrev_b32_e32 v6, 20, v6
	v_or3_b32 v6, v8, v7, v6
.LBB6_5814:                             ;   in Loop: Header=BB6_4858 Depth=2
	s_or_b32 exec_lo, exec_lo, s12
	v_add_f32_e32 v5, v5, v6
	v_mov_b32_e32 v43, 0x80
	s_mov_b32 s29, exec_lo
	v_and_b32_e32 v6, 0x7f800000, v5
	v_cmpx_ne_u32_e32 0x7f800000, v6
	s_cbranch_execz .LBB6_5822
; %bb.5815:                             ;   in Loop: Header=BB6_4858 Depth=2
	v_mov_b32_e32 v43, 0
	s_mov_b32 s40, exec_lo
	v_cmpx_ne_u32_e32 0, v5
	s_cbranch_execz .LBB6_5821
; %bb.5816:                             ;   in Loop: Header=BB6_4858 Depth=2
	v_bfe_u32 v7, v5, 23, 8
	v_and_b32_e32 v6, 0x7fffff, v5
	v_cmp_gt_u32_e64 s12, 0x79, v7
	v_sub_nc_u32_e32 v8, 0x78, v7
	v_cmp_eq_u32_e32 vcc_lo, 0, v7
	v_or_b32_e32 v9, 0x800000, v6
	v_cndmask_b32_e64 v8, 0, v8, s12
	v_cndmask_b32_e32 v6, v9, v6, vcc_lo
	v_cndmask_b32_e64 v8, v8, 0x77, vcc_lo
	v_lshl_add_u32 v9, 0x100000, v8, -1
	v_lshlrev_b32_e64 v32, v8, 0x80000
	v_and_b32_e32 v9, v9, v6
	v_cmp_eq_u32_e64 s12, v9, v32
	v_lshrrev_b32_e32 v9, v8, v6
	v_add_nc_u32_e32 v6, 0xffffff89, v7
	v_lshrrev_b32_e32 v7, 23, v9
	v_cndmask_b32_e64 v6, v6, 0xffffff8a, vcc_lo
	v_xor_b32_e32 v7, 1, v7
	v_add_nc_u32_e32 v6, v8, v6
	v_bfe_u32 v8, v9, 20, 1
	v_add_nc_u32_e32 v8, -1, v8
	v_cndmask_b32_e64 v8, 0, v8, s12
	s_mov_b32 s12, exec_lo
	v_add_nc_u32_e32 v8, v8, v9
	v_and_b32_e32 v8, 0xfffff, v8
	v_add_nc_u32_e32 v8, v8, v9
                                        ; implicit-def: $vgpr9
	v_cmpx_ne_u32_e64 v6, v7
	s_xor_b32 s12, exec_lo, s12
; %bb.5817:                             ;   in Loop: Header=BB6_4858 Depth=2
	v_cmp_lt_u32_e32 vcc_lo, 0xffffff, v8
	v_sub_nc_u32_e32 v6, v6, v7
	v_cndmask_b32_e64 v7, 0, 1, vcc_lo
	v_add_co_ci_u32_e64 v9, null, 0, v6, vcc_lo
	v_lshrrev_b32_e32 v8, v7, v8
; %bb.5818:                             ;   in Loop: Header=BB6_4858 Depth=2
	s_andn2_saveexec_b32 s12, s12
; %bb.5819:                             ;   in Loop: Header=BB6_4858 Depth=2
	v_bfe_u32 v9, v8, 23, 1
; %bb.5820:                             ;   in Loop: Header=BB6_4858 Depth=2
	s_or_b32 exec_lo, exec_lo, s12
	v_lshrrev_b32_e32 v6, 20, v8
	v_min_i32_e32 v7, 15, v9
	v_cmp_gt_i32_e32 vcc_lo, 16, v9
	v_and_b32_sdwa v5, v5, v102 dst_sel:DWORD dst_unused:UNUSED_PAD src0_sel:BYTE_3 src1_sel:DWORD
	v_lshlrev_b32_e32 v7, 3, v7
	v_cndmask_b32_e32 v6, 7, v6, vcc_lo
	v_and_b32_e32 v7, 0xf8, v7
	v_or_b32_e32 v8, v9, v6
	v_and_b32_e32 v6, 7, v6
	v_cmp_ne_u32_e32 vcc_lo, 0, v8
	v_or3_b32 v5, v7, v5, v6
	v_cndmask_b32_e32 v43, 0, v5, vcc_lo
.LBB6_5821:                             ;   in Loop: Header=BB6_4858 Depth=2
	s_or_b32 exec_lo, exec_lo, s40
.LBB6_5822:                             ;   in Loop: Header=BB6_4858 Depth=2
	s_or_b32 exec_lo, exec_lo, s29
	v_cmp_gt_i16_sdwa s12, v4, v101 src0_sel:BYTE_3 src1_sel:DWORD
	s_mov_b32 s29, 0
	s_and_saveexec_b32 s40, s12
	s_xor_b32 s12, exec_lo, s40
	s_cbranch_execz .LBB6_7180
; %bb.5823:                             ;   in Loop: Header=BB6_4858 Depth=2
	v_cmp_eq_u16_sdwa s41, v4, v102 src0_sel:BYTE_3 src1_sel:DWORD
	s_mov_b32 s29, -1
	s_and_saveexec_b32 s40, s41
; %bb.5824:                             ;   in Loop: Header=BB6_4858 Depth=2
	s_xor_b32 s29, exec_lo, -1
; %bb.5825:                             ;   in Loop: Header=BB6_4858 Depth=2
	s_or_b32 exec_lo, exec_lo, s40
	s_and_b32 s29, s29, exec_lo
	s_or_saveexec_b32 s12, s12
	v_mov_b32_e32 v5, 0x7f800001
	s_xor_b32 exec_lo, exec_lo, s12
	s_cbranch_execnz .LBB6_7181
.LBB6_5826:                             ;   in Loop: Header=BB6_4858 Depth=2
	s_or_b32 exec_lo, exec_lo, s12
	s_and_saveexec_b32 s12, s29
	s_cbranch_execz .LBB6_5828
.LBB6_5827:                             ;   in Loop: Header=BB6_4858 Depth=2
	v_bfe_u32 v5, v4, 24, 3
	v_bfe_u32 v8, v4, 27, 4
	v_ffbh_u32_e32 v6, v5
	v_cmp_eq_u32_e32 vcc_lo, 0, v8
	v_min_u32_e32 v6, 32, v6
	v_subrev_nc_u32_e32 v7, 28, v6
	v_sub_nc_u32_e32 v6, 29, v6
	v_lshlrev_b32_sdwa v7, v7, v4 dst_sel:DWORD dst_unused:UNUSED_PAD src0_sel:DWORD src1_sel:BYTE_3
	v_cndmask_b32_e32 v6, v8, v6, vcc_lo
	v_and_b32_e32 v4, 0x80000000, v4
	v_and_b32_e32 v7, 7, v7
	v_lshl_add_u32 v6, v6, 23, 0x3b800000
	v_cndmask_b32_e32 v5, v5, v7, vcc_lo
	v_lshlrev_b32_e32 v5, 20, v5
	v_or3_b32 v5, v4, v6, v5
.LBB6_5828:                             ;   in Loop: Header=BB6_4858 Depth=2
	s_or_b32 exec_lo, exec_lo, s12
	v_cmp_gt_i16_sdwa s12, v22, v101 src0_sel:BYTE_3 src1_sel:DWORD
	s_mov_b32 s29, 0
	s_and_saveexec_b32 s40, s12
	s_xor_b32 s12, exec_lo, s40
	s_cbranch_execz .LBB6_7182
; %bb.5829:                             ;   in Loop: Header=BB6_4858 Depth=2
	v_cmp_eq_u16_sdwa s41, v22, v102 src0_sel:BYTE_3 src1_sel:DWORD
	s_mov_b32 s29, -1
	s_and_saveexec_b32 s40, s41
; %bb.5830:                             ;   in Loop: Header=BB6_4858 Depth=2
	s_xor_b32 s29, exec_lo, -1
; %bb.5831:                             ;   in Loop: Header=BB6_4858 Depth=2
	s_or_b32 exec_lo, exec_lo, s40
	s_and_b32 s29, s29, exec_lo
	s_or_saveexec_b32 s12, s12
	v_mov_b32_e32 v4, 0x7f800001
	s_xor_b32 exec_lo, exec_lo, s12
	s_cbranch_execnz .LBB6_7183
.LBB6_5832:                             ;   in Loop: Header=BB6_4858 Depth=2
	s_or_b32 exec_lo, exec_lo, s12
	s_and_saveexec_b32 s12, s29
	s_cbranch_execz .LBB6_5834
.LBB6_5833:                             ;   in Loop: Header=BB6_4858 Depth=2
	v_bfe_u32 v4, v22, 24, 3
	v_bfe_u32 v8, v22, 27, 4
	v_ffbh_u32_e32 v6, v4
	v_cmp_eq_u32_e32 vcc_lo, 0, v8
	v_min_u32_e32 v6, 32, v6
	v_subrev_nc_u32_e32 v7, 28, v6
	v_sub_nc_u32_e32 v6, 29, v6
	v_lshlrev_b32_sdwa v7, v7, v22 dst_sel:DWORD dst_unused:UNUSED_PAD src0_sel:DWORD src1_sel:BYTE_3
	v_cndmask_b32_e32 v6, v8, v6, vcc_lo
	v_and_b32_e32 v7, 7, v7
	v_lshl_add_u32 v6, v6, 23, 0x3b800000
	v_cndmask_b32_e32 v4, v4, v7, vcc_lo
	v_and_b32_e32 v7, 0x80000000, v22
	v_lshlrev_b32_e32 v4, 20, v4
	v_or3_b32 v4, v7, v6, v4
.LBB6_5834:                             ;   in Loop: Header=BB6_4858 Depth=2
	s_or_b32 exec_lo, exec_lo, s12
	v_add_f32_e32 v4, v5, v4
	v_mov_b32_e32 v22, 0x8000
	s_mov_b32 s29, exec_lo
	v_and_b32_e32 v5, 0x7f800000, v4
	v_cmpx_ne_u32_e32 0x7f800000, v5
	s_cbranch_execz .LBB6_5842
; %bb.5835:                             ;   in Loop: Header=BB6_4858 Depth=2
	v_mov_b32_e32 v22, 0
	s_mov_b32 s40, exec_lo
	v_cmpx_ne_u32_e32 0, v4
	s_cbranch_execz .LBB6_5841
; %bb.5836:                             ;   in Loop: Header=BB6_4858 Depth=2
	v_bfe_u32 v6, v4, 23, 8
	v_and_b32_e32 v5, 0x7fffff, v4
	v_cmp_gt_u32_e64 s12, 0x79, v6
	v_sub_nc_u32_e32 v7, 0x78, v6
	v_cmp_eq_u32_e32 vcc_lo, 0, v6
	v_or_b32_e32 v8, 0x800000, v5
	v_cndmask_b32_e64 v7, 0, v7, s12
	v_cndmask_b32_e32 v5, v8, v5, vcc_lo
	v_cndmask_b32_e64 v7, v7, 0x77, vcc_lo
	v_lshl_add_u32 v8, 0x100000, v7, -1
	v_lshlrev_b32_e64 v9, v7, 0x80000
	v_and_b32_e32 v8, v8, v5
	v_cmp_eq_u32_e64 s12, v8, v9
	v_lshrrev_b32_e32 v8, v7, v5
	v_add_nc_u32_e32 v5, 0xffffff89, v6
	v_lshrrev_b32_e32 v6, 23, v8
	v_cndmask_b32_e64 v5, v5, 0xffffff8a, vcc_lo
	v_xor_b32_e32 v6, 1, v6
	v_add_nc_u32_e32 v5, v7, v5
	v_bfe_u32 v7, v8, 20, 1
	v_add_nc_u32_e32 v7, -1, v7
	v_cndmask_b32_e64 v7, 0, v7, s12
	s_mov_b32 s12, exec_lo
	v_add_nc_u32_e32 v7, v7, v8
	v_and_b32_e32 v7, 0xfffff, v7
	v_add_nc_u32_e32 v7, v7, v8
                                        ; implicit-def: $vgpr8
	v_cmpx_ne_u32_e64 v5, v6
	s_xor_b32 s12, exec_lo, s12
; %bb.5837:                             ;   in Loop: Header=BB6_4858 Depth=2
	v_cmp_lt_u32_e32 vcc_lo, 0xffffff, v7
	v_sub_nc_u32_e32 v5, v5, v6
	v_cndmask_b32_e64 v6, 0, 1, vcc_lo
	v_add_co_ci_u32_e64 v8, null, 0, v5, vcc_lo
	v_lshrrev_b32_e32 v7, v6, v7
; %bb.5838:                             ;   in Loop: Header=BB6_4858 Depth=2
	s_andn2_saveexec_b32 s12, s12
; %bb.5839:                             ;   in Loop: Header=BB6_4858 Depth=2
	v_bfe_u32 v8, v7, 23, 1
; %bb.5840:                             ;   in Loop: Header=BB6_4858 Depth=2
	s_or_b32 exec_lo, exec_lo, s12
	v_lshrrev_b32_e32 v5, 20, v7
	v_min_i32_e32 v6, 15, v8
	v_cmp_gt_i32_e32 vcc_lo, 16, v8
	v_and_b32_sdwa v4, v4, v102 dst_sel:DWORD dst_unused:UNUSED_PAD src0_sel:BYTE_3 src1_sel:DWORD
	v_lshlrev_b32_e32 v6, 3, v6
	v_cndmask_b32_e32 v5, 7, v5, vcc_lo
	v_and_b32_e32 v6, 0xf8, v6
	v_or_b32_e32 v7, v8, v5
	v_and_b32_e32 v5, 7, v5
	v_cmp_ne_u32_e32 vcc_lo, 0, v7
	v_or3_b32 v4, v4, v6, v5
	v_lshlrev_b32_e32 v4, 8, v4
	v_cndmask_b32_e32 v22, 0, v4, vcc_lo
.LBB6_5841:                             ;   in Loop: Header=BB6_4858 Depth=2
	s_or_b32 exec_lo, exec_lo, s40
.LBB6_5842:                             ;   in Loop: Header=BB6_4858 Depth=2
	s_or_b32 exec_lo, exec_lo, s29
	v_or_b32_e32 v4, v60, v57
	s_mov_b32 s29, 0
	v_cmp_gt_i16_sdwa s12, v4, v101 src0_sel:BYTE_0 src1_sel:DWORD
	s_and_saveexec_b32 s40, s12
	s_xor_b32 s12, exec_lo, s40
	s_cbranch_execz .LBB6_7184
; %bb.5843:                             ;   in Loop: Header=BB6_4858 Depth=2
	v_cmp_eq_u16_sdwa s41, v4, v102 src0_sel:BYTE_0 src1_sel:DWORD
	s_mov_b32 s29, -1
	s_and_saveexec_b32 s40, s41
; %bb.5844:                             ;   in Loop: Header=BB6_4858 Depth=2
	s_xor_b32 s29, exec_lo, -1
; %bb.5845:                             ;   in Loop: Header=BB6_4858 Depth=2
	s_or_b32 exec_lo, exec_lo, s40
	s_and_b32 s29, s29, exec_lo
	s_or_saveexec_b32 s12, s12
	v_mov_b32_e32 v5, 0x7f800001
	s_xor_b32 exec_lo, exec_lo, s12
	s_cbranch_execnz .LBB6_7185
.LBB6_5846:                             ;   in Loop: Header=BB6_4858 Depth=2
	s_or_b32 exec_lo, exec_lo, s12
	s_and_saveexec_b32 s12, s29
	s_cbranch_execz .LBB6_5848
.LBB6_5847:                             ;   in Loop: Header=BB6_4858 Depth=2
	v_and_b32_e32 v5, 7, v4
	v_bfe_u32 v6, v4, 3, 4
	v_ffbh_u32_e32 v7, v5
	v_cmp_eq_u32_e32 vcc_lo, 0, v6
	v_min_u32_e32 v7, 32, v7
	v_subrev_nc_u32_e32 v8, 28, v7
	v_sub_nc_u32_e32 v7, 29, v7
	v_lshlrev_b32_e32 v8, v8, v4
	v_cndmask_b32_e32 v6, v6, v7, vcc_lo
	v_lshlrev_b32_e32 v7, 24, v4
	v_and_b32_e32 v8, 7, v8
	v_lshl_add_u32 v6, v6, 23, 0x3b800000
	v_and_b32_e32 v7, 0x80000000, v7
	v_cndmask_b32_e32 v5, v5, v8, vcc_lo
	v_lshlrev_b32_e32 v5, 20, v5
	v_or3_b32 v5, v7, v6, v5
.LBB6_5848:                             ;   in Loop: Header=BB6_4858 Depth=2
	s_or_b32 exec_lo, exec_lo, s12
	v_cmp_gt_i16_sdwa s12, v23, v101 src0_sel:BYTE_0 src1_sel:DWORD
	s_mov_b32 s29, 0
	s_and_saveexec_b32 s40, s12
	s_xor_b32 s12, exec_lo, s40
	s_cbranch_execz .LBB6_7186
; %bb.5849:                             ;   in Loop: Header=BB6_4858 Depth=2
	v_cmp_eq_u16_sdwa s41, v23, v102 src0_sel:BYTE_0 src1_sel:DWORD
	s_mov_b32 s29, -1
	s_and_saveexec_b32 s40, s41
; %bb.5850:                             ;   in Loop: Header=BB6_4858 Depth=2
	s_xor_b32 s29, exec_lo, -1
; %bb.5851:                             ;   in Loop: Header=BB6_4858 Depth=2
	s_or_b32 exec_lo, exec_lo, s40
	s_and_b32 s29, s29, exec_lo
	s_or_saveexec_b32 s12, s12
	v_mov_b32_e32 v6, 0x7f800001
	s_xor_b32 exec_lo, exec_lo, s12
	s_cbranch_execnz .LBB6_7187
.LBB6_5852:                             ;   in Loop: Header=BB6_4858 Depth=2
	s_or_b32 exec_lo, exec_lo, s12
	s_and_saveexec_b32 s12, s29
	s_cbranch_execz .LBB6_5854
.LBB6_5853:                             ;   in Loop: Header=BB6_4858 Depth=2
	v_and_b32_e32 v6, 7, v23
	v_bfe_u32 v7, v23, 3, 4
	v_ffbh_u32_e32 v8, v6
	v_cmp_eq_u32_e32 vcc_lo, 0, v7
	v_min_u32_e32 v8, 32, v8
	v_subrev_nc_u32_e32 v9, 28, v8
	v_sub_nc_u32_e32 v8, 29, v8
	v_lshlrev_b32_e32 v9, v9, v23
	v_cndmask_b32_e32 v7, v7, v8, vcc_lo
	v_lshlrev_b32_e32 v8, 24, v23
	v_and_b32_e32 v9, 7, v9
	v_lshl_add_u32 v7, v7, 23, 0x3b800000
	v_and_b32_e32 v8, 0x80000000, v8
	v_cndmask_b32_e32 v6, v6, v9, vcc_lo
	v_lshlrev_b32_e32 v6, 20, v6
	v_or3_b32 v6, v8, v7, v6
.LBB6_5854:                             ;   in Loop: Header=BB6_4858 Depth=2
	s_or_b32 exec_lo, exec_lo, s12
	v_add_f32_e32 v5, v5, v6
	v_mov_b32_e32 v57, 0x80
	s_mov_b32 s29, exec_lo
	v_and_b32_e32 v6, 0x7f800000, v5
	v_cmpx_ne_u32_e32 0x7f800000, v6
	s_cbranch_execz .LBB6_5862
; %bb.5855:                             ;   in Loop: Header=BB6_4858 Depth=2
	v_mov_b32_e32 v57, 0
	s_mov_b32 s40, exec_lo
	v_cmpx_ne_u32_e32 0, v5
	s_cbranch_execz .LBB6_5861
; %bb.5856:                             ;   in Loop: Header=BB6_4858 Depth=2
	v_bfe_u32 v7, v5, 23, 8
	v_and_b32_e32 v6, 0x7fffff, v5
	v_cmp_gt_u32_e64 s12, 0x79, v7
	v_sub_nc_u32_e32 v8, 0x78, v7
	v_cmp_eq_u32_e32 vcc_lo, 0, v7
	v_or_b32_e32 v9, 0x800000, v6
	v_cndmask_b32_e64 v8, 0, v8, s12
	v_cndmask_b32_e32 v6, v9, v6, vcc_lo
	v_cndmask_b32_e64 v8, v8, 0x77, vcc_lo
	v_lshl_add_u32 v9, 0x100000, v8, -1
	v_lshlrev_b32_e64 v32, v8, 0x80000
	v_and_b32_e32 v9, v9, v6
	v_cmp_eq_u32_e64 s12, v9, v32
	v_lshrrev_b32_e32 v9, v8, v6
	v_add_nc_u32_e32 v6, 0xffffff89, v7
	v_lshrrev_b32_e32 v7, 23, v9
	v_cndmask_b32_e64 v6, v6, 0xffffff8a, vcc_lo
	v_xor_b32_e32 v7, 1, v7
	v_add_nc_u32_e32 v6, v8, v6
	v_bfe_u32 v8, v9, 20, 1
	v_add_nc_u32_e32 v8, -1, v8
	v_cndmask_b32_e64 v8, 0, v8, s12
	s_mov_b32 s12, exec_lo
	v_add_nc_u32_e32 v8, v8, v9
	v_and_b32_e32 v8, 0xfffff, v8
	v_add_nc_u32_e32 v8, v8, v9
                                        ; implicit-def: $vgpr9
	v_cmpx_ne_u32_e64 v6, v7
	s_xor_b32 s12, exec_lo, s12
; %bb.5857:                             ;   in Loop: Header=BB6_4858 Depth=2
	v_cmp_lt_u32_e32 vcc_lo, 0xffffff, v8
	v_sub_nc_u32_e32 v6, v6, v7
	v_cndmask_b32_e64 v7, 0, 1, vcc_lo
	v_add_co_ci_u32_e64 v9, null, 0, v6, vcc_lo
	v_lshrrev_b32_e32 v8, v7, v8
; %bb.5858:                             ;   in Loop: Header=BB6_4858 Depth=2
	s_andn2_saveexec_b32 s12, s12
; %bb.5859:                             ;   in Loop: Header=BB6_4858 Depth=2
	v_bfe_u32 v9, v8, 23, 1
; %bb.5860:                             ;   in Loop: Header=BB6_4858 Depth=2
	s_or_b32 exec_lo, exec_lo, s12
	v_lshrrev_b32_e32 v6, 20, v8
	v_min_i32_e32 v7, 15, v9
	v_cmp_gt_i32_e32 vcc_lo, 16, v9
	v_and_b32_sdwa v5, v5, v102 dst_sel:DWORD dst_unused:UNUSED_PAD src0_sel:BYTE_3 src1_sel:DWORD
	v_lshlrev_b32_e32 v7, 3, v7
	v_cndmask_b32_e32 v6, 7, v6, vcc_lo
	v_and_b32_e32 v7, 0xf8, v7
	v_or_b32_e32 v8, v9, v6
	v_and_b32_e32 v6, 7, v6
	v_cmp_ne_u32_e32 vcc_lo, 0, v8
	v_or3_b32 v5, v7, v5, v6
	v_cndmask_b32_e32 v57, 0, v5, vcc_lo
.LBB6_5861:                             ;   in Loop: Header=BB6_4858 Depth=2
	s_or_b32 exec_lo, exec_lo, s40
.LBB6_5862:                             ;   in Loop: Header=BB6_4858 Depth=2
	s_or_b32 exec_lo, exec_lo, s29
	v_cmp_gt_i16_sdwa s12, v4, v101 src0_sel:BYTE_1 src1_sel:DWORD
	s_mov_b32 s29, 0
	s_and_saveexec_b32 s40, s12
	s_xor_b32 s12, exec_lo, s40
	s_cbranch_execz .LBB6_7188
; %bb.5863:                             ;   in Loop: Header=BB6_4858 Depth=2
	v_cmp_eq_u16_sdwa s41, v4, v102 src0_sel:BYTE_1 src1_sel:DWORD
	s_mov_b32 s29, -1
	s_and_saveexec_b32 s40, s41
; %bb.5864:                             ;   in Loop: Header=BB6_4858 Depth=2
	s_xor_b32 s29, exec_lo, -1
; %bb.5865:                             ;   in Loop: Header=BB6_4858 Depth=2
	s_or_b32 exec_lo, exec_lo, s40
	s_and_b32 s29, s29, exec_lo
	s_or_saveexec_b32 s12, s12
	v_mov_b32_e32 v5, 0x7f800001
	s_xor_b32 exec_lo, exec_lo, s12
	s_cbranch_execnz .LBB6_7189
.LBB6_5866:                             ;   in Loop: Header=BB6_4858 Depth=2
	s_or_b32 exec_lo, exec_lo, s12
	s_and_saveexec_b32 s12, s29
	s_cbranch_execz .LBB6_5868
.LBB6_5867:                             ;   in Loop: Header=BB6_4858 Depth=2
	v_and_b32_sdwa v5, v103, v4 dst_sel:DWORD dst_unused:UNUSED_PAD src0_sel:DWORD src1_sel:BYTE_1
	v_and_b32_e32 v6, 7, v5
	v_bfe_u32 v9, v5, 3, 4
	v_ffbh_u32_e32 v7, v6
	v_cmp_eq_u32_e32 vcc_lo, 0, v9
	v_min_u32_e32 v7, 32, v7
	v_subrev_nc_u32_e32 v8, 28, v7
	v_sub_nc_u32_e32 v7, 29, v7
	v_lshlrev_b32_e32 v5, v8, v5
	v_lshlrev_b32_sdwa v8, v112, v4 dst_sel:DWORD dst_unused:UNUSED_PAD src0_sel:DWORD src1_sel:BYTE_1
	v_cndmask_b32_e32 v7, v9, v7, vcc_lo
	v_and_b32_e32 v5, 7, v5
	v_lshl_add_u32 v7, v7, 23, 0x3b800000
	v_cndmask_b32_e32 v5, v6, v5, vcc_lo
	v_and_b32_e32 v6, 0x80000000, v8
	v_lshlrev_b32_e32 v5, 20, v5
	v_or3_b32 v5, v6, v7, v5
.LBB6_5868:                             ;   in Loop: Header=BB6_4858 Depth=2
	s_or_b32 exec_lo, exec_lo, s12
	v_cmp_gt_i16_sdwa s12, v23, v101 src0_sel:BYTE_1 src1_sel:DWORD
	s_mov_b32 s29, 0
	s_and_saveexec_b32 s40, s12
	s_xor_b32 s12, exec_lo, s40
	s_cbranch_execz .LBB6_7190
; %bb.5869:                             ;   in Loop: Header=BB6_4858 Depth=2
	v_cmp_eq_u16_sdwa s41, v23, v102 src0_sel:BYTE_1 src1_sel:DWORD
	s_mov_b32 s29, -1
	s_and_saveexec_b32 s40, s41
; %bb.5870:                             ;   in Loop: Header=BB6_4858 Depth=2
	s_xor_b32 s29, exec_lo, -1
; %bb.5871:                             ;   in Loop: Header=BB6_4858 Depth=2
	s_or_b32 exec_lo, exec_lo, s40
	s_and_b32 s29, s29, exec_lo
	s_or_saveexec_b32 s12, s12
	v_mov_b32_e32 v6, 0x7f800001
	s_xor_b32 exec_lo, exec_lo, s12
	s_cbranch_execnz .LBB6_7191
.LBB6_5872:                             ;   in Loop: Header=BB6_4858 Depth=2
	s_or_b32 exec_lo, exec_lo, s12
	s_and_saveexec_b32 s12, s29
	s_cbranch_execz .LBB6_5874
.LBB6_5873:                             ;   in Loop: Header=BB6_4858 Depth=2
	v_and_b32_sdwa v6, v103, v23 dst_sel:DWORD dst_unused:UNUSED_PAD src0_sel:DWORD src1_sel:BYTE_1
	v_and_b32_e32 v7, 7, v6
	v_bfe_u32 v32, v6, 3, 4
	v_ffbh_u32_e32 v8, v7
	v_cmp_eq_u32_e32 vcc_lo, 0, v32
	v_min_u32_e32 v8, 32, v8
	v_subrev_nc_u32_e32 v9, 28, v8
	v_sub_nc_u32_e32 v8, 29, v8
	v_lshlrev_b32_e32 v6, v9, v6
	v_lshlrev_b32_sdwa v9, v112, v23 dst_sel:DWORD dst_unused:UNUSED_PAD src0_sel:DWORD src1_sel:BYTE_1
	v_cndmask_b32_e32 v8, v32, v8, vcc_lo
	v_and_b32_e32 v6, 7, v6
	v_lshl_add_u32 v8, v8, 23, 0x3b800000
	v_cndmask_b32_e32 v6, v7, v6, vcc_lo
	v_and_b32_e32 v7, 0x80000000, v9
	v_lshlrev_b32_e32 v6, 20, v6
	v_or3_b32 v6, v7, v8, v6
.LBB6_5874:                             ;   in Loop: Header=BB6_4858 Depth=2
	s_or_b32 exec_lo, exec_lo, s12
	v_add_f32_e32 v5, v5, v6
	v_mov_b32_e32 v60, 0x8000
	s_mov_b32 s29, exec_lo
	v_and_b32_e32 v6, 0x7f800000, v5
	v_cmpx_ne_u32_e32 0x7f800000, v6
	s_cbranch_execz .LBB6_5882
; %bb.5875:                             ;   in Loop: Header=BB6_4858 Depth=2
	v_mov_b32_e32 v60, 0
	s_mov_b32 s40, exec_lo
	v_cmpx_ne_u32_e32 0, v5
	s_cbranch_execz .LBB6_5881
; %bb.5876:                             ;   in Loop: Header=BB6_4858 Depth=2
	v_bfe_u32 v7, v5, 23, 8
	v_and_b32_e32 v6, 0x7fffff, v5
	v_cmp_gt_u32_e64 s12, 0x79, v7
	v_sub_nc_u32_e32 v8, 0x78, v7
	v_cmp_eq_u32_e32 vcc_lo, 0, v7
	v_or_b32_e32 v9, 0x800000, v6
	v_cndmask_b32_e64 v8, 0, v8, s12
	v_cndmask_b32_e32 v6, v9, v6, vcc_lo
	v_cndmask_b32_e64 v8, v8, 0x77, vcc_lo
	v_lshl_add_u32 v9, 0x100000, v8, -1
	v_lshlrev_b32_e64 v32, v8, 0x80000
	v_and_b32_e32 v9, v9, v6
	v_cmp_eq_u32_e64 s12, v9, v32
	v_lshrrev_b32_e32 v9, v8, v6
	v_add_nc_u32_e32 v6, 0xffffff89, v7
	v_lshrrev_b32_e32 v7, 23, v9
	v_cndmask_b32_e64 v6, v6, 0xffffff8a, vcc_lo
	v_xor_b32_e32 v7, 1, v7
	v_add_nc_u32_e32 v6, v8, v6
	v_bfe_u32 v8, v9, 20, 1
	v_add_nc_u32_e32 v8, -1, v8
	v_cndmask_b32_e64 v8, 0, v8, s12
	s_mov_b32 s12, exec_lo
	v_add_nc_u32_e32 v8, v8, v9
	v_and_b32_e32 v8, 0xfffff, v8
	v_add_nc_u32_e32 v8, v8, v9
                                        ; implicit-def: $vgpr9
	v_cmpx_ne_u32_e64 v6, v7
	s_xor_b32 s12, exec_lo, s12
; %bb.5877:                             ;   in Loop: Header=BB6_4858 Depth=2
	v_cmp_lt_u32_e32 vcc_lo, 0xffffff, v8
	v_sub_nc_u32_e32 v6, v6, v7
	v_cndmask_b32_e64 v7, 0, 1, vcc_lo
	v_add_co_ci_u32_e64 v9, null, 0, v6, vcc_lo
	v_lshrrev_b32_e32 v8, v7, v8
; %bb.5878:                             ;   in Loop: Header=BB6_4858 Depth=2
	s_andn2_saveexec_b32 s12, s12
; %bb.5879:                             ;   in Loop: Header=BB6_4858 Depth=2
	v_bfe_u32 v9, v8, 23, 1
; %bb.5880:                             ;   in Loop: Header=BB6_4858 Depth=2
	s_or_b32 exec_lo, exec_lo, s12
	v_lshrrev_b32_e32 v6, 20, v8
	v_min_i32_e32 v7, 15, v9
	v_cmp_gt_i32_e32 vcc_lo, 16, v9
	v_and_b32_sdwa v5, v5, v102 dst_sel:DWORD dst_unused:UNUSED_PAD src0_sel:BYTE_3 src1_sel:DWORD
	v_lshlrev_b32_e32 v7, 3, v7
	v_cndmask_b32_e32 v6, 7, v6, vcc_lo
	v_and_b32_e32 v7, 0xf8, v7
	v_or_b32_e32 v8, v9, v6
	v_and_b32_e32 v6, 7, v6
	v_cmp_ne_u32_e32 vcc_lo, 0, v8
	v_or3_b32 v5, v5, v7, v6
	v_lshlrev_b32_e32 v5, 8, v5
	v_cndmask_b32_e32 v60, 0, v5, vcc_lo
.LBB6_5881:                             ;   in Loop: Header=BB6_4858 Depth=2
	s_or_b32 exec_lo, exec_lo, s40
.LBB6_5882:                             ;   in Loop: Header=BB6_4858 Depth=2
	s_or_b32 exec_lo, exec_lo, s29
	v_or_b32_e32 v6, v35, v34
	s_mov_b32 s29, 0
	v_cmp_gt_i16_sdwa s12, v6, v101 src0_sel:BYTE_0 src1_sel:DWORD
	s_and_saveexec_b32 s40, s12
	s_xor_b32 s12, exec_lo, s40
	s_cbranch_execz .LBB6_7192
; %bb.5883:                             ;   in Loop: Header=BB6_4858 Depth=2
	v_cmp_eq_u16_sdwa s41, v6, v102 src0_sel:BYTE_0 src1_sel:DWORD
	s_mov_b32 s29, -1
	s_and_saveexec_b32 s40, s41
; %bb.5884:                             ;   in Loop: Header=BB6_4858 Depth=2
	s_xor_b32 s29, exec_lo, -1
; %bb.5885:                             ;   in Loop: Header=BB6_4858 Depth=2
	s_or_b32 exec_lo, exec_lo, s40
	s_and_b32 s29, s29, exec_lo
	s_or_saveexec_b32 s12, s12
	v_mov_b32_e32 v5, 0x7f800001
	s_xor_b32 exec_lo, exec_lo, s12
	s_cbranch_execnz .LBB6_7193
.LBB6_5886:                             ;   in Loop: Header=BB6_4858 Depth=2
	s_or_b32 exec_lo, exec_lo, s12
	v_lshl_or_b32 v4, v6, 16, v4
	s_and_saveexec_b32 s12, s29
	s_cbranch_execz .LBB6_5888
.LBB6_5887:                             ;   in Loop: Header=BB6_4858 Depth=2
	v_bfe_u32 v5, v4, 16, 3
	v_bfe_u32 v6, v4, 19, 4
	v_ffbh_u32_e32 v7, v5
	v_cmp_eq_u32_e32 vcc_lo, 0, v6
	v_min_u32_e32 v7, 32, v7
	v_subrev_nc_u32_e32 v8, 28, v7
	v_sub_nc_u32_e32 v7, 29, v7
	v_lshlrev_b32_sdwa v8, v8, v4 dst_sel:DWORD dst_unused:UNUSED_PAD src0_sel:DWORD src1_sel:WORD_1
	v_cndmask_b32_e32 v6, v6, v7, vcc_lo
	v_lshlrev_b32_e32 v7, 8, v4
	v_and_b32_e32 v8, 7, v8
	v_lshl_add_u32 v6, v6, 23, 0x3b800000
	v_and_b32_e32 v7, 0x80000000, v7
	v_cndmask_b32_e32 v5, v5, v8, vcc_lo
	v_lshlrev_b32_e32 v5, 20, v5
	v_or3_b32 v5, v7, v6, v5
.LBB6_5888:                             ;   in Loop: Header=BB6_4858 Depth=2
	s_or_b32 exec_lo, exec_lo, s12
	v_and_b32_sdwa v7, v23, v113 dst_sel:DWORD dst_unused:UNUSED_PAD src0_sel:WORD_1 src1_sel:DWORD
	s_mov_b32 s29, 0
	s_mov_b32 s12, exec_lo
	v_cmpx_lt_i16_e32 0x7f, v7
	s_xor_b32 s12, exec_lo, s12
	s_cbranch_execz .LBB6_7194
; %bb.5889:                             ;   in Loop: Header=BB6_4858 Depth=2
	s_mov_b32 s29, -1
	s_mov_b32 s40, exec_lo
	v_cmpx_eq_u16_e32 0x80, v7
; %bb.5890:                             ;   in Loop: Header=BB6_4858 Depth=2
	s_xor_b32 s29, exec_lo, -1
; %bb.5891:                             ;   in Loop: Header=BB6_4858 Depth=2
	s_or_b32 exec_lo, exec_lo, s40
	s_and_b32 s29, s29, exec_lo
                                        ; implicit-def: $vgpr7
	s_or_saveexec_b32 s12, s12
	v_mov_b32_e32 v6, 0x7f800001
	s_xor_b32 exec_lo, exec_lo, s12
	s_cbranch_execnz .LBB6_7195
.LBB6_5892:                             ;   in Loop: Header=BB6_4858 Depth=2
	s_or_b32 exec_lo, exec_lo, s12
	s_and_saveexec_b32 s12, s29
	s_cbranch_execz .LBB6_5894
.LBB6_5893:                             ;   in Loop: Header=BB6_4858 Depth=2
	v_bfe_u32 v6, v23, 16, 3
	v_bfe_u32 v7, v23, 19, 4
	v_ffbh_u32_e32 v8, v6
	v_cmp_eq_u32_e32 vcc_lo, 0, v7
	v_min_u32_e32 v8, 32, v8
	v_subrev_nc_u32_e32 v9, 28, v8
	v_sub_nc_u32_e32 v8, 29, v8
	v_lshlrev_b32_sdwa v9, v9, v23 dst_sel:DWORD dst_unused:UNUSED_PAD src0_sel:DWORD src1_sel:WORD_1
	v_cndmask_b32_e32 v7, v7, v8, vcc_lo
	v_lshlrev_b32_e32 v8, 8, v23
	v_and_b32_e32 v9, 7, v9
	v_lshl_add_u32 v7, v7, 23, 0x3b800000
	v_and_b32_e32 v8, 0x80000000, v8
	v_cndmask_b32_e32 v6, v6, v9, vcc_lo
	v_lshlrev_b32_e32 v6, 20, v6
	v_or3_b32 v6, v8, v7, v6
.LBB6_5894:                             ;   in Loop: Header=BB6_4858 Depth=2
	s_or_b32 exec_lo, exec_lo, s12
	v_add_f32_e32 v5, v5, v6
	v_mov_b32_e32 v63, 0x80
	s_mov_b32 s29, exec_lo
	v_and_b32_e32 v6, 0x7f800000, v5
	v_cmpx_ne_u32_e32 0x7f800000, v6
	s_cbranch_execz .LBB6_5902
; %bb.5895:                             ;   in Loop: Header=BB6_4858 Depth=2
	v_mov_b32_e32 v63, 0
	s_mov_b32 s40, exec_lo
	v_cmpx_ne_u32_e32 0, v5
	s_cbranch_execz .LBB6_5901
; %bb.5896:                             ;   in Loop: Header=BB6_4858 Depth=2
	v_bfe_u32 v7, v5, 23, 8
	v_and_b32_e32 v6, 0x7fffff, v5
	v_cmp_gt_u32_e64 s12, 0x79, v7
	v_sub_nc_u32_e32 v8, 0x78, v7
	v_cmp_eq_u32_e32 vcc_lo, 0, v7
	v_or_b32_e32 v9, 0x800000, v6
	v_cndmask_b32_e64 v8, 0, v8, s12
	v_cndmask_b32_e32 v6, v9, v6, vcc_lo
	v_cndmask_b32_e64 v8, v8, 0x77, vcc_lo
	v_lshl_add_u32 v9, 0x100000, v8, -1
	v_lshlrev_b32_e64 v32, v8, 0x80000
	v_and_b32_e32 v9, v9, v6
	v_cmp_eq_u32_e64 s12, v9, v32
	v_lshrrev_b32_e32 v9, v8, v6
	v_add_nc_u32_e32 v6, 0xffffff89, v7
	v_lshrrev_b32_e32 v7, 23, v9
	v_cndmask_b32_e64 v6, v6, 0xffffff8a, vcc_lo
	v_xor_b32_e32 v7, 1, v7
	v_add_nc_u32_e32 v6, v8, v6
	v_bfe_u32 v8, v9, 20, 1
	v_add_nc_u32_e32 v8, -1, v8
	v_cndmask_b32_e64 v8, 0, v8, s12
	s_mov_b32 s12, exec_lo
	v_add_nc_u32_e32 v8, v8, v9
	v_and_b32_e32 v8, 0xfffff, v8
	v_add_nc_u32_e32 v8, v8, v9
                                        ; implicit-def: $vgpr9
	v_cmpx_ne_u32_e64 v6, v7
	s_xor_b32 s12, exec_lo, s12
; %bb.5897:                             ;   in Loop: Header=BB6_4858 Depth=2
	v_cmp_lt_u32_e32 vcc_lo, 0xffffff, v8
	v_sub_nc_u32_e32 v6, v6, v7
	v_cndmask_b32_e64 v7, 0, 1, vcc_lo
	v_add_co_ci_u32_e64 v9, null, 0, v6, vcc_lo
	v_lshrrev_b32_e32 v8, v7, v8
; %bb.5898:                             ;   in Loop: Header=BB6_4858 Depth=2
	s_andn2_saveexec_b32 s12, s12
; %bb.5899:                             ;   in Loop: Header=BB6_4858 Depth=2
	v_bfe_u32 v9, v8, 23, 1
; %bb.5900:                             ;   in Loop: Header=BB6_4858 Depth=2
	s_or_b32 exec_lo, exec_lo, s12
	v_lshrrev_b32_e32 v6, 20, v8
	v_min_i32_e32 v7, 15, v9
	v_cmp_gt_i32_e32 vcc_lo, 16, v9
	v_and_b32_sdwa v5, v5, v102 dst_sel:DWORD dst_unused:UNUSED_PAD src0_sel:BYTE_3 src1_sel:DWORD
	v_lshlrev_b32_e32 v7, 3, v7
	v_cndmask_b32_e32 v6, 7, v6, vcc_lo
	v_and_b32_e32 v7, 0xf8, v7
	v_or_b32_e32 v8, v9, v6
	v_and_b32_e32 v6, 7, v6
	v_cmp_ne_u32_e32 vcc_lo, 0, v8
	v_or3_b32 v5, v7, v5, v6
	v_cndmask_b32_e32 v63, 0, v5, vcc_lo
.LBB6_5901:                             ;   in Loop: Header=BB6_4858 Depth=2
	s_or_b32 exec_lo, exec_lo, s40
.LBB6_5902:                             ;   in Loop: Header=BB6_4858 Depth=2
	s_or_b32 exec_lo, exec_lo, s29
	v_cmp_gt_i16_sdwa s12, v4, v101 src0_sel:BYTE_3 src1_sel:DWORD
	s_mov_b32 s29, 0
	s_and_saveexec_b32 s40, s12
	s_xor_b32 s12, exec_lo, s40
	s_cbranch_execz .LBB6_7196
; %bb.5903:                             ;   in Loop: Header=BB6_4858 Depth=2
	v_cmp_eq_u16_sdwa s41, v4, v102 src0_sel:BYTE_3 src1_sel:DWORD
	s_mov_b32 s29, -1
	s_and_saveexec_b32 s40, s41
; %bb.5904:                             ;   in Loop: Header=BB6_4858 Depth=2
	s_xor_b32 s29, exec_lo, -1
; %bb.5905:                             ;   in Loop: Header=BB6_4858 Depth=2
	s_or_b32 exec_lo, exec_lo, s40
	s_and_b32 s29, s29, exec_lo
	s_or_saveexec_b32 s12, s12
	v_mov_b32_e32 v5, 0x7f800001
	s_xor_b32 exec_lo, exec_lo, s12
	s_cbranch_execnz .LBB6_7197
.LBB6_5906:                             ;   in Loop: Header=BB6_4858 Depth=2
	s_or_b32 exec_lo, exec_lo, s12
	s_and_saveexec_b32 s12, s29
	s_cbranch_execz .LBB6_5908
.LBB6_5907:                             ;   in Loop: Header=BB6_4858 Depth=2
	v_bfe_u32 v5, v4, 24, 3
	v_bfe_u32 v8, v4, 27, 4
	v_ffbh_u32_e32 v6, v5
	v_cmp_eq_u32_e32 vcc_lo, 0, v8
	v_min_u32_e32 v6, 32, v6
	v_subrev_nc_u32_e32 v7, 28, v6
	v_sub_nc_u32_e32 v6, 29, v6
	v_lshlrev_b32_sdwa v7, v7, v4 dst_sel:DWORD dst_unused:UNUSED_PAD src0_sel:DWORD src1_sel:BYTE_3
	v_cndmask_b32_e32 v6, v8, v6, vcc_lo
	v_and_b32_e32 v4, 0x80000000, v4
	v_and_b32_e32 v7, 7, v7
	v_lshl_add_u32 v6, v6, 23, 0x3b800000
	v_cndmask_b32_e32 v5, v5, v7, vcc_lo
	v_lshlrev_b32_e32 v5, 20, v5
	v_or3_b32 v5, v4, v6, v5
.LBB6_5908:                             ;   in Loop: Header=BB6_4858 Depth=2
	s_or_b32 exec_lo, exec_lo, s12
	v_cmp_gt_i16_sdwa s12, v23, v101 src0_sel:BYTE_3 src1_sel:DWORD
	s_mov_b32 s29, 0
	s_and_saveexec_b32 s40, s12
	s_xor_b32 s12, exec_lo, s40
	s_cbranch_execz .LBB6_7198
; %bb.5909:                             ;   in Loop: Header=BB6_4858 Depth=2
	v_cmp_eq_u16_sdwa s41, v23, v102 src0_sel:BYTE_3 src1_sel:DWORD
	s_mov_b32 s29, -1
	s_and_saveexec_b32 s40, s41
; %bb.5910:                             ;   in Loop: Header=BB6_4858 Depth=2
	s_xor_b32 s29, exec_lo, -1
; %bb.5911:                             ;   in Loop: Header=BB6_4858 Depth=2
	s_or_b32 exec_lo, exec_lo, s40
	s_and_b32 s29, s29, exec_lo
	s_or_saveexec_b32 s12, s12
	v_mov_b32_e32 v4, 0x7f800001
	s_xor_b32 exec_lo, exec_lo, s12
	s_cbranch_execnz .LBB6_7199
.LBB6_5912:                             ;   in Loop: Header=BB6_4858 Depth=2
	s_or_b32 exec_lo, exec_lo, s12
	s_and_saveexec_b32 s12, s29
	s_cbranch_execz .LBB6_5914
.LBB6_5913:                             ;   in Loop: Header=BB6_4858 Depth=2
	v_bfe_u32 v4, v23, 24, 3
	v_bfe_u32 v8, v23, 27, 4
	v_ffbh_u32_e32 v6, v4
	v_cmp_eq_u32_e32 vcc_lo, 0, v8
	v_min_u32_e32 v6, 32, v6
	v_subrev_nc_u32_e32 v7, 28, v6
	v_sub_nc_u32_e32 v6, 29, v6
	v_lshlrev_b32_sdwa v7, v7, v23 dst_sel:DWORD dst_unused:UNUSED_PAD src0_sel:DWORD src1_sel:BYTE_3
	v_cndmask_b32_e32 v6, v8, v6, vcc_lo
	v_and_b32_e32 v7, 7, v7
	v_lshl_add_u32 v6, v6, 23, 0x3b800000
	v_cndmask_b32_e32 v4, v4, v7, vcc_lo
	v_and_b32_e32 v7, 0x80000000, v23
	v_lshlrev_b32_e32 v4, 20, v4
	v_or3_b32 v4, v7, v6, v4
.LBB6_5914:                             ;   in Loop: Header=BB6_4858 Depth=2
	s_or_b32 exec_lo, exec_lo, s12
	v_add_f32_e32 v4, v5, v4
	v_mov_b32_e32 v23, 0x8000
	s_mov_b32 s29, exec_lo
	v_and_b32_e32 v5, 0x7f800000, v4
	v_cmpx_ne_u32_e32 0x7f800000, v5
	s_cbranch_execz .LBB6_5922
; %bb.5915:                             ;   in Loop: Header=BB6_4858 Depth=2
	v_mov_b32_e32 v23, 0
	s_mov_b32 s40, exec_lo
	v_cmpx_ne_u32_e32 0, v4
	s_cbranch_execz .LBB6_5921
; %bb.5916:                             ;   in Loop: Header=BB6_4858 Depth=2
	v_bfe_u32 v6, v4, 23, 8
	v_and_b32_e32 v5, 0x7fffff, v4
	v_cmp_gt_u32_e64 s12, 0x79, v6
	v_sub_nc_u32_e32 v7, 0x78, v6
	v_cmp_eq_u32_e32 vcc_lo, 0, v6
	v_or_b32_e32 v8, 0x800000, v5
	v_cndmask_b32_e64 v7, 0, v7, s12
	v_cndmask_b32_e32 v5, v8, v5, vcc_lo
	v_cndmask_b32_e64 v7, v7, 0x77, vcc_lo
	v_lshl_add_u32 v8, 0x100000, v7, -1
	v_lshlrev_b32_e64 v9, v7, 0x80000
	v_and_b32_e32 v8, v8, v5
	v_cmp_eq_u32_e64 s12, v8, v9
	v_lshrrev_b32_e32 v8, v7, v5
	v_add_nc_u32_e32 v5, 0xffffff89, v6
	v_lshrrev_b32_e32 v6, 23, v8
	v_cndmask_b32_e64 v5, v5, 0xffffff8a, vcc_lo
	v_xor_b32_e32 v6, 1, v6
	v_add_nc_u32_e32 v5, v7, v5
	v_bfe_u32 v7, v8, 20, 1
	v_add_nc_u32_e32 v7, -1, v7
	v_cndmask_b32_e64 v7, 0, v7, s12
	s_mov_b32 s12, exec_lo
	v_add_nc_u32_e32 v7, v7, v8
	v_and_b32_e32 v7, 0xfffff, v7
	v_add_nc_u32_e32 v7, v7, v8
                                        ; implicit-def: $vgpr8
	v_cmpx_ne_u32_e64 v5, v6
	s_xor_b32 s12, exec_lo, s12
; %bb.5917:                             ;   in Loop: Header=BB6_4858 Depth=2
	v_cmp_lt_u32_e32 vcc_lo, 0xffffff, v7
	v_sub_nc_u32_e32 v5, v5, v6
	v_cndmask_b32_e64 v6, 0, 1, vcc_lo
	v_add_co_ci_u32_e64 v8, null, 0, v5, vcc_lo
	v_lshrrev_b32_e32 v7, v6, v7
; %bb.5918:                             ;   in Loop: Header=BB6_4858 Depth=2
	s_andn2_saveexec_b32 s12, s12
; %bb.5919:                             ;   in Loop: Header=BB6_4858 Depth=2
	v_bfe_u32 v8, v7, 23, 1
; %bb.5920:                             ;   in Loop: Header=BB6_4858 Depth=2
	s_or_b32 exec_lo, exec_lo, s12
	v_lshrrev_b32_e32 v5, 20, v7
	v_min_i32_e32 v6, 15, v8
	v_cmp_gt_i32_e32 vcc_lo, 16, v8
	v_and_b32_sdwa v4, v4, v102 dst_sel:DWORD dst_unused:UNUSED_PAD src0_sel:BYTE_3 src1_sel:DWORD
	v_lshlrev_b32_e32 v6, 3, v6
	v_cndmask_b32_e32 v5, 7, v5, vcc_lo
	v_and_b32_e32 v6, 0xf8, v6
	v_or_b32_e32 v7, v8, v5
	v_and_b32_e32 v5, 7, v5
	v_cmp_ne_u32_e32 vcc_lo, 0, v7
	v_or3_b32 v4, v4, v6, v5
	v_lshlrev_b32_e32 v4, 8, v4
	v_cndmask_b32_e32 v23, 0, v4, vcc_lo
.LBB6_5921:                             ;   in Loop: Header=BB6_4858 Depth=2
	s_or_b32 exec_lo, exec_lo, s40
.LBB6_5922:                             ;   in Loop: Header=BB6_4858 Depth=2
	s_or_b32 exec_lo, exec_lo, s29
	v_or_b32_e32 v1, v76, v1
	s_mov_b32 s29, 0
	v_cmp_gt_i16_sdwa s12, v1, v101 src0_sel:BYTE_0 src1_sel:DWORD
	s_and_saveexec_b32 s40, s12
	s_xor_b32 s12, exec_lo, s40
	s_cbranch_execz .LBB6_7200
; %bb.5923:                             ;   in Loop: Header=BB6_4858 Depth=2
	v_cmp_eq_u16_sdwa s41, v1, v102 src0_sel:BYTE_0 src1_sel:DWORD
	s_mov_b32 s29, -1
	s_and_saveexec_b32 s40, s41
; %bb.5924:                             ;   in Loop: Header=BB6_4858 Depth=2
	s_xor_b32 s29, exec_lo, -1
; %bb.5925:                             ;   in Loop: Header=BB6_4858 Depth=2
	s_or_b32 exec_lo, exec_lo, s40
	s_and_b32 s29, s29, exec_lo
	s_or_saveexec_b32 s12, s12
	v_mov_b32_e32 v4, 0x7f800001
	s_xor_b32 exec_lo, exec_lo, s12
	s_cbranch_execnz .LBB6_7201
.LBB6_5926:                             ;   in Loop: Header=BB6_4858 Depth=2
	s_or_b32 exec_lo, exec_lo, s12
	s_and_saveexec_b32 s12, s29
	s_cbranch_execz .LBB6_5928
.LBB6_5927:                             ;   in Loop: Header=BB6_4858 Depth=2
	v_and_b32_e32 v4, 7, v1
	v_bfe_u32 v5, v1, 3, 4
	v_ffbh_u32_e32 v6, v4
	v_cmp_eq_u32_e32 vcc_lo, 0, v5
	v_min_u32_e32 v6, 32, v6
	v_subrev_nc_u32_e32 v7, 28, v6
	v_sub_nc_u32_e32 v6, 29, v6
	v_lshlrev_b32_e32 v7, v7, v1
	v_cndmask_b32_e32 v5, v5, v6, vcc_lo
	v_lshlrev_b32_e32 v6, 24, v1
	v_and_b32_e32 v7, 7, v7
	v_lshl_add_u32 v5, v5, 23, 0x3b800000
	v_and_b32_e32 v6, 0x80000000, v6
	v_cndmask_b32_e32 v4, v4, v7, vcc_lo
	v_lshlrev_b32_e32 v4, 20, v4
	v_or3_b32 v4, v6, v5, v4
.LBB6_5928:                             ;   in Loop: Header=BB6_4858 Depth=2
	s_or_b32 exec_lo, exec_lo, s12
	v_cmp_gt_i16_sdwa s12, v24, v101 src0_sel:BYTE_0 src1_sel:DWORD
	s_mov_b32 s29, 0
	s_and_saveexec_b32 s40, s12
	s_xor_b32 s12, exec_lo, s40
	s_cbranch_execz .LBB6_7202
; %bb.5929:                             ;   in Loop: Header=BB6_4858 Depth=2
	v_cmp_eq_u16_sdwa s41, v24, v102 src0_sel:BYTE_0 src1_sel:DWORD
	s_mov_b32 s29, -1
	s_and_saveexec_b32 s40, s41
; %bb.5930:                             ;   in Loop: Header=BB6_4858 Depth=2
	s_xor_b32 s29, exec_lo, -1
; %bb.5931:                             ;   in Loop: Header=BB6_4858 Depth=2
	s_or_b32 exec_lo, exec_lo, s40
	s_and_b32 s29, s29, exec_lo
	s_or_saveexec_b32 s12, s12
	v_mov_b32_e32 v5, 0x7f800001
	s_xor_b32 exec_lo, exec_lo, s12
	s_cbranch_execnz .LBB6_7203
.LBB6_5932:                             ;   in Loop: Header=BB6_4858 Depth=2
	s_or_b32 exec_lo, exec_lo, s12
	s_and_saveexec_b32 s12, s29
	s_cbranch_execz .LBB6_5934
.LBB6_5933:                             ;   in Loop: Header=BB6_4858 Depth=2
	v_and_b32_e32 v5, 7, v24
	v_bfe_u32 v6, v24, 3, 4
	v_ffbh_u32_e32 v7, v5
	v_cmp_eq_u32_e32 vcc_lo, 0, v6
	v_min_u32_e32 v7, 32, v7
	v_subrev_nc_u32_e32 v8, 28, v7
	v_sub_nc_u32_e32 v7, 29, v7
	v_lshlrev_b32_e32 v8, v8, v24
	v_cndmask_b32_e32 v6, v6, v7, vcc_lo
	v_lshlrev_b32_e32 v7, 24, v24
	v_and_b32_e32 v8, 7, v8
	v_lshl_add_u32 v6, v6, 23, 0x3b800000
	v_and_b32_e32 v7, 0x80000000, v7
	v_cndmask_b32_e32 v5, v5, v8, vcc_lo
	v_lshlrev_b32_e32 v5, 20, v5
	v_or3_b32 v5, v7, v6, v5
.LBB6_5934:                             ;   in Loop: Header=BB6_4858 Depth=2
	s_or_b32 exec_lo, exec_lo, s12
	v_add_f32_e32 v4, v4, v5
	v_mov_b32_e32 v76, 0x80
	s_mov_b32 s29, exec_lo
	v_and_b32_e32 v5, 0x7f800000, v4
	v_cmpx_ne_u32_e32 0x7f800000, v5
	s_cbranch_execz .LBB6_5942
; %bb.5935:                             ;   in Loop: Header=BB6_4858 Depth=2
	v_mov_b32_e32 v76, 0
	s_mov_b32 s40, exec_lo
	v_cmpx_ne_u32_e32 0, v4
	s_cbranch_execz .LBB6_5941
; %bb.5936:                             ;   in Loop: Header=BB6_4858 Depth=2
	v_bfe_u32 v6, v4, 23, 8
	v_and_b32_e32 v5, 0x7fffff, v4
	v_cmp_gt_u32_e64 s12, 0x79, v6
	v_sub_nc_u32_e32 v7, 0x78, v6
	v_cmp_eq_u32_e32 vcc_lo, 0, v6
	v_or_b32_e32 v8, 0x800000, v5
	v_cndmask_b32_e64 v7, 0, v7, s12
	v_cndmask_b32_e32 v5, v8, v5, vcc_lo
	v_cndmask_b32_e64 v7, v7, 0x77, vcc_lo
	v_lshl_add_u32 v8, 0x100000, v7, -1
	v_lshlrev_b32_e64 v9, v7, 0x80000
	v_and_b32_e32 v8, v8, v5
	v_cmp_eq_u32_e64 s12, v8, v9
	v_lshrrev_b32_e32 v8, v7, v5
	v_add_nc_u32_e32 v5, 0xffffff89, v6
	v_lshrrev_b32_e32 v6, 23, v8
	v_cndmask_b32_e64 v5, v5, 0xffffff8a, vcc_lo
	v_xor_b32_e32 v6, 1, v6
	v_add_nc_u32_e32 v5, v7, v5
	v_bfe_u32 v7, v8, 20, 1
	v_add_nc_u32_e32 v7, -1, v7
	v_cndmask_b32_e64 v7, 0, v7, s12
	s_mov_b32 s12, exec_lo
	v_add_nc_u32_e32 v7, v7, v8
	v_and_b32_e32 v7, 0xfffff, v7
	v_add_nc_u32_e32 v7, v7, v8
                                        ; implicit-def: $vgpr8
	v_cmpx_ne_u32_e64 v5, v6
	s_xor_b32 s12, exec_lo, s12
; %bb.5937:                             ;   in Loop: Header=BB6_4858 Depth=2
	v_cmp_lt_u32_e32 vcc_lo, 0xffffff, v7
	v_sub_nc_u32_e32 v5, v5, v6
	v_cndmask_b32_e64 v6, 0, 1, vcc_lo
	v_add_co_ci_u32_e64 v8, null, 0, v5, vcc_lo
	v_lshrrev_b32_e32 v7, v6, v7
; %bb.5938:                             ;   in Loop: Header=BB6_4858 Depth=2
	s_andn2_saveexec_b32 s12, s12
; %bb.5939:                             ;   in Loop: Header=BB6_4858 Depth=2
	v_bfe_u32 v8, v7, 23, 1
; %bb.5940:                             ;   in Loop: Header=BB6_4858 Depth=2
	s_or_b32 exec_lo, exec_lo, s12
	v_lshrrev_b32_e32 v5, 20, v7
	v_min_i32_e32 v6, 15, v8
	v_cmp_gt_i32_e32 vcc_lo, 16, v8
	v_and_b32_sdwa v4, v4, v102 dst_sel:DWORD dst_unused:UNUSED_PAD src0_sel:BYTE_3 src1_sel:DWORD
	v_lshlrev_b32_e32 v6, 3, v6
	v_cndmask_b32_e32 v5, 7, v5, vcc_lo
	v_and_b32_e32 v6, 0xf8, v6
	v_or_b32_e32 v7, v8, v5
	v_and_b32_e32 v5, 7, v5
	v_cmp_ne_u32_e32 vcc_lo, 0, v7
	v_or3_b32 v4, v6, v4, v5
	v_cndmask_b32_e32 v76, 0, v4, vcc_lo
.LBB6_5941:                             ;   in Loop: Header=BB6_4858 Depth=2
	s_or_b32 exec_lo, exec_lo, s40
.LBB6_5942:                             ;   in Loop: Header=BB6_4858 Depth=2
	s_or_b32 exec_lo, exec_lo, s29
	v_cmp_gt_i16_sdwa s12, v1, v101 src0_sel:BYTE_1 src1_sel:DWORD
	s_mov_b32 s29, 0
	s_and_saveexec_b32 s40, s12
	s_xor_b32 s12, exec_lo, s40
	s_cbranch_execz .LBB6_7204
; %bb.5943:                             ;   in Loop: Header=BB6_4858 Depth=2
	v_cmp_eq_u16_sdwa s41, v1, v102 src0_sel:BYTE_1 src1_sel:DWORD
	s_mov_b32 s29, -1
	s_and_saveexec_b32 s40, s41
; %bb.5944:                             ;   in Loop: Header=BB6_4858 Depth=2
	s_xor_b32 s29, exec_lo, -1
; %bb.5945:                             ;   in Loop: Header=BB6_4858 Depth=2
	s_or_b32 exec_lo, exec_lo, s40
	s_and_b32 s29, s29, exec_lo
	s_or_saveexec_b32 s12, s12
	v_mov_b32_e32 v4, 0x7f800001
	s_xor_b32 exec_lo, exec_lo, s12
	s_cbranch_execnz .LBB6_7205
.LBB6_5946:                             ;   in Loop: Header=BB6_4858 Depth=2
	s_or_b32 exec_lo, exec_lo, s12
	s_and_saveexec_b32 s12, s29
	s_cbranch_execz .LBB6_5948
.LBB6_5947:                             ;   in Loop: Header=BB6_4858 Depth=2
	v_and_b32_sdwa v4, v103, v1 dst_sel:DWORD dst_unused:UNUSED_PAD src0_sel:DWORD src1_sel:BYTE_1
	v_and_b32_e32 v5, 7, v4
	v_bfe_u32 v8, v4, 3, 4
	v_ffbh_u32_e32 v6, v5
	v_cmp_eq_u32_e32 vcc_lo, 0, v8
	v_min_u32_e32 v6, 32, v6
	v_subrev_nc_u32_e32 v7, 28, v6
	v_sub_nc_u32_e32 v6, 29, v6
	v_lshlrev_b32_e32 v4, v7, v4
	v_lshlrev_b32_sdwa v7, v112, v1 dst_sel:DWORD dst_unused:UNUSED_PAD src0_sel:DWORD src1_sel:BYTE_1
	v_cndmask_b32_e32 v6, v8, v6, vcc_lo
	v_and_b32_e32 v4, 7, v4
	v_lshl_add_u32 v6, v6, 23, 0x3b800000
	v_cndmask_b32_e32 v4, v5, v4, vcc_lo
	v_and_b32_e32 v5, 0x80000000, v7
	v_lshlrev_b32_e32 v4, 20, v4
	v_or3_b32 v4, v5, v6, v4
.LBB6_5948:                             ;   in Loop: Header=BB6_4858 Depth=2
	s_or_b32 exec_lo, exec_lo, s12
	v_cmp_gt_i16_sdwa s12, v24, v101 src0_sel:BYTE_1 src1_sel:DWORD
	s_mov_b32 s29, 0
	s_and_saveexec_b32 s40, s12
	s_xor_b32 s12, exec_lo, s40
	s_cbranch_execz .LBB6_7206
; %bb.5949:                             ;   in Loop: Header=BB6_4858 Depth=2
	v_cmp_eq_u16_sdwa s41, v24, v102 src0_sel:BYTE_1 src1_sel:DWORD
	s_mov_b32 s29, -1
	s_and_saveexec_b32 s40, s41
; %bb.5950:                             ;   in Loop: Header=BB6_4858 Depth=2
	s_xor_b32 s29, exec_lo, -1
; %bb.5951:                             ;   in Loop: Header=BB6_4858 Depth=2
	s_or_b32 exec_lo, exec_lo, s40
	s_and_b32 s29, s29, exec_lo
	s_or_saveexec_b32 s12, s12
	v_mov_b32_e32 v5, 0x7f800001
	s_xor_b32 exec_lo, exec_lo, s12
	s_cbranch_execnz .LBB6_7207
.LBB6_5952:                             ;   in Loop: Header=BB6_4858 Depth=2
	s_or_b32 exec_lo, exec_lo, s12
	s_and_saveexec_b32 s12, s29
	s_cbranch_execz .LBB6_5954
.LBB6_5953:                             ;   in Loop: Header=BB6_4858 Depth=2
	v_and_b32_sdwa v5, v103, v24 dst_sel:DWORD dst_unused:UNUSED_PAD src0_sel:DWORD src1_sel:BYTE_1
	v_and_b32_e32 v6, 7, v5
	v_bfe_u32 v9, v5, 3, 4
	v_ffbh_u32_e32 v7, v6
	v_cmp_eq_u32_e32 vcc_lo, 0, v9
	v_min_u32_e32 v7, 32, v7
	v_subrev_nc_u32_e32 v8, 28, v7
	v_sub_nc_u32_e32 v7, 29, v7
	v_lshlrev_b32_e32 v5, v8, v5
	v_lshlrev_b32_sdwa v8, v112, v24 dst_sel:DWORD dst_unused:UNUSED_PAD src0_sel:DWORD src1_sel:BYTE_1
	v_cndmask_b32_e32 v7, v9, v7, vcc_lo
	v_and_b32_e32 v5, 7, v5
	v_lshl_add_u32 v7, v7, 23, 0x3b800000
	v_cndmask_b32_e32 v5, v6, v5, vcc_lo
	v_and_b32_e32 v6, 0x80000000, v8
	v_lshlrev_b32_e32 v5, 20, v5
	v_or3_b32 v5, v6, v7, v5
.LBB6_5954:                             ;   in Loop: Header=BB6_4858 Depth=2
	s_or_b32 exec_lo, exec_lo, s12
	v_add_f32_e32 v4, v4, v5
	v_mov_b32_e32 v79, 0x8000
	s_mov_b32 s29, exec_lo
	v_and_b32_e32 v5, 0x7f800000, v4
	v_cmpx_ne_u32_e32 0x7f800000, v5
	s_cbranch_execz .LBB6_5962
; %bb.5955:                             ;   in Loop: Header=BB6_4858 Depth=2
	v_mov_b32_e32 v79, 0
	s_mov_b32 s40, exec_lo
	v_cmpx_ne_u32_e32 0, v4
	s_cbranch_execz .LBB6_5961
; %bb.5956:                             ;   in Loop: Header=BB6_4858 Depth=2
	v_bfe_u32 v6, v4, 23, 8
	v_and_b32_e32 v5, 0x7fffff, v4
	v_cmp_gt_u32_e64 s12, 0x79, v6
	v_sub_nc_u32_e32 v7, 0x78, v6
	v_cmp_eq_u32_e32 vcc_lo, 0, v6
	v_or_b32_e32 v8, 0x800000, v5
	v_cndmask_b32_e64 v7, 0, v7, s12
	v_cndmask_b32_e32 v5, v8, v5, vcc_lo
	v_cndmask_b32_e64 v7, v7, 0x77, vcc_lo
	v_lshl_add_u32 v8, 0x100000, v7, -1
	v_lshlrev_b32_e64 v9, v7, 0x80000
	v_and_b32_e32 v8, v8, v5
	v_cmp_eq_u32_e64 s12, v8, v9
	v_lshrrev_b32_e32 v8, v7, v5
	v_add_nc_u32_e32 v5, 0xffffff89, v6
	v_lshrrev_b32_e32 v6, 23, v8
	v_cndmask_b32_e64 v5, v5, 0xffffff8a, vcc_lo
	v_xor_b32_e32 v6, 1, v6
	v_add_nc_u32_e32 v5, v7, v5
	v_bfe_u32 v7, v8, 20, 1
	v_add_nc_u32_e32 v7, -1, v7
	v_cndmask_b32_e64 v7, 0, v7, s12
	s_mov_b32 s12, exec_lo
	v_add_nc_u32_e32 v7, v7, v8
	v_and_b32_e32 v7, 0xfffff, v7
	v_add_nc_u32_e32 v7, v7, v8
                                        ; implicit-def: $vgpr8
	v_cmpx_ne_u32_e64 v5, v6
	s_xor_b32 s12, exec_lo, s12
; %bb.5957:                             ;   in Loop: Header=BB6_4858 Depth=2
	v_cmp_lt_u32_e32 vcc_lo, 0xffffff, v7
	v_sub_nc_u32_e32 v5, v5, v6
	v_cndmask_b32_e64 v6, 0, 1, vcc_lo
	v_add_co_ci_u32_e64 v8, null, 0, v5, vcc_lo
	v_lshrrev_b32_e32 v7, v6, v7
; %bb.5958:                             ;   in Loop: Header=BB6_4858 Depth=2
	s_andn2_saveexec_b32 s12, s12
; %bb.5959:                             ;   in Loop: Header=BB6_4858 Depth=2
	v_bfe_u32 v8, v7, 23, 1
; %bb.5960:                             ;   in Loop: Header=BB6_4858 Depth=2
	s_or_b32 exec_lo, exec_lo, s12
	v_lshrrev_b32_e32 v5, 20, v7
	v_min_i32_e32 v6, 15, v8
	v_cmp_gt_i32_e32 vcc_lo, 16, v8
	v_and_b32_sdwa v4, v4, v102 dst_sel:DWORD dst_unused:UNUSED_PAD src0_sel:BYTE_3 src1_sel:DWORD
	v_lshlrev_b32_e32 v6, 3, v6
	v_cndmask_b32_e32 v5, 7, v5, vcc_lo
	v_and_b32_e32 v6, 0xf8, v6
	v_or_b32_e32 v7, v8, v5
	v_and_b32_e32 v5, 7, v5
	v_cmp_ne_u32_e32 vcc_lo, 0, v7
	v_or3_b32 v4, v4, v6, v5
	v_lshlrev_b32_e32 v4, 8, v4
	v_cndmask_b32_e32 v79, 0, v4, vcc_lo
.LBB6_5961:                             ;   in Loop: Header=BB6_4858 Depth=2
	s_or_b32 exec_lo, exec_lo, s40
.LBB6_5962:                             ;   in Loop: Header=BB6_4858 Depth=2
	s_or_b32 exec_lo, exec_lo, s29
	v_or_b32_e32 v0, v0, v90
	s_mov_b32 s29, 0
	v_cmp_gt_i16_sdwa s12, v0, v101 src0_sel:BYTE_0 src1_sel:DWORD
	s_and_saveexec_b32 s40, s12
	s_xor_b32 s12, exec_lo, s40
	s_cbranch_execz .LBB6_7208
; %bb.5963:                             ;   in Loop: Header=BB6_4858 Depth=2
	v_cmp_eq_u16_sdwa s41, v0, v102 src0_sel:BYTE_0 src1_sel:DWORD
	s_mov_b32 s29, -1
	s_and_saveexec_b32 s40, s41
; %bb.5964:                             ;   in Loop: Header=BB6_4858 Depth=2
	s_xor_b32 s29, exec_lo, -1
; %bb.5965:                             ;   in Loop: Header=BB6_4858 Depth=2
	s_or_b32 exec_lo, exec_lo, s40
	s_and_b32 s29, s29, exec_lo
	s_or_saveexec_b32 s12, s12
	v_mov_b32_e32 v4, 0x7f800001
	s_xor_b32 exec_lo, exec_lo, s12
	s_cbranch_execnz .LBB6_7209
.LBB6_5966:                             ;   in Loop: Header=BB6_4858 Depth=2
	s_or_b32 exec_lo, exec_lo, s12
	v_lshl_or_b32 v0, v0, 16, v1
	s_and_saveexec_b32 s12, s29
	s_cbranch_execz .LBB6_5968
.LBB6_5967:                             ;   in Loop: Header=BB6_4858 Depth=2
	v_bfe_u32 v1, v0, 16, 3
	v_bfe_u32 v4, v0, 19, 4
	v_ffbh_u32_e32 v5, v1
	v_cmp_eq_u32_e32 vcc_lo, 0, v4
	v_min_u32_e32 v5, 32, v5
	v_subrev_nc_u32_e32 v6, 28, v5
	v_sub_nc_u32_e32 v5, 29, v5
	v_lshlrev_b32_sdwa v6, v6, v0 dst_sel:DWORD dst_unused:UNUSED_PAD src0_sel:DWORD src1_sel:WORD_1
	v_cndmask_b32_e32 v4, v4, v5, vcc_lo
	v_lshlrev_b32_e32 v5, 8, v0
	v_and_b32_e32 v6, 7, v6
	v_lshl_add_u32 v4, v4, 23, 0x3b800000
	v_and_b32_e32 v5, 0x80000000, v5
	v_cndmask_b32_e32 v1, v1, v6, vcc_lo
	v_lshlrev_b32_e32 v1, 20, v1
	v_or3_b32 v4, v5, v4, v1
.LBB6_5968:                             ;   in Loop: Header=BB6_4858 Depth=2
	s_or_b32 exec_lo, exec_lo, s12
	v_and_b32_sdwa v5, v24, v113 dst_sel:DWORD dst_unused:UNUSED_PAD src0_sel:WORD_1 src1_sel:DWORD
	s_mov_b32 s29, 0
	s_mov_b32 s12, exec_lo
	v_cmpx_lt_i16_e32 0x7f, v5
	s_xor_b32 s12, exec_lo, s12
	s_cbranch_execz .LBB6_7210
; %bb.5969:                             ;   in Loop: Header=BB6_4858 Depth=2
	s_mov_b32 s29, -1
	s_mov_b32 s40, exec_lo
	v_cmpx_eq_u16_e32 0x80, v5
; %bb.5970:                             ;   in Loop: Header=BB6_4858 Depth=2
	s_xor_b32 s29, exec_lo, -1
; %bb.5971:                             ;   in Loop: Header=BB6_4858 Depth=2
	s_or_b32 exec_lo, exec_lo, s40
	s_and_b32 s29, s29, exec_lo
                                        ; implicit-def: $vgpr5
	s_or_saveexec_b32 s12, s12
	v_mov_b32_e32 v1, 0x7f800001
	s_xor_b32 exec_lo, exec_lo, s12
	s_cbranch_execnz .LBB6_7211
.LBB6_5972:                             ;   in Loop: Header=BB6_4858 Depth=2
	s_or_b32 exec_lo, exec_lo, s12
	s_and_saveexec_b32 s12, s29
	s_cbranch_execz .LBB6_5974
.LBB6_5973:                             ;   in Loop: Header=BB6_4858 Depth=2
	v_bfe_u32 v1, v24, 16, 3
	v_bfe_u32 v5, v24, 19, 4
	v_ffbh_u32_e32 v6, v1
	v_cmp_eq_u32_e32 vcc_lo, 0, v5
	v_min_u32_e32 v6, 32, v6
	v_subrev_nc_u32_e32 v7, 28, v6
	v_sub_nc_u32_e32 v6, 29, v6
	v_lshlrev_b32_sdwa v7, v7, v24 dst_sel:DWORD dst_unused:UNUSED_PAD src0_sel:DWORD src1_sel:WORD_1
	v_cndmask_b32_e32 v5, v5, v6, vcc_lo
	v_lshlrev_b32_e32 v6, 8, v24
	v_and_b32_e32 v7, 7, v7
	v_lshl_add_u32 v5, v5, 23, 0x3b800000
	v_and_b32_e32 v6, 0x80000000, v6
	v_cndmask_b32_e32 v1, v1, v7, vcc_lo
	v_lshlrev_b32_e32 v1, 20, v1
	v_or3_b32 v1, v6, v5, v1
.LBB6_5974:                             ;   in Loop: Header=BB6_4858 Depth=2
	s_or_b32 exec_lo, exec_lo, s12
	v_add_f32_e32 v1, v4, v1
	v_mov_b32_e32 v90, 0x80
	s_mov_b32 s29, exec_lo
	v_and_b32_e32 v4, 0x7f800000, v1
	v_cmpx_ne_u32_e32 0x7f800000, v4
	s_cbranch_execz .LBB6_5982
; %bb.5975:                             ;   in Loop: Header=BB6_4858 Depth=2
	v_mov_b32_e32 v90, 0
	s_mov_b32 s40, exec_lo
	v_cmpx_ne_u32_e32 0, v1
	s_cbranch_execz .LBB6_5981
; %bb.5976:                             ;   in Loop: Header=BB6_4858 Depth=2
	v_bfe_u32 v5, v1, 23, 8
	v_and_b32_e32 v4, 0x7fffff, v1
	v_cmp_gt_u32_e64 s12, 0x79, v5
	v_sub_nc_u32_e32 v6, 0x78, v5
	v_cmp_eq_u32_e32 vcc_lo, 0, v5
	v_or_b32_e32 v7, 0x800000, v4
	v_cndmask_b32_e64 v6, 0, v6, s12
	v_cndmask_b32_e32 v4, v7, v4, vcc_lo
	v_cndmask_b32_e64 v6, v6, 0x77, vcc_lo
	v_lshl_add_u32 v7, 0x100000, v6, -1
	v_lshlrev_b32_e64 v8, v6, 0x80000
	v_and_b32_e32 v7, v7, v4
	v_cmp_eq_u32_e64 s12, v7, v8
	v_lshrrev_b32_e32 v7, v6, v4
	v_add_nc_u32_e32 v4, 0xffffff89, v5
	v_lshrrev_b32_e32 v5, 23, v7
	v_cndmask_b32_e64 v4, v4, 0xffffff8a, vcc_lo
	v_xor_b32_e32 v5, 1, v5
	v_add_nc_u32_e32 v4, v6, v4
	v_bfe_u32 v6, v7, 20, 1
	v_add_nc_u32_e32 v6, -1, v6
	v_cndmask_b32_e64 v6, 0, v6, s12
	s_mov_b32 s12, exec_lo
	v_add_nc_u32_e32 v6, v6, v7
	v_and_b32_e32 v6, 0xfffff, v6
	v_add_nc_u32_e32 v6, v6, v7
                                        ; implicit-def: $vgpr7
	v_cmpx_ne_u32_e64 v4, v5
	s_xor_b32 s12, exec_lo, s12
; %bb.5977:                             ;   in Loop: Header=BB6_4858 Depth=2
	v_cmp_lt_u32_e32 vcc_lo, 0xffffff, v6
	v_sub_nc_u32_e32 v4, v4, v5
	v_cndmask_b32_e64 v5, 0, 1, vcc_lo
	v_add_co_ci_u32_e64 v7, null, 0, v4, vcc_lo
	v_lshrrev_b32_e32 v6, v5, v6
; %bb.5978:                             ;   in Loop: Header=BB6_4858 Depth=2
	s_andn2_saveexec_b32 s12, s12
; %bb.5979:                             ;   in Loop: Header=BB6_4858 Depth=2
	v_bfe_u32 v7, v6, 23, 1
; %bb.5980:                             ;   in Loop: Header=BB6_4858 Depth=2
	s_or_b32 exec_lo, exec_lo, s12
	v_lshrrev_b32_e32 v4, 20, v6
	v_min_i32_e32 v5, 15, v7
	v_cmp_gt_i32_e32 vcc_lo, 16, v7
	v_and_b32_sdwa v1, v1, v102 dst_sel:DWORD dst_unused:UNUSED_PAD src0_sel:BYTE_3 src1_sel:DWORD
	v_lshlrev_b32_e32 v5, 3, v5
	v_cndmask_b32_e32 v4, 7, v4, vcc_lo
	v_and_b32_e32 v5, 0xf8, v5
	v_or_b32_e32 v6, v7, v4
	v_and_b32_e32 v4, 7, v4
	v_cmp_ne_u32_e32 vcc_lo, 0, v6
	v_or3_b32 v1, v5, v1, v4
	v_cndmask_b32_e32 v90, 0, v1, vcc_lo
.LBB6_5981:                             ;   in Loop: Header=BB6_4858 Depth=2
	s_or_b32 exec_lo, exec_lo, s40
.LBB6_5982:                             ;   in Loop: Header=BB6_4858 Depth=2
	s_or_b32 exec_lo, exec_lo, s29
	v_cmp_gt_i16_sdwa s12, v0, v101 src0_sel:BYTE_3 src1_sel:DWORD
	s_mov_b32 s29, 0
	s_and_saveexec_b32 s40, s12
	s_xor_b32 s12, exec_lo, s40
	s_cbranch_execz .LBB6_7212
; %bb.5983:                             ;   in Loop: Header=BB6_4858 Depth=2
	v_cmp_eq_u16_sdwa s41, v0, v102 src0_sel:BYTE_3 src1_sel:DWORD
	s_mov_b32 s29, -1
	s_and_saveexec_b32 s40, s41
; %bb.5984:                             ;   in Loop: Header=BB6_4858 Depth=2
	s_xor_b32 s29, exec_lo, -1
; %bb.5985:                             ;   in Loop: Header=BB6_4858 Depth=2
	s_or_b32 exec_lo, exec_lo, s40
	s_and_b32 s29, s29, exec_lo
	s_or_saveexec_b32 s12, s12
	v_mov_b32_e32 v1, 0x7f800001
	s_xor_b32 exec_lo, exec_lo, s12
	s_cbranch_execnz .LBB6_7213
.LBB6_5986:                             ;   in Loop: Header=BB6_4858 Depth=2
	s_or_b32 exec_lo, exec_lo, s12
	s_and_saveexec_b32 s12, s29
	s_cbranch_execz .LBB6_5988
.LBB6_5987:                             ;   in Loop: Header=BB6_4858 Depth=2
	v_bfe_u32 v1, v0, 24, 3
	v_bfe_u32 v6, v0, 27, 4
	v_ffbh_u32_e32 v4, v1
	v_cmp_eq_u32_e32 vcc_lo, 0, v6
	v_min_u32_e32 v4, 32, v4
	v_subrev_nc_u32_e32 v5, 28, v4
	v_sub_nc_u32_e32 v4, 29, v4
	v_lshlrev_b32_sdwa v5, v5, v0 dst_sel:DWORD dst_unused:UNUSED_PAD src0_sel:DWORD src1_sel:BYTE_3
	v_cndmask_b32_e32 v4, v6, v4, vcc_lo
	v_and_b32_e32 v0, 0x80000000, v0
	v_and_b32_e32 v5, 7, v5
	v_lshl_add_u32 v4, v4, 23, 0x3b800000
	v_cndmask_b32_e32 v1, v1, v5, vcc_lo
	v_lshlrev_b32_e32 v1, 20, v1
	v_or3_b32 v1, v0, v4, v1
.LBB6_5988:                             ;   in Loop: Header=BB6_4858 Depth=2
	s_or_b32 exec_lo, exec_lo, s12
	v_cmp_gt_i16_sdwa s12, v24, v101 src0_sel:BYTE_3 src1_sel:DWORD
	s_mov_b32 s29, 0
	s_and_saveexec_b32 s40, s12
	s_xor_b32 s12, exec_lo, s40
	s_cbranch_execz .LBB6_7214
; %bb.5989:                             ;   in Loop: Header=BB6_4858 Depth=2
	v_cmp_eq_u16_sdwa s41, v24, v102 src0_sel:BYTE_3 src1_sel:DWORD
	s_mov_b32 s29, -1
	s_and_saveexec_b32 s40, s41
; %bb.5990:                             ;   in Loop: Header=BB6_4858 Depth=2
	s_xor_b32 s29, exec_lo, -1
; %bb.5991:                             ;   in Loop: Header=BB6_4858 Depth=2
	s_or_b32 exec_lo, exec_lo, s40
	s_and_b32 s29, s29, exec_lo
	s_or_saveexec_b32 s12, s12
	v_mov_b32_e32 v0, 0x7f800001
	s_xor_b32 exec_lo, exec_lo, s12
	s_cbranch_execnz .LBB6_7215
.LBB6_5992:                             ;   in Loop: Header=BB6_4858 Depth=2
	s_or_b32 exec_lo, exec_lo, s12
	s_and_saveexec_b32 s12, s29
	s_cbranch_execz .LBB6_5994
.LBB6_5993:                             ;   in Loop: Header=BB6_4858 Depth=2
	v_bfe_u32 v0, v24, 24, 3
	v_bfe_u32 v6, v24, 27, 4
	v_ffbh_u32_e32 v4, v0
	v_cmp_eq_u32_e32 vcc_lo, 0, v6
	v_min_u32_e32 v4, 32, v4
	v_subrev_nc_u32_e32 v5, 28, v4
	v_sub_nc_u32_e32 v4, 29, v4
	v_lshlrev_b32_sdwa v5, v5, v24 dst_sel:DWORD dst_unused:UNUSED_PAD src0_sel:DWORD src1_sel:BYTE_3
	v_cndmask_b32_e32 v4, v6, v4, vcc_lo
	v_and_b32_e32 v5, 7, v5
	v_lshl_add_u32 v4, v4, 23, 0x3b800000
	v_cndmask_b32_e32 v0, v0, v5, vcc_lo
	v_and_b32_e32 v5, 0x80000000, v24
	v_lshlrev_b32_e32 v0, 20, v0
	v_or3_b32 v0, v5, v4, v0
.LBB6_5994:                             ;   in Loop: Header=BB6_4858 Depth=2
	s_or_b32 exec_lo, exec_lo, s12
	v_add_f32_e32 v0, v1, v0
	v_mov_b32_e32 v24, 0x8000
	s_mov_b32 s29, exec_lo
	v_and_b32_e32 v1, 0x7f800000, v0
	v_cmpx_ne_u32_e32 0x7f800000, v1
	s_cbranch_execz .LBB6_6002
; %bb.5995:                             ;   in Loop: Header=BB6_4858 Depth=2
	v_mov_b32_e32 v24, 0
	s_mov_b32 s40, exec_lo
	v_cmpx_ne_u32_e32 0, v0
	s_cbranch_execz .LBB6_6001
; %bb.5996:                             ;   in Loop: Header=BB6_4858 Depth=2
	v_bfe_u32 v4, v0, 23, 8
	v_and_b32_e32 v1, 0x7fffff, v0
	v_cmp_gt_u32_e64 s12, 0x79, v4
	v_sub_nc_u32_e32 v5, 0x78, v4
	v_cmp_eq_u32_e32 vcc_lo, 0, v4
	v_or_b32_e32 v6, 0x800000, v1
	v_cndmask_b32_e64 v5, 0, v5, s12
	v_cndmask_b32_e32 v1, v6, v1, vcc_lo
	v_cndmask_b32_e64 v5, v5, 0x77, vcc_lo
	v_lshl_add_u32 v6, 0x100000, v5, -1
	v_lshlrev_b32_e64 v7, v5, 0x80000
	v_and_b32_e32 v6, v6, v1
	v_cmp_eq_u32_e64 s12, v6, v7
	v_lshrrev_b32_e32 v6, v5, v1
	v_add_nc_u32_e32 v1, 0xffffff89, v4
	v_lshrrev_b32_e32 v4, 23, v6
	v_cndmask_b32_e64 v1, v1, 0xffffff8a, vcc_lo
	v_xor_b32_e32 v4, 1, v4
	v_add_nc_u32_e32 v1, v5, v1
	v_bfe_u32 v5, v6, 20, 1
	v_add_nc_u32_e32 v5, -1, v5
	v_cndmask_b32_e64 v5, 0, v5, s12
	s_mov_b32 s12, exec_lo
	v_add_nc_u32_e32 v5, v5, v6
	v_and_b32_e32 v5, 0xfffff, v5
	v_add_nc_u32_e32 v5, v5, v6
                                        ; implicit-def: $vgpr6
	v_cmpx_ne_u32_e64 v1, v4
	s_xor_b32 s12, exec_lo, s12
; %bb.5997:                             ;   in Loop: Header=BB6_4858 Depth=2
	v_cmp_lt_u32_e32 vcc_lo, 0xffffff, v5
	v_sub_nc_u32_e32 v1, v1, v4
	v_cndmask_b32_e64 v4, 0, 1, vcc_lo
	v_add_co_ci_u32_e64 v6, null, 0, v1, vcc_lo
	v_lshrrev_b32_e32 v5, v4, v5
; %bb.5998:                             ;   in Loop: Header=BB6_4858 Depth=2
	s_andn2_saveexec_b32 s12, s12
; %bb.5999:                             ;   in Loop: Header=BB6_4858 Depth=2
	v_bfe_u32 v6, v5, 23, 1
; %bb.6000:                             ;   in Loop: Header=BB6_4858 Depth=2
	s_or_b32 exec_lo, exec_lo, s12
	v_lshrrev_b32_e32 v1, 20, v5
	v_min_i32_e32 v4, 15, v6
	v_cmp_gt_i32_e32 vcc_lo, 16, v6
	v_and_b32_sdwa v0, v0, v102 dst_sel:DWORD dst_unused:UNUSED_PAD src0_sel:BYTE_3 src1_sel:DWORD
	v_lshlrev_b32_e32 v4, 3, v4
	v_cndmask_b32_e32 v1, 7, v1, vcc_lo
	v_and_b32_e32 v4, 0xf8, v4
	v_or_b32_e32 v5, v6, v1
	v_and_b32_e32 v1, 7, v1
	v_cmp_ne_u32_e32 vcc_lo, 0, v5
	v_or3_b32 v0, v0, v4, v1
	v_lshlrev_b32_e32 v0, 8, v0
	v_cndmask_b32_e32 v24, 0, v0, vcc_lo
.LBB6_6001:                             ;   in Loop: Header=BB6_4858 Depth=2
	s_or_b32 exec_lo, exec_lo, s40
.LBB6_6002:                             ;   in Loop: Header=BB6_4858 Depth=2
	s_or_b32 exec_lo, exec_lo, s29
	v_or_b32_e32 v0, v27, v26
	s_mov_b32 s29, 0
	v_cmp_gt_i16_sdwa s12, v0, v101 src0_sel:BYTE_0 src1_sel:DWORD
	s_and_saveexec_b32 s40, s12
	s_xor_b32 s12, exec_lo, s40
	s_cbranch_execz .LBB6_7216
; %bb.6003:                             ;   in Loop: Header=BB6_4858 Depth=2
	v_cmp_eq_u16_sdwa s41, v0, v102 src0_sel:BYTE_0 src1_sel:DWORD
	s_mov_b32 s29, -1
	s_and_saveexec_b32 s40, s41
; %bb.6004:                             ;   in Loop: Header=BB6_4858 Depth=2
	s_xor_b32 s29, exec_lo, -1
; %bb.6005:                             ;   in Loop: Header=BB6_4858 Depth=2
	s_or_b32 exec_lo, exec_lo, s40
	s_and_b32 s29, s29, exec_lo
	s_or_saveexec_b32 s12, s12
	v_mov_b32_e32 v1, 0x7f800001
	s_xor_b32 exec_lo, exec_lo, s12
	s_cbranch_execnz .LBB6_7217
.LBB6_6006:                             ;   in Loop: Header=BB6_4858 Depth=2
	s_or_b32 exec_lo, exec_lo, s12
	s_and_saveexec_b32 s12, s29
	s_cbranch_execz .LBB6_6008
.LBB6_6007:                             ;   in Loop: Header=BB6_4858 Depth=2
	v_and_b32_e32 v1, 7, v0
	v_bfe_u32 v4, v0, 3, 4
	v_ffbh_u32_e32 v5, v1
	v_cmp_eq_u32_e32 vcc_lo, 0, v4
	v_min_u32_e32 v5, 32, v5
	v_subrev_nc_u32_e32 v6, 28, v5
	v_sub_nc_u32_e32 v5, 29, v5
	v_lshlrev_b32_e32 v6, v6, v0
	v_cndmask_b32_e32 v4, v4, v5, vcc_lo
	v_lshlrev_b32_e32 v5, 24, v0
	v_and_b32_e32 v6, 7, v6
	v_lshl_add_u32 v4, v4, 23, 0x3b800000
	v_and_b32_e32 v5, 0x80000000, v5
	v_cndmask_b32_e32 v1, v1, v6, vcc_lo
	v_lshlrev_b32_e32 v1, 20, v1
	v_or3_b32 v1, v5, v4, v1
.LBB6_6008:                             ;   in Loop: Header=BB6_4858 Depth=2
	s_or_b32 exec_lo, exec_lo, s12
	v_cmp_gt_i16_sdwa s12, v25, v101 src0_sel:BYTE_0 src1_sel:DWORD
	s_mov_b32 s29, 0
	s_and_saveexec_b32 s40, s12
	s_xor_b32 s12, exec_lo, s40
	s_cbranch_execz .LBB6_7218
; %bb.6009:                             ;   in Loop: Header=BB6_4858 Depth=2
	v_cmp_eq_u16_sdwa s41, v25, v102 src0_sel:BYTE_0 src1_sel:DWORD
	s_mov_b32 s29, -1
	s_and_saveexec_b32 s40, s41
; %bb.6010:                             ;   in Loop: Header=BB6_4858 Depth=2
	s_xor_b32 s29, exec_lo, -1
; %bb.6011:                             ;   in Loop: Header=BB6_4858 Depth=2
	s_or_b32 exec_lo, exec_lo, s40
	s_and_b32 s29, s29, exec_lo
	s_or_saveexec_b32 s12, s12
	v_mov_b32_e32 v4, 0x7f800001
	s_xor_b32 exec_lo, exec_lo, s12
	s_cbranch_execnz .LBB6_7219
.LBB6_6012:                             ;   in Loop: Header=BB6_4858 Depth=2
	s_or_b32 exec_lo, exec_lo, s12
	s_and_saveexec_b32 s12, s29
	s_cbranch_execz .LBB6_6014
.LBB6_6013:                             ;   in Loop: Header=BB6_4858 Depth=2
	v_and_b32_e32 v4, 7, v25
	v_bfe_u32 v5, v25, 3, 4
	v_ffbh_u32_e32 v6, v4
	v_cmp_eq_u32_e32 vcc_lo, 0, v5
	v_min_u32_e32 v6, 32, v6
	v_subrev_nc_u32_e32 v7, 28, v6
	v_sub_nc_u32_e32 v6, 29, v6
	v_lshlrev_b32_e32 v7, v7, v25
	v_cndmask_b32_e32 v5, v5, v6, vcc_lo
	v_lshlrev_b32_e32 v6, 24, v25
	v_and_b32_e32 v7, 7, v7
	v_lshl_add_u32 v5, v5, 23, 0x3b800000
	v_and_b32_e32 v6, 0x80000000, v6
	v_cndmask_b32_e32 v4, v4, v7, vcc_lo
	v_lshlrev_b32_e32 v4, 20, v4
	v_or3_b32 v4, v6, v5, v4
.LBB6_6014:                             ;   in Loop: Header=BB6_4858 Depth=2
	s_or_b32 exec_lo, exec_lo, s12
	v_add_f32_e32 v1, v1, v4
	v_mov_b32_e32 v95, 0x80
	s_mov_b32 s29, exec_lo
	v_and_b32_e32 v4, 0x7f800000, v1
	v_cmpx_ne_u32_e32 0x7f800000, v4
	s_cbranch_execz .LBB6_6022
; %bb.6015:                             ;   in Loop: Header=BB6_4858 Depth=2
	v_mov_b32_e32 v95, 0
	s_mov_b32 s40, exec_lo
	v_cmpx_ne_u32_e32 0, v1
	s_cbranch_execz .LBB6_6021
; %bb.6016:                             ;   in Loop: Header=BB6_4858 Depth=2
	v_bfe_u32 v5, v1, 23, 8
	v_and_b32_e32 v4, 0x7fffff, v1
	v_cmp_gt_u32_e64 s12, 0x79, v5
	v_sub_nc_u32_e32 v6, 0x78, v5
	v_cmp_eq_u32_e32 vcc_lo, 0, v5
	v_or_b32_e32 v7, 0x800000, v4
	v_cndmask_b32_e64 v6, 0, v6, s12
	v_cndmask_b32_e32 v4, v7, v4, vcc_lo
	v_cndmask_b32_e64 v6, v6, 0x77, vcc_lo
	v_lshl_add_u32 v7, 0x100000, v6, -1
	v_lshlrev_b32_e64 v8, v6, 0x80000
	v_and_b32_e32 v7, v7, v4
	v_cmp_eq_u32_e64 s12, v7, v8
	v_lshrrev_b32_e32 v7, v6, v4
	v_add_nc_u32_e32 v4, 0xffffff89, v5
	v_lshrrev_b32_e32 v5, 23, v7
	v_cndmask_b32_e64 v4, v4, 0xffffff8a, vcc_lo
	v_xor_b32_e32 v5, 1, v5
	v_add_nc_u32_e32 v4, v6, v4
	v_bfe_u32 v6, v7, 20, 1
	v_add_nc_u32_e32 v6, -1, v6
	v_cndmask_b32_e64 v6, 0, v6, s12
	s_mov_b32 s12, exec_lo
	v_add_nc_u32_e32 v6, v6, v7
	v_and_b32_e32 v6, 0xfffff, v6
	v_add_nc_u32_e32 v6, v6, v7
                                        ; implicit-def: $vgpr7
	v_cmpx_ne_u32_e64 v4, v5
	s_xor_b32 s12, exec_lo, s12
; %bb.6017:                             ;   in Loop: Header=BB6_4858 Depth=2
	v_cmp_lt_u32_e32 vcc_lo, 0xffffff, v6
	v_sub_nc_u32_e32 v4, v4, v5
	v_cndmask_b32_e64 v5, 0, 1, vcc_lo
	v_add_co_ci_u32_e64 v7, null, 0, v4, vcc_lo
	v_lshrrev_b32_e32 v6, v5, v6
; %bb.6018:                             ;   in Loop: Header=BB6_4858 Depth=2
	s_andn2_saveexec_b32 s12, s12
; %bb.6019:                             ;   in Loop: Header=BB6_4858 Depth=2
	v_bfe_u32 v7, v6, 23, 1
; %bb.6020:                             ;   in Loop: Header=BB6_4858 Depth=2
	s_or_b32 exec_lo, exec_lo, s12
	v_lshrrev_b32_e32 v4, 20, v6
	v_min_i32_e32 v5, 15, v7
	v_cmp_gt_i32_e32 vcc_lo, 16, v7
	v_and_b32_sdwa v1, v1, v102 dst_sel:DWORD dst_unused:UNUSED_PAD src0_sel:BYTE_3 src1_sel:DWORD
	v_lshlrev_b32_e32 v5, 3, v5
	v_cndmask_b32_e32 v4, 7, v4, vcc_lo
	v_and_b32_e32 v5, 0xf8, v5
	v_or_b32_e32 v6, v7, v4
	v_and_b32_e32 v4, 7, v4
	v_cmp_ne_u32_e32 vcc_lo, 0, v6
	v_or3_b32 v1, v5, v1, v4
	v_cndmask_b32_e32 v95, 0, v1, vcc_lo
.LBB6_6021:                             ;   in Loop: Header=BB6_4858 Depth=2
	s_or_b32 exec_lo, exec_lo, s40
.LBB6_6022:                             ;   in Loop: Header=BB6_4858 Depth=2
	s_or_b32 exec_lo, exec_lo, s29
	v_cmp_gt_i16_sdwa s12, v0, v101 src0_sel:BYTE_1 src1_sel:DWORD
	s_mov_b32 s29, 0
	s_and_saveexec_b32 s40, s12
	s_xor_b32 s12, exec_lo, s40
	s_cbranch_execz .LBB6_7220
; %bb.6023:                             ;   in Loop: Header=BB6_4858 Depth=2
	v_cmp_eq_u16_sdwa s41, v0, v102 src0_sel:BYTE_1 src1_sel:DWORD
	s_mov_b32 s29, -1
	s_and_saveexec_b32 s40, s41
; %bb.6024:                             ;   in Loop: Header=BB6_4858 Depth=2
	s_xor_b32 s29, exec_lo, -1
; %bb.6025:                             ;   in Loop: Header=BB6_4858 Depth=2
	s_or_b32 exec_lo, exec_lo, s40
	s_and_b32 s29, s29, exec_lo
	s_or_saveexec_b32 s12, s12
	v_mov_b32_e32 v1, 0x7f800001
	s_xor_b32 exec_lo, exec_lo, s12
	s_cbranch_execnz .LBB6_7221
.LBB6_6026:                             ;   in Loop: Header=BB6_4858 Depth=2
	s_or_b32 exec_lo, exec_lo, s12
	s_and_saveexec_b32 s12, s29
	s_cbranch_execz .LBB6_6028
.LBB6_6027:                             ;   in Loop: Header=BB6_4858 Depth=2
	v_and_b32_sdwa v1, v103, v0 dst_sel:DWORD dst_unused:UNUSED_PAD src0_sel:DWORD src1_sel:BYTE_1
	v_and_b32_e32 v4, 7, v1
	v_bfe_u32 v7, v1, 3, 4
	v_ffbh_u32_e32 v5, v4
	v_cmp_eq_u32_e32 vcc_lo, 0, v7
	v_min_u32_e32 v5, 32, v5
	v_subrev_nc_u32_e32 v6, 28, v5
	v_sub_nc_u32_e32 v5, 29, v5
	v_lshlrev_b32_e32 v1, v6, v1
	v_lshlrev_b32_sdwa v6, v112, v0 dst_sel:DWORD dst_unused:UNUSED_PAD src0_sel:DWORD src1_sel:BYTE_1
	v_cndmask_b32_e32 v5, v7, v5, vcc_lo
	v_and_b32_e32 v1, 7, v1
	v_lshl_add_u32 v5, v5, 23, 0x3b800000
	v_cndmask_b32_e32 v1, v4, v1, vcc_lo
	v_and_b32_e32 v4, 0x80000000, v6
	v_lshlrev_b32_e32 v1, 20, v1
	v_or3_b32 v1, v4, v5, v1
.LBB6_6028:                             ;   in Loop: Header=BB6_4858 Depth=2
	s_or_b32 exec_lo, exec_lo, s12
	v_cmp_gt_i16_sdwa s12, v25, v101 src0_sel:BYTE_1 src1_sel:DWORD
	s_mov_b32 s29, 0
	s_and_saveexec_b32 s40, s12
	s_xor_b32 s12, exec_lo, s40
	s_cbranch_execz .LBB6_7222
; %bb.6029:                             ;   in Loop: Header=BB6_4858 Depth=2
	v_cmp_eq_u16_sdwa s41, v25, v102 src0_sel:BYTE_1 src1_sel:DWORD
	s_mov_b32 s29, -1
	s_and_saveexec_b32 s40, s41
; %bb.6030:                             ;   in Loop: Header=BB6_4858 Depth=2
	s_xor_b32 s29, exec_lo, -1
; %bb.6031:                             ;   in Loop: Header=BB6_4858 Depth=2
	s_or_b32 exec_lo, exec_lo, s40
	s_and_b32 s29, s29, exec_lo
	s_or_saveexec_b32 s12, s12
	v_mov_b32_e32 v4, 0x7f800001
	s_xor_b32 exec_lo, exec_lo, s12
	s_cbranch_execnz .LBB6_7223
.LBB6_6032:                             ;   in Loop: Header=BB6_4858 Depth=2
	s_or_b32 exec_lo, exec_lo, s12
	s_and_saveexec_b32 s12, s29
	s_cbranch_execz .LBB6_6034
.LBB6_6033:                             ;   in Loop: Header=BB6_4858 Depth=2
	v_and_b32_sdwa v4, v103, v25 dst_sel:DWORD dst_unused:UNUSED_PAD src0_sel:DWORD src1_sel:BYTE_1
	v_and_b32_e32 v5, 7, v4
	v_bfe_u32 v8, v4, 3, 4
	v_ffbh_u32_e32 v6, v5
	v_cmp_eq_u32_e32 vcc_lo, 0, v8
	v_min_u32_e32 v6, 32, v6
	v_subrev_nc_u32_e32 v7, 28, v6
	v_sub_nc_u32_e32 v6, 29, v6
	v_lshlrev_b32_e32 v4, v7, v4
	v_lshlrev_b32_sdwa v7, v112, v25 dst_sel:DWORD dst_unused:UNUSED_PAD src0_sel:DWORD src1_sel:BYTE_1
	v_cndmask_b32_e32 v6, v8, v6, vcc_lo
	v_and_b32_e32 v4, 7, v4
	v_lshl_add_u32 v6, v6, 23, 0x3b800000
	v_cndmask_b32_e32 v4, v5, v4, vcc_lo
	v_and_b32_e32 v5, 0x80000000, v7
	v_lshlrev_b32_e32 v4, 20, v4
	v_or3_b32 v4, v5, v6, v4
.LBB6_6034:                             ;   in Loop: Header=BB6_4858 Depth=2
	s_or_b32 exec_lo, exec_lo, s12
	v_add_f32_e32 v1, v1, v4
	v_mov_b32_e32 v106, 0x8000
	s_mov_b32 s29, exec_lo
	v_and_b32_e32 v4, 0x7f800000, v1
	v_cmpx_ne_u32_e32 0x7f800000, v4
	s_cbranch_execz .LBB6_6042
; %bb.6035:                             ;   in Loop: Header=BB6_4858 Depth=2
	v_mov_b32_e32 v106, 0
	s_mov_b32 s40, exec_lo
	v_cmpx_ne_u32_e32 0, v1
	s_cbranch_execz .LBB6_6041
; %bb.6036:                             ;   in Loop: Header=BB6_4858 Depth=2
	v_bfe_u32 v5, v1, 23, 8
	v_and_b32_e32 v4, 0x7fffff, v1
	v_cmp_gt_u32_e64 s12, 0x79, v5
	v_sub_nc_u32_e32 v6, 0x78, v5
	v_cmp_eq_u32_e32 vcc_lo, 0, v5
	v_or_b32_e32 v7, 0x800000, v4
	v_cndmask_b32_e64 v6, 0, v6, s12
	v_cndmask_b32_e32 v4, v7, v4, vcc_lo
	v_cndmask_b32_e64 v6, v6, 0x77, vcc_lo
	v_lshl_add_u32 v7, 0x100000, v6, -1
	v_lshlrev_b32_e64 v8, v6, 0x80000
	v_and_b32_e32 v7, v7, v4
	v_cmp_eq_u32_e64 s12, v7, v8
	v_lshrrev_b32_e32 v7, v6, v4
	v_add_nc_u32_e32 v4, 0xffffff89, v5
	v_lshrrev_b32_e32 v5, 23, v7
	v_cndmask_b32_e64 v4, v4, 0xffffff8a, vcc_lo
	v_xor_b32_e32 v5, 1, v5
	v_add_nc_u32_e32 v4, v6, v4
	v_bfe_u32 v6, v7, 20, 1
	v_add_nc_u32_e32 v6, -1, v6
	v_cndmask_b32_e64 v6, 0, v6, s12
	s_mov_b32 s12, exec_lo
	v_add_nc_u32_e32 v6, v6, v7
	v_and_b32_e32 v6, 0xfffff, v6
	v_add_nc_u32_e32 v6, v6, v7
                                        ; implicit-def: $vgpr7
	v_cmpx_ne_u32_e64 v4, v5
	s_xor_b32 s12, exec_lo, s12
; %bb.6037:                             ;   in Loop: Header=BB6_4858 Depth=2
	v_cmp_lt_u32_e32 vcc_lo, 0xffffff, v6
	v_sub_nc_u32_e32 v4, v4, v5
	v_cndmask_b32_e64 v5, 0, 1, vcc_lo
	v_add_co_ci_u32_e64 v7, null, 0, v4, vcc_lo
	v_lshrrev_b32_e32 v6, v5, v6
; %bb.6038:                             ;   in Loop: Header=BB6_4858 Depth=2
	s_andn2_saveexec_b32 s12, s12
; %bb.6039:                             ;   in Loop: Header=BB6_4858 Depth=2
	v_bfe_u32 v7, v6, 23, 1
; %bb.6040:                             ;   in Loop: Header=BB6_4858 Depth=2
	s_or_b32 exec_lo, exec_lo, s12
	v_lshrrev_b32_e32 v4, 20, v6
	v_min_i32_e32 v5, 15, v7
	v_cmp_gt_i32_e32 vcc_lo, 16, v7
	v_and_b32_sdwa v1, v1, v102 dst_sel:DWORD dst_unused:UNUSED_PAD src0_sel:BYTE_3 src1_sel:DWORD
	v_lshlrev_b32_e32 v5, 3, v5
	v_cndmask_b32_e32 v4, 7, v4, vcc_lo
	v_and_b32_e32 v5, 0xf8, v5
	v_or_b32_e32 v6, v7, v4
	v_and_b32_e32 v4, 7, v4
	v_cmp_ne_u32_e32 vcc_lo, 0, v6
	v_or3_b32 v1, v1, v5, v4
	v_lshlrev_b32_e32 v1, 8, v1
	v_cndmask_b32_e32 v106, 0, v1, vcc_lo
.LBB6_6041:                             ;   in Loop: Header=BB6_4858 Depth=2
	s_or_b32 exec_lo, exec_lo, s40
.LBB6_6042:                             ;   in Loop: Header=BB6_4858 Depth=2
	s_or_b32 exec_lo, exec_lo, s29
	v_or_b32_e32 v4, v83, v110
	s_mov_b32 s29, 0
	v_cmp_gt_i16_sdwa s12, v4, v101 src0_sel:BYTE_0 src1_sel:DWORD
	s_and_saveexec_b32 s40, s12
	s_xor_b32 s12, exec_lo, s40
	s_cbranch_execz .LBB6_7224
; %bb.6043:                             ;   in Loop: Header=BB6_4858 Depth=2
	v_cmp_eq_u16_sdwa s41, v4, v102 src0_sel:BYTE_0 src1_sel:DWORD
	s_mov_b32 s29, -1
	s_and_saveexec_b32 s40, s41
; %bb.6044:                             ;   in Loop: Header=BB6_4858 Depth=2
	s_xor_b32 s29, exec_lo, -1
; %bb.6045:                             ;   in Loop: Header=BB6_4858 Depth=2
	s_or_b32 exec_lo, exec_lo, s40
	s_and_b32 s29, s29, exec_lo
	s_or_saveexec_b32 s12, s12
	v_mov_b32_e32 v1, 0x7f800001
	s_xor_b32 exec_lo, exec_lo, s12
	s_cbranch_execnz .LBB6_7225
.LBB6_6046:                             ;   in Loop: Header=BB6_4858 Depth=2
	s_or_b32 exec_lo, exec_lo, s12
	v_lshl_or_b32 v0, v4, 16, v0
	s_and_saveexec_b32 s12, s29
	s_cbranch_execz .LBB6_6048
.LBB6_6047:                             ;   in Loop: Header=BB6_4858 Depth=2
	v_bfe_u32 v1, v0, 16, 3
	v_bfe_u32 v4, v0, 19, 4
	v_ffbh_u32_e32 v5, v1
	v_cmp_eq_u32_e32 vcc_lo, 0, v4
	v_min_u32_e32 v5, 32, v5
	v_subrev_nc_u32_e32 v6, 28, v5
	v_sub_nc_u32_e32 v5, 29, v5
	v_lshlrev_b32_sdwa v6, v6, v0 dst_sel:DWORD dst_unused:UNUSED_PAD src0_sel:DWORD src1_sel:WORD_1
	v_cndmask_b32_e32 v4, v4, v5, vcc_lo
	v_lshlrev_b32_e32 v5, 8, v0
	v_and_b32_e32 v6, 7, v6
	v_lshl_add_u32 v4, v4, 23, 0x3b800000
	v_and_b32_e32 v5, 0x80000000, v5
	v_cndmask_b32_e32 v1, v1, v6, vcc_lo
	v_lshlrev_b32_e32 v1, 20, v1
	v_or3_b32 v1, v5, v4, v1
.LBB6_6048:                             ;   in Loop: Header=BB6_4858 Depth=2
	s_or_b32 exec_lo, exec_lo, s12
	v_and_b32_sdwa v5, v25, v113 dst_sel:DWORD dst_unused:UNUSED_PAD src0_sel:WORD_1 src1_sel:DWORD
	s_mov_b32 s29, 0
	s_mov_b32 s12, exec_lo
	v_cmpx_lt_i16_e32 0x7f, v5
	s_xor_b32 s12, exec_lo, s12
	s_cbranch_execz .LBB6_7226
; %bb.6049:                             ;   in Loop: Header=BB6_4858 Depth=2
	s_mov_b32 s29, -1
	s_mov_b32 s40, exec_lo
	v_cmpx_eq_u16_e32 0x80, v5
; %bb.6050:                             ;   in Loop: Header=BB6_4858 Depth=2
	s_xor_b32 s29, exec_lo, -1
; %bb.6051:                             ;   in Loop: Header=BB6_4858 Depth=2
	s_or_b32 exec_lo, exec_lo, s40
	s_and_b32 s29, s29, exec_lo
                                        ; implicit-def: $vgpr5
	s_or_saveexec_b32 s12, s12
	v_mov_b32_e32 v4, 0x7f800001
	s_xor_b32 exec_lo, exec_lo, s12
	s_cbranch_execnz .LBB6_7227
.LBB6_6052:                             ;   in Loop: Header=BB6_4858 Depth=2
	s_or_b32 exec_lo, exec_lo, s12
	s_and_saveexec_b32 s12, s29
	s_cbranch_execz .LBB6_6054
.LBB6_6053:                             ;   in Loop: Header=BB6_4858 Depth=2
	v_bfe_u32 v4, v25, 16, 3
	v_bfe_u32 v5, v25, 19, 4
	v_ffbh_u32_e32 v6, v4
	v_cmp_eq_u32_e32 vcc_lo, 0, v5
	v_min_u32_e32 v6, 32, v6
	v_subrev_nc_u32_e32 v7, 28, v6
	v_sub_nc_u32_e32 v6, 29, v6
	v_lshlrev_b32_sdwa v7, v7, v25 dst_sel:DWORD dst_unused:UNUSED_PAD src0_sel:DWORD src1_sel:WORD_1
	v_cndmask_b32_e32 v5, v5, v6, vcc_lo
	v_lshlrev_b32_e32 v6, 8, v25
	v_and_b32_e32 v7, 7, v7
	v_lshl_add_u32 v5, v5, 23, 0x3b800000
	v_and_b32_e32 v6, 0x80000000, v6
	v_cndmask_b32_e32 v4, v4, v7, vcc_lo
	v_lshlrev_b32_e32 v4, 20, v4
	v_or3_b32 v4, v6, v5, v4
.LBB6_6054:                             ;   in Loop: Header=BB6_4858 Depth=2
	s_or_b32 exec_lo, exec_lo, s12
	v_add_f32_e32 v1, v1, v4
	v_mov_b32_e32 v110, 0x80
	s_mov_b32 s29, exec_lo
	v_and_b32_e32 v4, 0x7f800000, v1
	v_cmpx_ne_u32_e32 0x7f800000, v4
	s_cbranch_execz .LBB6_6062
; %bb.6055:                             ;   in Loop: Header=BB6_4858 Depth=2
	v_mov_b32_e32 v110, 0
	s_mov_b32 s40, exec_lo
	v_cmpx_ne_u32_e32 0, v1
	s_cbranch_execz .LBB6_6061
; %bb.6056:                             ;   in Loop: Header=BB6_4858 Depth=2
	v_bfe_u32 v5, v1, 23, 8
	v_and_b32_e32 v4, 0x7fffff, v1
	v_cmp_gt_u32_e64 s12, 0x79, v5
	v_sub_nc_u32_e32 v6, 0x78, v5
	v_cmp_eq_u32_e32 vcc_lo, 0, v5
	v_or_b32_e32 v7, 0x800000, v4
	v_cndmask_b32_e64 v6, 0, v6, s12
	v_cndmask_b32_e32 v4, v7, v4, vcc_lo
	v_cndmask_b32_e64 v6, v6, 0x77, vcc_lo
	v_lshl_add_u32 v7, 0x100000, v6, -1
	v_lshlrev_b32_e64 v8, v6, 0x80000
	v_and_b32_e32 v7, v7, v4
	v_cmp_eq_u32_e64 s12, v7, v8
	v_lshrrev_b32_e32 v7, v6, v4
	v_add_nc_u32_e32 v4, 0xffffff89, v5
	v_lshrrev_b32_e32 v5, 23, v7
	v_cndmask_b32_e64 v4, v4, 0xffffff8a, vcc_lo
	v_xor_b32_e32 v5, 1, v5
	v_add_nc_u32_e32 v4, v6, v4
	v_bfe_u32 v6, v7, 20, 1
	v_add_nc_u32_e32 v6, -1, v6
	v_cndmask_b32_e64 v6, 0, v6, s12
	s_mov_b32 s12, exec_lo
	v_add_nc_u32_e32 v6, v6, v7
	v_and_b32_e32 v6, 0xfffff, v6
	v_add_nc_u32_e32 v6, v6, v7
                                        ; implicit-def: $vgpr7
	v_cmpx_ne_u32_e64 v4, v5
	s_xor_b32 s12, exec_lo, s12
; %bb.6057:                             ;   in Loop: Header=BB6_4858 Depth=2
	v_cmp_lt_u32_e32 vcc_lo, 0xffffff, v6
	v_sub_nc_u32_e32 v4, v4, v5
	v_cndmask_b32_e64 v5, 0, 1, vcc_lo
	v_add_co_ci_u32_e64 v7, null, 0, v4, vcc_lo
	v_lshrrev_b32_e32 v6, v5, v6
; %bb.6058:                             ;   in Loop: Header=BB6_4858 Depth=2
	s_andn2_saveexec_b32 s12, s12
; %bb.6059:                             ;   in Loop: Header=BB6_4858 Depth=2
	v_bfe_u32 v7, v6, 23, 1
; %bb.6060:                             ;   in Loop: Header=BB6_4858 Depth=2
	s_or_b32 exec_lo, exec_lo, s12
	v_lshrrev_b32_e32 v4, 20, v6
	v_min_i32_e32 v5, 15, v7
	v_cmp_gt_i32_e32 vcc_lo, 16, v7
	v_and_b32_sdwa v1, v1, v102 dst_sel:DWORD dst_unused:UNUSED_PAD src0_sel:BYTE_3 src1_sel:DWORD
	v_lshlrev_b32_e32 v5, 3, v5
	v_cndmask_b32_e32 v4, 7, v4, vcc_lo
	v_and_b32_e32 v5, 0xf8, v5
	v_or_b32_e32 v6, v7, v4
	v_and_b32_e32 v4, 7, v4
	v_cmp_ne_u32_e32 vcc_lo, 0, v6
	v_or3_b32 v1, v5, v1, v4
	v_cndmask_b32_e32 v110, 0, v1, vcc_lo
.LBB6_6061:                             ;   in Loop: Header=BB6_4858 Depth=2
	s_or_b32 exec_lo, exec_lo, s40
.LBB6_6062:                             ;   in Loop: Header=BB6_4858 Depth=2
	s_or_b32 exec_lo, exec_lo, s29
	v_cmp_gt_i16_sdwa s12, v0, v101 src0_sel:BYTE_3 src1_sel:DWORD
	s_mov_b32 s29, 0
	s_and_saveexec_b32 s40, s12
	s_xor_b32 s12, exec_lo, s40
	s_cbranch_execz .LBB6_7228
; %bb.6063:                             ;   in Loop: Header=BB6_4858 Depth=2
	v_cmp_eq_u16_sdwa s41, v0, v102 src0_sel:BYTE_3 src1_sel:DWORD
	s_mov_b32 s29, -1
	s_and_saveexec_b32 s40, s41
; %bb.6064:                             ;   in Loop: Header=BB6_4858 Depth=2
	s_xor_b32 s29, exec_lo, -1
; %bb.6065:                             ;   in Loop: Header=BB6_4858 Depth=2
	s_or_b32 exec_lo, exec_lo, s40
	s_and_b32 s29, s29, exec_lo
	s_or_saveexec_b32 s12, s12
	v_mov_b32_e32 v1, 0x7f800001
	s_xor_b32 exec_lo, exec_lo, s12
	s_cbranch_execnz .LBB6_7229
.LBB6_6066:                             ;   in Loop: Header=BB6_4858 Depth=2
	s_or_b32 exec_lo, exec_lo, s12
	s_and_saveexec_b32 s12, s29
	s_cbranch_execz .LBB6_6068
.LBB6_6067:                             ;   in Loop: Header=BB6_4858 Depth=2
	v_bfe_u32 v1, v0, 24, 3
	v_bfe_u32 v6, v0, 27, 4
	v_ffbh_u32_e32 v4, v1
	v_cmp_eq_u32_e32 vcc_lo, 0, v6
	v_min_u32_e32 v4, 32, v4
	v_subrev_nc_u32_e32 v5, 28, v4
	v_sub_nc_u32_e32 v4, 29, v4
	v_lshlrev_b32_sdwa v5, v5, v0 dst_sel:DWORD dst_unused:UNUSED_PAD src0_sel:DWORD src1_sel:BYTE_3
	v_cndmask_b32_e32 v4, v6, v4, vcc_lo
	v_and_b32_e32 v0, 0x80000000, v0
	v_and_b32_e32 v5, 7, v5
	v_lshl_add_u32 v4, v4, 23, 0x3b800000
	v_cndmask_b32_e32 v1, v1, v5, vcc_lo
	v_lshlrev_b32_e32 v1, 20, v1
	v_or3_b32 v1, v0, v4, v1
.LBB6_6068:                             ;   in Loop: Header=BB6_4858 Depth=2
	s_or_b32 exec_lo, exec_lo, s12
	v_cmp_gt_i16_sdwa s12, v25, v101 src0_sel:BYTE_3 src1_sel:DWORD
	s_mov_b32 s29, 0
	s_and_saveexec_b32 s40, s12
	s_xor_b32 s12, exec_lo, s40
	s_cbranch_execz .LBB6_7230
; %bb.6069:                             ;   in Loop: Header=BB6_4858 Depth=2
	v_cmp_eq_u16_sdwa s41, v25, v102 src0_sel:BYTE_3 src1_sel:DWORD
	s_mov_b32 s29, -1
	s_and_saveexec_b32 s40, s41
; %bb.6070:                             ;   in Loop: Header=BB6_4858 Depth=2
	s_xor_b32 s29, exec_lo, -1
; %bb.6071:                             ;   in Loop: Header=BB6_4858 Depth=2
	s_or_b32 exec_lo, exec_lo, s40
	s_and_b32 s29, s29, exec_lo
	s_or_saveexec_b32 s12, s12
	v_mov_b32_e32 v0, 0x7f800001
	s_xor_b32 exec_lo, exec_lo, s12
	s_cbranch_execnz .LBB6_7231
.LBB6_6072:                             ;   in Loop: Header=BB6_4858 Depth=2
	s_or_b32 exec_lo, exec_lo, s12
	s_and_saveexec_b32 s12, s29
	s_cbranch_execz .LBB6_6074
.LBB6_6073:                             ;   in Loop: Header=BB6_4858 Depth=2
	v_bfe_u32 v0, v25, 24, 3
	v_bfe_u32 v6, v25, 27, 4
	v_ffbh_u32_e32 v4, v0
	v_cmp_eq_u32_e32 vcc_lo, 0, v6
	v_min_u32_e32 v4, 32, v4
	v_subrev_nc_u32_e32 v5, 28, v4
	v_sub_nc_u32_e32 v4, 29, v4
	v_lshlrev_b32_sdwa v5, v5, v25 dst_sel:DWORD dst_unused:UNUSED_PAD src0_sel:DWORD src1_sel:BYTE_3
	v_cndmask_b32_e32 v4, v6, v4, vcc_lo
	v_and_b32_e32 v5, 7, v5
	v_lshl_add_u32 v4, v4, 23, 0x3b800000
	v_cndmask_b32_e32 v0, v0, v5, vcc_lo
	v_and_b32_e32 v5, 0x80000000, v25
	v_lshlrev_b32_e32 v0, 20, v0
	v_or3_b32 v0, v5, v4, v0
.LBB6_6074:                             ;   in Loop: Header=BB6_4858 Depth=2
	s_or_b32 exec_lo, exec_lo, s12
	v_add_f32_e32 v0, v1, v0
	v_mov_b32_e32 v25, 0x8000
	s_mov_b32 s29, exec_lo
	v_and_b32_e32 v1, 0x7f800000, v0
	v_cmpx_ne_u32_e32 0x7f800000, v1
	s_cbranch_execz .LBB6_6082
; %bb.6075:                             ;   in Loop: Header=BB6_4858 Depth=2
	v_mov_b32_e32 v25, 0
	s_mov_b32 s40, exec_lo
	v_cmpx_ne_u32_e32 0, v0
	s_cbranch_execz .LBB6_6081
; %bb.6076:                             ;   in Loop: Header=BB6_4858 Depth=2
	v_bfe_u32 v4, v0, 23, 8
	v_and_b32_e32 v1, 0x7fffff, v0
	v_cmp_gt_u32_e64 s12, 0x79, v4
	v_sub_nc_u32_e32 v5, 0x78, v4
	v_cmp_eq_u32_e32 vcc_lo, 0, v4
	v_or_b32_e32 v6, 0x800000, v1
	v_cndmask_b32_e64 v5, 0, v5, s12
	v_cndmask_b32_e32 v1, v6, v1, vcc_lo
	v_cndmask_b32_e64 v5, v5, 0x77, vcc_lo
	v_lshl_add_u32 v6, 0x100000, v5, -1
	v_lshlrev_b32_e64 v7, v5, 0x80000
	v_and_b32_e32 v6, v6, v1
	v_cmp_eq_u32_e64 s12, v6, v7
	v_lshrrev_b32_e32 v6, v5, v1
	v_add_nc_u32_e32 v1, 0xffffff89, v4
	v_lshrrev_b32_e32 v4, 23, v6
	v_cndmask_b32_e64 v1, v1, 0xffffff8a, vcc_lo
	v_xor_b32_e32 v4, 1, v4
	v_add_nc_u32_e32 v1, v5, v1
	v_bfe_u32 v5, v6, 20, 1
	v_add_nc_u32_e32 v5, -1, v5
	v_cndmask_b32_e64 v5, 0, v5, s12
	s_mov_b32 s12, exec_lo
	v_add_nc_u32_e32 v5, v5, v6
	v_and_b32_e32 v5, 0xfffff, v5
	v_add_nc_u32_e32 v5, v5, v6
                                        ; implicit-def: $vgpr6
	v_cmpx_ne_u32_e64 v1, v4
	s_xor_b32 s12, exec_lo, s12
; %bb.6077:                             ;   in Loop: Header=BB6_4858 Depth=2
	v_cmp_lt_u32_e32 vcc_lo, 0xffffff, v5
	v_sub_nc_u32_e32 v1, v1, v4
	v_cndmask_b32_e64 v4, 0, 1, vcc_lo
	v_add_co_ci_u32_e64 v6, null, 0, v1, vcc_lo
	v_lshrrev_b32_e32 v5, v4, v5
; %bb.6078:                             ;   in Loop: Header=BB6_4858 Depth=2
	s_andn2_saveexec_b32 s12, s12
; %bb.6079:                             ;   in Loop: Header=BB6_4858 Depth=2
	v_bfe_u32 v6, v5, 23, 1
; %bb.6080:                             ;   in Loop: Header=BB6_4858 Depth=2
	s_or_b32 exec_lo, exec_lo, s12
	v_lshrrev_b32_e32 v1, 20, v5
	v_min_i32_e32 v4, 15, v6
	v_cmp_gt_i32_e32 vcc_lo, 16, v6
	v_and_b32_sdwa v0, v0, v102 dst_sel:DWORD dst_unused:UNUSED_PAD src0_sel:BYTE_3 src1_sel:DWORD
	v_lshlrev_b32_e32 v4, 3, v4
	v_cndmask_b32_e32 v1, 7, v1, vcc_lo
	v_and_b32_e32 v4, 0xf8, v4
	v_or_b32_e32 v5, v6, v1
	v_and_b32_e32 v1, 7, v1
	v_cmp_ne_u32_e32 vcc_lo, 0, v5
	v_or3_b32 v0, v0, v4, v1
	v_lshlrev_b32_e32 v0, 8, v0
	v_cndmask_b32_e32 v25, 0, v0, vcc_lo
.LBB6_6081:                             ;   in Loop: Header=BB6_4858 Depth=2
	s_or_b32 exec_lo, exec_lo, s40
.LBB6_6082:                             ;   in Loop: Header=BB6_4858 Depth=2
	s_or_b32 exec_lo, exec_lo, s29
	v_or_b32_e32 v0, v123, v120
	s_mov_b32 s29, 0
	v_cmp_gt_i16_sdwa s12, v0, v101 src0_sel:BYTE_0 src1_sel:DWORD
	s_and_saveexec_b32 s40, s12
	s_xor_b32 s12, exec_lo, s40
	s_cbranch_execz .LBB6_7232
; %bb.6083:                             ;   in Loop: Header=BB6_4858 Depth=2
	v_cmp_eq_u16_sdwa s41, v0, v102 src0_sel:BYTE_0 src1_sel:DWORD
	s_mov_b32 s29, -1
	s_and_saveexec_b32 s40, s41
; %bb.6084:                             ;   in Loop: Header=BB6_4858 Depth=2
	s_xor_b32 s29, exec_lo, -1
; %bb.6085:                             ;   in Loop: Header=BB6_4858 Depth=2
	s_or_b32 exec_lo, exec_lo, s40
	s_and_b32 s29, s29, exec_lo
	s_or_saveexec_b32 s12, s12
	v_mov_b32_e32 v1, 0x7f800001
	s_xor_b32 exec_lo, exec_lo, s12
	s_cbranch_execnz .LBB6_7233
.LBB6_6086:                             ;   in Loop: Header=BB6_4858 Depth=2
	s_or_b32 exec_lo, exec_lo, s12
	s_and_saveexec_b32 s12, s29
	s_cbranch_execz .LBB6_6088
.LBB6_6087:                             ;   in Loop: Header=BB6_4858 Depth=2
	v_and_b32_e32 v1, 7, v0
	v_bfe_u32 v4, v0, 3, 4
	v_ffbh_u32_e32 v5, v1
	v_cmp_eq_u32_e32 vcc_lo, 0, v4
	v_min_u32_e32 v5, 32, v5
	v_subrev_nc_u32_e32 v6, 28, v5
	v_sub_nc_u32_e32 v5, 29, v5
	v_lshlrev_b32_e32 v6, v6, v0
	v_cndmask_b32_e32 v4, v4, v5, vcc_lo
	v_lshlrev_b32_e32 v5, 24, v0
	v_and_b32_e32 v6, 7, v6
	v_lshl_add_u32 v4, v4, 23, 0x3b800000
	v_and_b32_e32 v5, 0x80000000, v5
	v_cndmask_b32_e32 v1, v1, v6, vcc_lo
	v_lshlrev_b32_e32 v1, 20, v1
	v_or3_b32 v1, v5, v4, v1
.LBB6_6088:                             ;   in Loop: Header=BB6_4858 Depth=2
	s_or_b32 exec_lo, exec_lo, s12
	s_waitcnt vmcnt(2)
	v_cmp_gt_i16_sdwa s12, v18, v101 src0_sel:BYTE_0 src1_sel:DWORD
	s_mov_b32 s29, 0
	s_and_saveexec_b32 s40, s12
	s_xor_b32 s12, exec_lo, s40
	s_cbranch_execz .LBB6_7234
; %bb.6089:                             ;   in Loop: Header=BB6_4858 Depth=2
	v_cmp_eq_u16_sdwa s41, v18, v102 src0_sel:BYTE_0 src1_sel:DWORD
	s_mov_b32 s29, -1
	s_and_saveexec_b32 s40, s41
; %bb.6090:                             ;   in Loop: Header=BB6_4858 Depth=2
	s_xor_b32 s29, exec_lo, -1
; %bb.6091:                             ;   in Loop: Header=BB6_4858 Depth=2
	s_or_b32 exec_lo, exec_lo, s40
	s_and_b32 s29, s29, exec_lo
	s_or_saveexec_b32 s12, s12
	v_mov_b32_e32 v4, 0x7f800001
	s_xor_b32 exec_lo, exec_lo, s12
	s_cbranch_execnz .LBB6_7235
.LBB6_6092:                             ;   in Loop: Header=BB6_4858 Depth=2
	s_or_b32 exec_lo, exec_lo, s12
	s_and_saveexec_b32 s12, s29
	s_cbranch_execz .LBB6_6094
.LBB6_6093:                             ;   in Loop: Header=BB6_4858 Depth=2
	v_and_b32_e32 v4, 7, v18
	v_bfe_u32 v5, v18, 3, 4
	v_ffbh_u32_e32 v6, v4
	v_cmp_eq_u32_e32 vcc_lo, 0, v5
	v_min_u32_e32 v6, 32, v6
	v_subrev_nc_u32_e32 v7, 28, v6
	v_sub_nc_u32_e32 v6, 29, v6
	v_lshlrev_b32_e32 v7, v7, v18
	v_cndmask_b32_e32 v5, v5, v6, vcc_lo
	v_lshlrev_b32_e32 v6, 24, v18
	v_and_b32_e32 v7, 7, v7
	v_lshl_add_u32 v5, v5, 23, 0x3b800000
	v_and_b32_e32 v6, 0x80000000, v6
	v_cndmask_b32_e32 v4, v4, v7, vcc_lo
	v_lshlrev_b32_e32 v4, 20, v4
	v_or3_b32 v4, v6, v5, v4
.LBB6_6094:                             ;   in Loop: Header=BB6_4858 Depth=2
	s_or_b32 exec_lo, exec_lo, s12
	v_add_f32_e32 v1, v1, v4
	v_mov_b32_e32 v120, 0x80
	s_mov_b32 s29, exec_lo
	v_and_b32_e32 v4, 0x7f800000, v1
	v_cmpx_ne_u32_e32 0x7f800000, v4
	s_cbranch_execz .LBB6_6102
; %bb.6095:                             ;   in Loop: Header=BB6_4858 Depth=2
	v_mov_b32_e32 v120, 0
	s_mov_b32 s40, exec_lo
	v_cmpx_ne_u32_e32 0, v1
	s_cbranch_execz .LBB6_6101
; %bb.6096:                             ;   in Loop: Header=BB6_4858 Depth=2
	v_bfe_u32 v5, v1, 23, 8
	v_and_b32_e32 v4, 0x7fffff, v1
	v_cmp_gt_u32_e64 s12, 0x79, v5
	v_sub_nc_u32_e32 v6, 0x78, v5
	v_cmp_eq_u32_e32 vcc_lo, 0, v5
	v_or_b32_e32 v7, 0x800000, v4
	v_cndmask_b32_e64 v6, 0, v6, s12
	v_cndmask_b32_e32 v4, v7, v4, vcc_lo
	v_cndmask_b32_e64 v6, v6, 0x77, vcc_lo
	v_lshl_add_u32 v7, 0x100000, v6, -1
	v_lshlrev_b32_e64 v8, v6, 0x80000
	v_and_b32_e32 v7, v7, v4
	v_cmp_eq_u32_e64 s12, v7, v8
	v_lshrrev_b32_e32 v7, v6, v4
	v_add_nc_u32_e32 v4, 0xffffff89, v5
	v_lshrrev_b32_e32 v5, 23, v7
	v_cndmask_b32_e64 v4, v4, 0xffffff8a, vcc_lo
	v_xor_b32_e32 v5, 1, v5
	v_add_nc_u32_e32 v4, v6, v4
	v_bfe_u32 v6, v7, 20, 1
	v_add_nc_u32_e32 v6, -1, v6
	v_cndmask_b32_e64 v6, 0, v6, s12
	s_mov_b32 s12, exec_lo
	v_add_nc_u32_e32 v6, v6, v7
	v_and_b32_e32 v6, 0xfffff, v6
	v_add_nc_u32_e32 v6, v6, v7
                                        ; implicit-def: $vgpr7
	v_cmpx_ne_u32_e64 v4, v5
	s_xor_b32 s12, exec_lo, s12
; %bb.6097:                             ;   in Loop: Header=BB6_4858 Depth=2
	v_cmp_lt_u32_e32 vcc_lo, 0xffffff, v6
	v_sub_nc_u32_e32 v4, v4, v5
	v_cndmask_b32_e64 v5, 0, 1, vcc_lo
	v_add_co_ci_u32_e64 v7, null, 0, v4, vcc_lo
	v_lshrrev_b32_e32 v6, v5, v6
; %bb.6098:                             ;   in Loop: Header=BB6_4858 Depth=2
	s_andn2_saveexec_b32 s12, s12
; %bb.6099:                             ;   in Loop: Header=BB6_4858 Depth=2
	v_bfe_u32 v7, v6, 23, 1
; %bb.6100:                             ;   in Loop: Header=BB6_4858 Depth=2
	s_or_b32 exec_lo, exec_lo, s12
	v_lshrrev_b32_e32 v4, 20, v6
	v_min_i32_e32 v5, 15, v7
	v_cmp_gt_i32_e32 vcc_lo, 16, v7
	v_and_b32_sdwa v1, v1, v102 dst_sel:DWORD dst_unused:UNUSED_PAD src0_sel:BYTE_3 src1_sel:DWORD
	v_lshlrev_b32_e32 v5, 3, v5
	v_cndmask_b32_e32 v4, 7, v4, vcc_lo
	v_and_b32_e32 v5, 0xf8, v5
	v_or_b32_e32 v6, v7, v4
	v_and_b32_e32 v4, 7, v4
	v_cmp_ne_u32_e32 vcc_lo, 0, v6
	v_or3_b32 v1, v5, v1, v4
	v_cndmask_b32_e32 v120, 0, v1, vcc_lo
.LBB6_6101:                             ;   in Loop: Header=BB6_4858 Depth=2
	s_or_b32 exec_lo, exec_lo, s40
.LBB6_6102:                             ;   in Loop: Header=BB6_4858 Depth=2
	s_or_b32 exec_lo, exec_lo, s29
	v_cmp_gt_i16_sdwa s29, v0, v101 src0_sel:BYTE_1 src1_sel:DWORD
	s_mov_b32 s12, 0
	s_and_saveexec_b32 s40, s29
	s_xor_b32 s29, exec_lo, s40
	s_cbranch_execz .LBB6_7236
; %bb.6103:                             ;   in Loop: Header=BB6_4858 Depth=2
	v_cmp_eq_u16_sdwa s41, v0, v102 src0_sel:BYTE_1 src1_sel:DWORD
	s_mov_b32 s12, -1
	s_and_saveexec_b32 s40, s41
; %bb.6104:                             ;   in Loop: Header=BB6_4858 Depth=2
	s_xor_b32 s12, exec_lo, -1
; %bb.6105:                             ;   in Loop: Header=BB6_4858 Depth=2
	s_or_b32 exec_lo, exec_lo, s40
	s_and_b32 s12, s12, exec_lo
	s_or_saveexec_b32 s29, s29
	v_mov_b32_e32 v1, 0x7f800001
	s_xor_b32 exec_lo, exec_lo, s29
	s_cbranch_execnz .LBB6_7237
.LBB6_6106:                             ;   in Loop: Header=BB6_4858 Depth=2
	s_or_b32 exec_lo, exec_lo, s29
	s_and_saveexec_b32 s29, s12
	s_cbranch_execz .LBB6_6108
.LBB6_6107:                             ;   in Loop: Header=BB6_4858 Depth=2
	v_and_b32_sdwa v1, v103, v0 dst_sel:DWORD dst_unused:UNUSED_PAD src0_sel:DWORD src1_sel:BYTE_1
	v_and_b32_e32 v4, 7, v1
	v_bfe_u32 v7, v1, 3, 4
	v_ffbh_u32_e32 v5, v4
	v_cmp_eq_u32_e32 vcc_lo, 0, v7
	v_min_u32_e32 v5, 32, v5
	v_subrev_nc_u32_e32 v6, 28, v5
	v_sub_nc_u32_e32 v5, 29, v5
	v_lshlrev_b32_e32 v1, v6, v1
	v_lshlrev_b32_sdwa v6, v112, v0 dst_sel:DWORD dst_unused:UNUSED_PAD src0_sel:DWORD src1_sel:BYTE_1
	v_cndmask_b32_e32 v5, v7, v5, vcc_lo
	v_and_b32_e32 v1, 7, v1
	v_lshl_add_u32 v5, v5, 23, 0x3b800000
	v_cndmask_b32_e32 v1, v4, v1, vcc_lo
	v_and_b32_e32 v4, 0x80000000, v6
	v_lshlrev_b32_e32 v1, 20, v1
	v_or3_b32 v1, v4, v5, v1
.LBB6_6108:                             ;   in Loop: Header=BB6_4858 Depth=2
	s_or_b32 exec_lo, exec_lo, s29
	v_cmp_gt_i16_sdwa s29, v18, v101 src0_sel:BYTE_1 src1_sel:DWORD
	s_mov_b32 s12, 0
	s_and_saveexec_b32 s40, s29
	s_xor_b32 s29, exec_lo, s40
	s_cbranch_execz .LBB6_7238
; %bb.6109:                             ;   in Loop: Header=BB6_4858 Depth=2
	v_cmp_eq_u16_sdwa s41, v18, v102 src0_sel:BYTE_1 src1_sel:DWORD
	s_mov_b32 s12, -1
	s_and_saveexec_b32 s40, s41
; %bb.6110:                             ;   in Loop: Header=BB6_4858 Depth=2
	s_xor_b32 s12, exec_lo, -1
; %bb.6111:                             ;   in Loop: Header=BB6_4858 Depth=2
	s_or_b32 exec_lo, exec_lo, s40
	s_and_b32 s12, s12, exec_lo
	s_or_saveexec_b32 s29, s29
	v_mov_b32_e32 v4, 0x7f800001
	s_xor_b32 exec_lo, exec_lo, s29
	s_cbranch_execnz .LBB6_7239
.LBB6_6112:                             ;   in Loop: Header=BB6_4858 Depth=2
	s_or_b32 exec_lo, exec_lo, s29
	s_and_saveexec_b32 s29, s12
	s_cbranch_execz .LBB6_6114
.LBB6_6113:                             ;   in Loop: Header=BB6_4858 Depth=2
	v_and_b32_sdwa v4, v103, v18 dst_sel:DWORD dst_unused:UNUSED_PAD src0_sel:DWORD src1_sel:BYTE_1
	v_and_b32_e32 v5, 7, v4
	v_bfe_u32 v8, v4, 3, 4
	v_ffbh_u32_e32 v6, v5
	v_cmp_eq_u32_e32 vcc_lo, 0, v8
	v_min_u32_e32 v6, 32, v6
	v_subrev_nc_u32_e32 v7, 28, v6
	v_sub_nc_u32_e32 v6, 29, v6
	v_lshlrev_b32_e32 v4, v7, v4
	v_lshlrev_b32_sdwa v7, v112, v18 dst_sel:DWORD dst_unused:UNUSED_PAD src0_sel:DWORD src1_sel:BYTE_1
	v_cndmask_b32_e32 v6, v8, v6, vcc_lo
	v_and_b32_e32 v4, 7, v4
	v_lshl_add_u32 v6, v6, 23, 0x3b800000
	v_cndmask_b32_e32 v4, v5, v4, vcc_lo
	v_and_b32_e32 v5, 0x80000000, v7
	v_lshlrev_b32_e32 v4, 20, v4
	v_or3_b32 v4, v5, v6, v4
.LBB6_6114:                             ;   in Loop: Header=BB6_4858 Depth=2
	s_or_b32 exec_lo, exec_lo, s29
	v_add_f32_e32 v1, v1, v4
	v_mov_b32_e32 v123, 0x8000
	s_mov_b32 s29, exec_lo
	v_and_b32_e32 v4, 0x7f800000, v1
	v_cmpx_ne_u32_e32 0x7f800000, v4
	s_cbranch_execz .LBB6_6122
; %bb.6115:                             ;   in Loop: Header=BB6_4858 Depth=2
	v_mov_b32_e32 v123, 0
	s_mov_b32 s40, exec_lo
	v_cmpx_ne_u32_e32 0, v1
	s_cbranch_execz .LBB6_6121
; %bb.6116:                             ;   in Loop: Header=BB6_4858 Depth=2
	v_bfe_u32 v5, v1, 23, 8
	v_and_b32_e32 v4, 0x7fffff, v1
	v_cmp_gt_u32_e64 s12, 0x79, v5
	v_sub_nc_u32_e32 v6, 0x78, v5
	v_cmp_eq_u32_e32 vcc_lo, 0, v5
	v_or_b32_e32 v7, 0x800000, v4
	v_cndmask_b32_e64 v6, 0, v6, s12
	v_cndmask_b32_e32 v4, v7, v4, vcc_lo
	v_cndmask_b32_e64 v6, v6, 0x77, vcc_lo
	v_lshl_add_u32 v7, 0x100000, v6, -1
	v_lshlrev_b32_e64 v8, v6, 0x80000
	v_and_b32_e32 v7, v7, v4
	v_cmp_eq_u32_e64 s12, v7, v8
	v_lshrrev_b32_e32 v7, v6, v4
	v_add_nc_u32_e32 v4, 0xffffff89, v5
	v_lshrrev_b32_e32 v5, 23, v7
	v_cndmask_b32_e64 v4, v4, 0xffffff8a, vcc_lo
	v_xor_b32_e32 v5, 1, v5
	v_add_nc_u32_e32 v4, v6, v4
	v_bfe_u32 v6, v7, 20, 1
	v_add_nc_u32_e32 v6, -1, v6
	v_cndmask_b32_e64 v6, 0, v6, s12
	s_mov_b32 s12, exec_lo
	v_add_nc_u32_e32 v6, v6, v7
	v_and_b32_e32 v6, 0xfffff, v6
	v_add_nc_u32_e32 v6, v6, v7
                                        ; implicit-def: $vgpr7
	v_cmpx_ne_u32_e64 v4, v5
	s_xor_b32 s12, exec_lo, s12
; %bb.6117:                             ;   in Loop: Header=BB6_4858 Depth=2
	v_cmp_lt_u32_e32 vcc_lo, 0xffffff, v6
	v_sub_nc_u32_e32 v4, v4, v5
	v_cndmask_b32_e64 v5, 0, 1, vcc_lo
	v_add_co_ci_u32_e64 v7, null, 0, v4, vcc_lo
	v_lshrrev_b32_e32 v6, v5, v6
; %bb.6118:                             ;   in Loop: Header=BB6_4858 Depth=2
	s_andn2_saveexec_b32 s12, s12
; %bb.6119:                             ;   in Loop: Header=BB6_4858 Depth=2
	v_bfe_u32 v7, v6, 23, 1
; %bb.6120:                             ;   in Loop: Header=BB6_4858 Depth=2
	s_or_b32 exec_lo, exec_lo, s12
	v_lshrrev_b32_e32 v4, 20, v6
	v_min_i32_e32 v5, 15, v7
	v_cmp_gt_i32_e32 vcc_lo, 16, v7
	v_and_b32_sdwa v1, v1, v102 dst_sel:DWORD dst_unused:UNUSED_PAD src0_sel:BYTE_3 src1_sel:DWORD
	v_lshlrev_b32_e32 v5, 3, v5
	v_cndmask_b32_e32 v4, 7, v4, vcc_lo
	v_and_b32_e32 v5, 0xf8, v5
	v_or_b32_e32 v6, v7, v4
	v_and_b32_e32 v4, 7, v4
	v_cmp_ne_u32_e32 vcc_lo, 0, v6
	v_or3_b32 v1, v1, v5, v4
	v_lshlrev_b32_e32 v1, 8, v1
	v_cndmask_b32_e32 v123, 0, v1, vcc_lo
.LBB6_6121:                             ;   in Loop: Header=BB6_4858 Depth=2
	s_or_b32 exec_lo, exec_lo, s40
.LBB6_6122:                             ;   in Loop: Header=BB6_4858 Depth=2
	s_or_b32 exec_lo, exec_lo, s29
	v_or_b32_e32 v4, v82, v125
	s_mov_b32 s29, 0
	v_cmp_gt_i16_sdwa s12, v4, v101 src0_sel:BYTE_0 src1_sel:DWORD
	s_and_saveexec_b32 s40, s12
	s_xor_b32 s12, exec_lo, s40
	s_cbranch_execz .LBB6_7240
; %bb.6123:                             ;   in Loop: Header=BB6_4858 Depth=2
	v_cmp_eq_u16_sdwa s41, v4, v102 src0_sel:BYTE_0 src1_sel:DWORD
	s_mov_b32 s29, -1
	s_and_saveexec_b32 s40, s41
; %bb.6124:                             ;   in Loop: Header=BB6_4858 Depth=2
	s_xor_b32 s29, exec_lo, -1
; %bb.6125:                             ;   in Loop: Header=BB6_4858 Depth=2
	s_or_b32 exec_lo, exec_lo, s40
	s_and_b32 s29, s29, exec_lo
	s_or_saveexec_b32 s12, s12
	v_mov_b32_e32 v1, 0x7f800001
	s_xor_b32 exec_lo, exec_lo, s12
	s_cbranch_execnz .LBB6_7241
.LBB6_6126:                             ;   in Loop: Header=BB6_4858 Depth=2
	s_or_b32 exec_lo, exec_lo, s12
	v_lshl_or_b32 v0, v4, 16, v0
	s_and_saveexec_b32 s12, s29
	s_cbranch_execz .LBB6_6128
.LBB6_6127:                             ;   in Loop: Header=BB6_4858 Depth=2
	v_bfe_u32 v1, v0, 16, 3
	v_bfe_u32 v4, v0, 19, 4
	v_ffbh_u32_e32 v5, v1
	v_cmp_eq_u32_e32 vcc_lo, 0, v4
	v_min_u32_e32 v5, 32, v5
	v_subrev_nc_u32_e32 v6, 28, v5
	v_sub_nc_u32_e32 v5, 29, v5
	v_lshlrev_b32_sdwa v6, v6, v0 dst_sel:DWORD dst_unused:UNUSED_PAD src0_sel:DWORD src1_sel:WORD_1
	v_cndmask_b32_e32 v4, v4, v5, vcc_lo
	v_lshlrev_b32_e32 v5, 8, v0
	v_and_b32_e32 v6, 7, v6
	v_lshl_add_u32 v4, v4, 23, 0x3b800000
	v_and_b32_e32 v5, 0x80000000, v5
	v_cndmask_b32_e32 v1, v1, v6, vcc_lo
	v_lshlrev_b32_e32 v1, 20, v1
	v_or3_b32 v1, v5, v4, v1
.LBB6_6128:                             ;   in Loop: Header=BB6_4858 Depth=2
	s_or_b32 exec_lo, exec_lo, s12
	v_and_b32_sdwa v5, v18, v113 dst_sel:DWORD dst_unused:UNUSED_PAD src0_sel:WORD_1 src1_sel:DWORD
	s_mov_b32 s29, 0
	s_mov_b32 s12, exec_lo
	v_cmpx_lt_i16_e32 0x7f, v5
	s_xor_b32 s12, exec_lo, s12
	s_cbranch_execz .LBB6_7242
; %bb.6129:                             ;   in Loop: Header=BB6_4858 Depth=2
	s_mov_b32 s29, -1
	s_mov_b32 s40, exec_lo
	v_cmpx_eq_u16_e32 0x80, v5
; %bb.6130:                             ;   in Loop: Header=BB6_4858 Depth=2
	s_xor_b32 s29, exec_lo, -1
; %bb.6131:                             ;   in Loop: Header=BB6_4858 Depth=2
	s_or_b32 exec_lo, exec_lo, s40
	s_and_b32 s29, s29, exec_lo
                                        ; implicit-def: $vgpr5
	s_or_saveexec_b32 s12, s12
	v_mov_b32_e32 v4, 0x7f800001
	s_xor_b32 exec_lo, exec_lo, s12
	s_cbranch_execnz .LBB6_7243
.LBB6_6132:                             ;   in Loop: Header=BB6_4858 Depth=2
	s_or_b32 exec_lo, exec_lo, s12
	s_and_saveexec_b32 s12, s29
	s_cbranch_execz .LBB6_6134
.LBB6_6133:                             ;   in Loop: Header=BB6_4858 Depth=2
	v_bfe_u32 v4, v18, 16, 3
	v_bfe_u32 v5, v18, 19, 4
	v_ffbh_u32_e32 v6, v4
	v_cmp_eq_u32_e32 vcc_lo, 0, v5
	v_min_u32_e32 v6, 32, v6
	v_subrev_nc_u32_e32 v7, 28, v6
	v_sub_nc_u32_e32 v6, 29, v6
	v_lshlrev_b32_sdwa v7, v7, v18 dst_sel:DWORD dst_unused:UNUSED_PAD src0_sel:DWORD src1_sel:WORD_1
	v_cndmask_b32_e32 v5, v5, v6, vcc_lo
	v_lshlrev_b32_e32 v6, 8, v18
	v_and_b32_e32 v7, 7, v7
	v_lshl_add_u32 v5, v5, 23, 0x3b800000
	v_and_b32_e32 v6, 0x80000000, v6
	v_cndmask_b32_e32 v4, v4, v7, vcc_lo
	v_lshlrev_b32_e32 v4, 20, v4
	v_or3_b32 v4, v6, v5, v4
.LBB6_6134:                             ;   in Loop: Header=BB6_4858 Depth=2
	s_or_b32 exec_lo, exec_lo, s12
	v_add_f32_e32 v1, v1, v4
	v_mov_b32_e32 v125, 0x80
	s_mov_b32 s29, exec_lo
	v_and_b32_e32 v4, 0x7f800000, v1
	v_cmpx_ne_u32_e32 0x7f800000, v4
	s_cbranch_execz .LBB6_6142
; %bb.6135:                             ;   in Loop: Header=BB6_4858 Depth=2
	v_mov_b32_e32 v125, 0
	s_mov_b32 s40, exec_lo
	v_cmpx_ne_u32_e32 0, v1
	s_cbranch_execz .LBB6_6141
; %bb.6136:                             ;   in Loop: Header=BB6_4858 Depth=2
	v_bfe_u32 v5, v1, 23, 8
	v_and_b32_e32 v4, 0x7fffff, v1
	v_cmp_gt_u32_e64 s12, 0x79, v5
	v_sub_nc_u32_e32 v6, 0x78, v5
	v_cmp_eq_u32_e32 vcc_lo, 0, v5
	v_or_b32_e32 v7, 0x800000, v4
	v_cndmask_b32_e64 v6, 0, v6, s12
	v_cndmask_b32_e32 v4, v7, v4, vcc_lo
	v_cndmask_b32_e64 v6, v6, 0x77, vcc_lo
	v_lshl_add_u32 v7, 0x100000, v6, -1
	v_lshlrev_b32_e64 v8, v6, 0x80000
	v_and_b32_e32 v7, v7, v4
	v_cmp_eq_u32_e64 s12, v7, v8
	v_lshrrev_b32_e32 v7, v6, v4
	v_add_nc_u32_e32 v4, 0xffffff89, v5
	v_lshrrev_b32_e32 v5, 23, v7
	v_cndmask_b32_e64 v4, v4, 0xffffff8a, vcc_lo
	v_xor_b32_e32 v5, 1, v5
	v_add_nc_u32_e32 v4, v6, v4
	v_bfe_u32 v6, v7, 20, 1
	v_add_nc_u32_e32 v6, -1, v6
	v_cndmask_b32_e64 v6, 0, v6, s12
	s_mov_b32 s12, exec_lo
	v_add_nc_u32_e32 v6, v6, v7
	v_and_b32_e32 v6, 0xfffff, v6
	v_add_nc_u32_e32 v6, v6, v7
                                        ; implicit-def: $vgpr7
	v_cmpx_ne_u32_e64 v4, v5
	s_xor_b32 s12, exec_lo, s12
; %bb.6137:                             ;   in Loop: Header=BB6_4858 Depth=2
	v_cmp_lt_u32_e32 vcc_lo, 0xffffff, v6
	v_sub_nc_u32_e32 v4, v4, v5
	v_cndmask_b32_e64 v5, 0, 1, vcc_lo
	v_add_co_ci_u32_e64 v7, null, 0, v4, vcc_lo
	v_lshrrev_b32_e32 v6, v5, v6
; %bb.6138:                             ;   in Loop: Header=BB6_4858 Depth=2
	s_andn2_saveexec_b32 s12, s12
; %bb.6139:                             ;   in Loop: Header=BB6_4858 Depth=2
	v_bfe_u32 v7, v6, 23, 1
; %bb.6140:                             ;   in Loop: Header=BB6_4858 Depth=2
	s_or_b32 exec_lo, exec_lo, s12
	v_lshrrev_b32_e32 v4, 20, v6
	v_min_i32_e32 v5, 15, v7
	v_cmp_gt_i32_e32 vcc_lo, 16, v7
	v_and_b32_sdwa v1, v1, v102 dst_sel:DWORD dst_unused:UNUSED_PAD src0_sel:BYTE_3 src1_sel:DWORD
	v_lshlrev_b32_e32 v5, 3, v5
	v_cndmask_b32_e32 v4, 7, v4, vcc_lo
	v_and_b32_e32 v5, 0xf8, v5
	v_or_b32_e32 v6, v7, v4
	v_and_b32_e32 v4, 7, v4
	v_cmp_ne_u32_e32 vcc_lo, 0, v6
	v_or3_b32 v1, v5, v1, v4
	v_cndmask_b32_e32 v125, 0, v1, vcc_lo
.LBB6_6141:                             ;   in Loop: Header=BB6_4858 Depth=2
	s_or_b32 exec_lo, exec_lo, s40
.LBB6_6142:                             ;   in Loop: Header=BB6_4858 Depth=2
	s_or_b32 exec_lo, exec_lo, s29
	v_cmp_gt_i16_sdwa s29, v0, v101 src0_sel:BYTE_3 src1_sel:DWORD
	s_mov_b32 s12, 0
	s_and_saveexec_b32 s40, s29
	s_xor_b32 s29, exec_lo, s40
	s_cbranch_execz .LBB6_7244
; %bb.6143:                             ;   in Loop: Header=BB6_4858 Depth=2
	v_cmp_eq_u16_sdwa s41, v0, v102 src0_sel:BYTE_3 src1_sel:DWORD
	s_mov_b32 s12, -1
	s_and_saveexec_b32 s40, s41
; %bb.6144:                             ;   in Loop: Header=BB6_4858 Depth=2
	s_xor_b32 s12, exec_lo, -1
; %bb.6145:                             ;   in Loop: Header=BB6_4858 Depth=2
	s_or_b32 exec_lo, exec_lo, s40
	s_and_b32 s12, s12, exec_lo
	s_or_saveexec_b32 s29, s29
	v_mov_b32_e32 v1, 0x7f800001
	s_xor_b32 exec_lo, exec_lo, s29
	s_cbranch_execnz .LBB6_7245
.LBB6_6146:                             ;   in Loop: Header=BB6_4858 Depth=2
	s_or_b32 exec_lo, exec_lo, s29
	s_and_saveexec_b32 s29, s12
	s_cbranch_execz .LBB6_6148
.LBB6_6147:                             ;   in Loop: Header=BB6_4858 Depth=2
	v_bfe_u32 v1, v0, 24, 3
	v_bfe_u32 v6, v0, 27, 4
	v_ffbh_u32_e32 v4, v1
	v_cmp_eq_u32_e32 vcc_lo, 0, v6
	v_min_u32_e32 v4, 32, v4
	v_subrev_nc_u32_e32 v5, 28, v4
	v_sub_nc_u32_e32 v4, 29, v4
	v_lshlrev_b32_sdwa v5, v5, v0 dst_sel:DWORD dst_unused:UNUSED_PAD src0_sel:DWORD src1_sel:BYTE_3
	v_cndmask_b32_e32 v4, v6, v4, vcc_lo
	v_and_b32_e32 v0, 0x80000000, v0
	v_and_b32_e32 v5, 7, v5
	v_lshl_add_u32 v4, v4, 23, 0x3b800000
	v_cndmask_b32_e32 v1, v1, v5, vcc_lo
	v_lshlrev_b32_e32 v1, 20, v1
	v_or3_b32 v1, v0, v4, v1
.LBB6_6148:                             ;   in Loop: Header=BB6_4858 Depth=2
	s_or_b32 exec_lo, exec_lo, s29
	v_cmp_gt_i16_sdwa s29, v18, v101 src0_sel:BYTE_3 src1_sel:DWORD
	s_mov_b32 s12, 0
	s_and_saveexec_b32 s40, s29
	s_xor_b32 s29, exec_lo, s40
	s_cbranch_execz .LBB6_7246
; %bb.6149:                             ;   in Loop: Header=BB6_4858 Depth=2
	v_cmp_eq_u16_sdwa s41, v18, v102 src0_sel:BYTE_3 src1_sel:DWORD
	s_mov_b32 s12, -1
	s_and_saveexec_b32 s40, s41
; %bb.6150:                             ;   in Loop: Header=BB6_4858 Depth=2
	s_xor_b32 s12, exec_lo, -1
; %bb.6151:                             ;   in Loop: Header=BB6_4858 Depth=2
	s_or_b32 exec_lo, exec_lo, s40
	s_and_b32 s12, s12, exec_lo
	s_or_saveexec_b32 s29, s29
	v_mov_b32_e32 v0, 0x7f800001
	s_xor_b32 exec_lo, exec_lo, s29
	s_cbranch_execnz .LBB6_7247
.LBB6_6152:                             ;   in Loop: Header=BB6_4858 Depth=2
	s_or_b32 exec_lo, exec_lo, s29
	s_and_saveexec_b32 s29, s12
	s_cbranch_execz .LBB6_6154
.LBB6_6153:                             ;   in Loop: Header=BB6_4858 Depth=2
	v_bfe_u32 v0, v18, 24, 3
	v_bfe_u32 v6, v18, 27, 4
	v_ffbh_u32_e32 v4, v0
	v_cmp_eq_u32_e32 vcc_lo, 0, v6
	v_min_u32_e32 v4, 32, v4
	v_subrev_nc_u32_e32 v5, 28, v4
	v_sub_nc_u32_e32 v4, 29, v4
	v_lshlrev_b32_sdwa v5, v5, v18 dst_sel:DWORD dst_unused:UNUSED_PAD src0_sel:DWORD src1_sel:BYTE_3
	v_cndmask_b32_e32 v4, v6, v4, vcc_lo
	v_and_b32_e32 v5, 7, v5
	v_lshl_add_u32 v4, v4, 23, 0x3b800000
	v_cndmask_b32_e32 v0, v0, v5, vcc_lo
	v_and_b32_e32 v5, 0x80000000, v18
	v_lshlrev_b32_e32 v0, 20, v0
	v_or3_b32 v0, v5, v4, v0
.LBB6_6154:                             ;   in Loop: Header=BB6_4858 Depth=2
	s_or_b32 exec_lo, exec_lo, s29
	v_add_f32_e32 v0, v1, v0
	v_mov_b32_e32 v18, 0x8000
	s_mov_b32 s29, exec_lo
	v_and_b32_e32 v1, 0x7f800000, v0
	v_cmpx_ne_u32_e32 0x7f800000, v1
	s_cbranch_execz .LBB6_6162
; %bb.6155:                             ;   in Loop: Header=BB6_4858 Depth=2
	v_mov_b32_e32 v18, 0
	s_mov_b32 s40, exec_lo
	v_cmpx_ne_u32_e32 0, v0
	s_cbranch_execz .LBB6_6161
; %bb.6156:                             ;   in Loop: Header=BB6_4858 Depth=2
	v_bfe_u32 v4, v0, 23, 8
	v_and_b32_e32 v1, 0x7fffff, v0
	v_cmp_gt_u32_e64 s12, 0x79, v4
	v_sub_nc_u32_e32 v5, 0x78, v4
	v_cmp_eq_u32_e32 vcc_lo, 0, v4
	v_or_b32_e32 v6, 0x800000, v1
	v_cndmask_b32_e64 v5, 0, v5, s12
	v_cndmask_b32_e32 v1, v6, v1, vcc_lo
	v_cndmask_b32_e64 v5, v5, 0x77, vcc_lo
	v_lshl_add_u32 v6, 0x100000, v5, -1
	v_lshlrev_b32_e64 v7, v5, 0x80000
	v_and_b32_e32 v6, v6, v1
	v_cmp_eq_u32_e64 s12, v6, v7
	v_lshrrev_b32_e32 v6, v5, v1
	v_add_nc_u32_e32 v1, 0xffffff89, v4
	v_lshrrev_b32_e32 v4, 23, v6
	v_cndmask_b32_e64 v1, v1, 0xffffff8a, vcc_lo
	v_xor_b32_e32 v4, 1, v4
	v_add_nc_u32_e32 v1, v5, v1
	v_bfe_u32 v5, v6, 20, 1
	v_add_nc_u32_e32 v5, -1, v5
	v_cndmask_b32_e64 v5, 0, v5, s12
	s_mov_b32 s12, exec_lo
	v_add_nc_u32_e32 v5, v5, v6
	v_and_b32_e32 v5, 0xfffff, v5
	v_add_nc_u32_e32 v5, v5, v6
                                        ; implicit-def: $vgpr6
	v_cmpx_ne_u32_e64 v1, v4
	s_xor_b32 s12, exec_lo, s12
; %bb.6157:                             ;   in Loop: Header=BB6_4858 Depth=2
	v_cmp_lt_u32_e32 vcc_lo, 0xffffff, v5
	v_sub_nc_u32_e32 v1, v1, v4
	v_cndmask_b32_e64 v4, 0, 1, vcc_lo
	v_add_co_ci_u32_e64 v6, null, 0, v1, vcc_lo
	v_lshrrev_b32_e32 v5, v4, v5
; %bb.6158:                             ;   in Loop: Header=BB6_4858 Depth=2
	s_andn2_saveexec_b32 s12, s12
; %bb.6159:                             ;   in Loop: Header=BB6_4858 Depth=2
	v_bfe_u32 v6, v5, 23, 1
; %bb.6160:                             ;   in Loop: Header=BB6_4858 Depth=2
	s_or_b32 exec_lo, exec_lo, s12
	v_lshrrev_b32_e32 v1, 20, v5
	v_min_i32_e32 v4, 15, v6
	v_cmp_gt_i32_e32 vcc_lo, 16, v6
	v_and_b32_sdwa v0, v0, v102 dst_sel:DWORD dst_unused:UNUSED_PAD src0_sel:BYTE_3 src1_sel:DWORD
	v_lshlrev_b32_e32 v4, 3, v4
	v_cndmask_b32_e32 v1, 7, v1, vcc_lo
	v_and_b32_e32 v4, 0xf8, v4
	v_or_b32_e32 v5, v6, v1
	v_and_b32_e32 v1, 7, v1
	v_cmp_ne_u32_e32 vcc_lo, 0, v5
	v_or3_b32 v0, v0, v4, v1
	v_lshlrev_b32_e32 v0, 8, v0
	v_cndmask_b32_e32 v18, 0, v0, vcc_lo
.LBB6_6161:                             ;   in Loop: Header=BB6_4858 Depth=2
	s_or_b32 exec_lo, exec_lo, s40
.LBB6_6162:                             ;   in Loop: Header=BB6_4858 Depth=2
	s_or_b32 exec_lo, exec_lo, s29
	v_or_b32_e32 v0, v85, v100
	s_mov_b32 s29, 0
	v_cmp_gt_i16_sdwa s12, v0, v101 src0_sel:BYTE_0 src1_sel:DWORD
	s_and_saveexec_b32 s40, s12
	s_xor_b32 s12, exec_lo, s40
	s_cbranch_execz .LBB6_7248
; %bb.6163:                             ;   in Loop: Header=BB6_4858 Depth=2
	v_cmp_eq_u16_sdwa s41, v0, v102 src0_sel:BYTE_0 src1_sel:DWORD
	s_mov_b32 s29, -1
	s_and_saveexec_b32 s40, s41
; %bb.6164:                             ;   in Loop: Header=BB6_4858 Depth=2
	s_xor_b32 s29, exec_lo, -1
; %bb.6165:                             ;   in Loop: Header=BB6_4858 Depth=2
	s_or_b32 exec_lo, exec_lo, s40
	s_and_b32 s29, s29, exec_lo
	s_or_saveexec_b32 s12, s12
	v_mov_b32_e32 v1, 0x7f800001
	s_xor_b32 exec_lo, exec_lo, s12
	s_cbranch_execnz .LBB6_7249
.LBB6_6166:                             ;   in Loop: Header=BB6_4858 Depth=2
	s_or_b32 exec_lo, exec_lo, s12
	s_and_saveexec_b32 s12, s29
	s_cbranch_execz .LBB6_6168
.LBB6_6167:                             ;   in Loop: Header=BB6_4858 Depth=2
	v_and_b32_e32 v1, 7, v0
	v_bfe_u32 v4, v0, 3, 4
	v_ffbh_u32_e32 v5, v1
	v_cmp_eq_u32_e32 vcc_lo, 0, v4
	v_min_u32_e32 v5, 32, v5
	v_subrev_nc_u32_e32 v6, 28, v5
	v_sub_nc_u32_e32 v5, 29, v5
	v_lshlrev_b32_e32 v6, v6, v0
	v_cndmask_b32_e32 v4, v4, v5, vcc_lo
	v_lshlrev_b32_e32 v5, 24, v0
	v_and_b32_e32 v6, 7, v6
	v_lshl_add_u32 v4, v4, 23, 0x3b800000
	v_and_b32_e32 v5, 0x80000000, v5
	v_cndmask_b32_e32 v1, v1, v6, vcc_lo
	v_lshlrev_b32_e32 v1, 20, v1
	v_or3_b32 v1, v5, v4, v1
.LBB6_6168:                             ;   in Loop: Header=BB6_4858 Depth=2
	s_or_b32 exec_lo, exec_lo, s12
	v_cmp_gt_i16_sdwa s12, v19, v101 src0_sel:BYTE_0 src1_sel:DWORD
	s_mov_b32 s29, 0
	s_and_saveexec_b32 s40, s12
	s_xor_b32 s12, exec_lo, s40
	s_cbranch_execz .LBB6_7250
; %bb.6169:                             ;   in Loop: Header=BB6_4858 Depth=2
	v_cmp_eq_u16_sdwa s41, v19, v102 src0_sel:BYTE_0 src1_sel:DWORD
	s_mov_b32 s29, -1
	s_and_saveexec_b32 s40, s41
; %bb.6170:                             ;   in Loop: Header=BB6_4858 Depth=2
	s_xor_b32 s29, exec_lo, -1
; %bb.6171:                             ;   in Loop: Header=BB6_4858 Depth=2
	s_or_b32 exec_lo, exec_lo, s40
	s_and_b32 s29, s29, exec_lo
	s_or_saveexec_b32 s12, s12
	v_mov_b32_e32 v4, 0x7f800001
	s_xor_b32 exec_lo, exec_lo, s12
	s_cbranch_execnz .LBB6_7251
.LBB6_6172:                             ;   in Loop: Header=BB6_4858 Depth=2
	s_or_b32 exec_lo, exec_lo, s12
	s_and_saveexec_b32 s12, s29
	s_cbranch_execz .LBB6_6174
.LBB6_6173:                             ;   in Loop: Header=BB6_4858 Depth=2
	v_and_b32_e32 v4, 7, v19
	v_bfe_u32 v5, v19, 3, 4
	v_ffbh_u32_e32 v6, v4
	v_cmp_eq_u32_e32 vcc_lo, 0, v5
	v_min_u32_e32 v6, 32, v6
	v_subrev_nc_u32_e32 v7, 28, v6
	v_sub_nc_u32_e32 v6, 29, v6
	v_lshlrev_b32_e32 v7, v7, v19
	v_cndmask_b32_e32 v5, v5, v6, vcc_lo
	v_lshlrev_b32_e32 v6, 24, v19
	v_and_b32_e32 v7, 7, v7
	v_lshl_add_u32 v5, v5, 23, 0x3b800000
	v_and_b32_e32 v6, 0x80000000, v6
	v_cndmask_b32_e32 v4, v4, v7, vcc_lo
	v_lshlrev_b32_e32 v4, 20, v4
	v_or3_b32 v4, v6, v5, v4
.LBB6_6174:                             ;   in Loop: Header=BB6_4858 Depth=2
	s_or_b32 exec_lo, exec_lo, s12
	v_add_f32_e32 v1, v1, v4
	v_mov_b32_e32 v100, 0x80
	s_mov_b32 s29, exec_lo
	v_and_b32_e32 v4, 0x7f800000, v1
	v_cmpx_ne_u32_e32 0x7f800000, v4
	s_cbranch_execz .LBB6_6182
; %bb.6175:                             ;   in Loop: Header=BB6_4858 Depth=2
	v_mov_b32_e32 v100, 0
	s_mov_b32 s40, exec_lo
	v_cmpx_ne_u32_e32 0, v1
	s_cbranch_execz .LBB6_6181
; %bb.6176:                             ;   in Loop: Header=BB6_4858 Depth=2
	v_bfe_u32 v5, v1, 23, 8
	v_and_b32_e32 v4, 0x7fffff, v1
	v_cmp_gt_u32_e64 s12, 0x79, v5
	v_sub_nc_u32_e32 v6, 0x78, v5
	v_cmp_eq_u32_e32 vcc_lo, 0, v5
	v_or_b32_e32 v7, 0x800000, v4
	v_cndmask_b32_e64 v6, 0, v6, s12
	v_cndmask_b32_e32 v4, v7, v4, vcc_lo
	v_cndmask_b32_e64 v6, v6, 0x77, vcc_lo
	v_lshl_add_u32 v7, 0x100000, v6, -1
	v_lshlrev_b32_e64 v8, v6, 0x80000
	v_and_b32_e32 v7, v7, v4
	v_cmp_eq_u32_e64 s12, v7, v8
	v_lshrrev_b32_e32 v7, v6, v4
	v_add_nc_u32_e32 v4, 0xffffff89, v5
	v_lshrrev_b32_e32 v5, 23, v7
	v_cndmask_b32_e64 v4, v4, 0xffffff8a, vcc_lo
	v_xor_b32_e32 v5, 1, v5
	v_add_nc_u32_e32 v4, v6, v4
	v_bfe_u32 v6, v7, 20, 1
	v_add_nc_u32_e32 v6, -1, v6
	v_cndmask_b32_e64 v6, 0, v6, s12
	s_mov_b32 s12, exec_lo
	v_add_nc_u32_e32 v6, v6, v7
	v_and_b32_e32 v6, 0xfffff, v6
	v_add_nc_u32_e32 v6, v6, v7
                                        ; implicit-def: $vgpr7
	v_cmpx_ne_u32_e64 v4, v5
	s_xor_b32 s12, exec_lo, s12
; %bb.6177:                             ;   in Loop: Header=BB6_4858 Depth=2
	v_cmp_lt_u32_e32 vcc_lo, 0xffffff, v6
	v_sub_nc_u32_e32 v4, v4, v5
	v_cndmask_b32_e64 v5, 0, 1, vcc_lo
	v_add_co_ci_u32_e64 v7, null, 0, v4, vcc_lo
	v_lshrrev_b32_e32 v6, v5, v6
; %bb.6178:                             ;   in Loop: Header=BB6_4858 Depth=2
	s_andn2_saveexec_b32 s12, s12
; %bb.6179:                             ;   in Loop: Header=BB6_4858 Depth=2
	v_bfe_u32 v7, v6, 23, 1
; %bb.6180:                             ;   in Loop: Header=BB6_4858 Depth=2
	s_or_b32 exec_lo, exec_lo, s12
	v_lshrrev_b32_e32 v4, 20, v6
	v_min_i32_e32 v5, 15, v7
	v_cmp_gt_i32_e32 vcc_lo, 16, v7
	v_and_b32_sdwa v1, v1, v102 dst_sel:DWORD dst_unused:UNUSED_PAD src0_sel:BYTE_3 src1_sel:DWORD
	v_lshlrev_b32_e32 v5, 3, v5
	v_cndmask_b32_e32 v4, 7, v4, vcc_lo
	v_and_b32_e32 v5, 0xf8, v5
	v_or_b32_e32 v6, v7, v4
	v_and_b32_e32 v4, 7, v4
	v_cmp_ne_u32_e32 vcc_lo, 0, v6
	v_or3_b32 v1, v5, v1, v4
	v_cndmask_b32_e32 v100, 0, v1, vcc_lo
.LBB6_6181:                             ;   in Loop: Header=BB6_4858 Depth=2
	s_or_b32 exec_lo, exec_lo, s40
.LBB6_6182:                             ;   in Loop: Header=BB6_4858 Depth=2
	s_or_b32 exec_lo, exec_lo, s29
	v_cmp_gt_i16_sdwa s29, v0, v101 src0_sel:BYTE_1 src1_sel:DWORD
	s_mov_b32 s12, 0
	s_and_saveexec_b32 s40, s29
	s_xor_b32 s29, exec_lo, s40
	s_cbranch_execz .LBB6_7252
; %bb.6183:                             ;   in Loop: Header=BB6_4858 Depth=2
	v_cmp_eq_u16_sdwa s41, v0, v102 src0_sel:BYTE_1 src1_sel:DWORD
	s_mov_b32 s12, -1
	s_and_saveexec_b32 s40, s41
; %bb.6184:                             ;   in Loop: Header=BB6_4858 Depth=2
	s_xor_b32 s12, exec_lo, -1
; %bb.6185:                             ;   in Loop: Header=BB6_4858 Depth=2
	s_or_b32 exec_lo, exec_lo, s40
	s_and_b32 s12, s12, exec_lo
	s_or_saveexec_b32 s29, s29
	v_mov_b32_e32 v1, 0x7f800001
	s_xor_b32 exec_lo, exec_lo, s29
	s_cbranch_execnz .LBB6_7253
.LBB6_6186:                             ;   in Loop: Header=BB6_4858 Depth=2
	s_or_b32 exec_lo, exec_lo, s29
	s_and_saveexec_b32 s29, s12
	s_cbranch_execz .LBB6_6188
.LBB6_6187:                             ;   in Loop: Header=BB6_4858 Depth=2
	v_and_b32_sdwa v1, v103, v0 dst_sel:DWORD dst_unused:UNUSED_PAD src0_sel:DWORD src1_sel:BYTE_1
	v_and_b32_e32 v4, 7, v1
	v_bfe_u32 v7, v1, 3, 4
	v_ffbh_u32_e32 v5, v4
	v_cmp_eq_u32_e32 vcc_lo, 0, v7
	v_min_u32_e32 v5, 32, v5
	v_subrev_nc_u32_e32 v6, 28, v5
	v_sub_nc_u32_e32 v5, 29, v5
	v_lshlrev_b32_e32 v1, v6, v1
	v_lshlrev_b32_sdwa v6, v112, v0 dst_sel:DWORD dst_unused:UNUSED_PAD src0_sel:DWORD src1_sel:BYTE_1
	v_cndmask_b32_e32 v5, v7, v5, vcc_lo
	v_and_b32_e32 v1, 7, v1
	v_lshl_add_u32 v5, v5, 23, 0x3b800000
	v_cndmask_b32_e32 v1, v4, v1, vcc_lo
	v_and_b32_e32 v4, 0x80000000, v6
	v_lshlrev_b32_e32 v1, 20, v1
	v_or3_b32 v1, v4, v5, v1
.LBB6_6188:                             ;   in Loop: Header=BB6_4858 Depth=2
	s_or_b32 exec_lo, exec_lo, s29
	v_cmp_gt_i16_sdwa s29, v19, v101 src0_sel:BYTE_1 src1_sel:DWORD
	s_mov_b32 s12, 0
	s_and_saveexec_b32 s40, s29
	s_xor_b32 s29, exec_lo, s40
	s_cbranch_execz .LBB6_7254
; %bb.6189:                             ;   in Loop: Header=BB6_4858 Depth=2
	v_cmp_eq_u16_sdwa s41, v19, v102 src0_sel:BYTE_1 src1_sel:DWORD
	s_mov_b32 s12, -1
	s_and_saveexec_b32 s40, s41
; %bb.6190:                             ;   in Loop: Header=BB6_4858 Depth=2
	s_xor_b32 s12, exec_lo, -1
; %bb.6191:                             ;   in Loop: Header=BB6_4858 Depth=2
	s_or_b32 exec_lo, exec_lo, s40
	s_and_b32 s12, s12, exec_lo
	s_or_saveexec_b32 s29, s29
	v_mov_b32_e32 v4, 0x7f800001
	s_xor_b32 exec_lo, exec_lo, s29
	s_cbranch_execnz .LBB6_7255
.LBB6_6192:                             ;   in Loop: Header=BB6_4858 Depth=2
	s_or_b32 exec_lo, exec_lo, s29
	s_and_saveexec_b32 s29, s12
	s_cbranch_execz .LBB6_6194
.LBB6_6193:                             ;   in Loop: Header=BB6_4858 Depth=2
	v_and_b32_sdwa v4, v103, v19 dst_sel:DWORD dst_unused:UNUSED_PAD src0_sel:DWORD src1_sel:BYTE_1
	v_and_b32_e32 v5, 7, v4
	v_bfe_u32 v8, v4, 3, 4
	v_ffbh_u32_e32 v6, v5
	v_cmp_eq_u32_e32 vcc_lo, 0, v8
	v_min_u32_e32 v6, 32, v6
	v_subrev_nc_u32_e32 v7, 28, v6
	v_sub_nc_u32_e32 v6, 29, v6
	v_lshlrev_b32_e32 v4, v7, v4
	v_lshlrev_b32_sdwa v7, v112, v19 dst_sel:DWORD dst_unused:UNUSED_PAD src0_sel:DWORD src1_sel:BYTE_1
	v_cndmask_b32_e32 v6, v8, v6, vcc_lo
	v_and_b32_e32 v4, 7, v4
	v_lshl_add_u32 v6, v6, 23, 0x3b800000
	v_cndmask_b32_e32 v4, v5, v4, vcc_lo
	v_and_b32_e32 v5, 0x80000000, v7
	v_lshlrev_b32_e32 v4, 20, v4
	v_or3_b32 v4, v5, v6, v4
.LBB6_6194:                             ;   in Loop: Header=BB6_4858 Depth=2
	s_or_b32 exec_lo, exec_lo, s29
	v_add_f32_e32 v1, v1, v4
	v_mov_b32_e32 v85, 0x8000
	s_mov_b32 s29, exec_lo
	v_and_b32_e32 v4, 0x7f800000, v1
	v_cmpx_ne_u32_e32 0x7f800000, v4
	s_cbranch_execz .LBB6_6202
; %bb.6195:                             ;   in Loop: Header=BB6_4858 Depth=2
	v_mov_b32_e32 v85, 0
	s_mov_b32 s40, exec_lo
	v_cmpx_ne_u32_e32 0, v1
	s_cbranch_execz .LBB6_6201
; %bb.6196:                             ;   in Loop: Header=BB6_4858 Depth=2
	v_bfe_u32 v5, v1, 23, 8
	v_and_b32_e32 v4, 0x7fffff, v1
	v_cmp_gt_u32_e64 s12, 0x79, v5
	v_sub_nc_u32_e32 v6, 0x78, v5
	v_cmp_eq_u32_e32 vcc_lo, 0, v5
	v_or_b32_e32 v7, 0x800000, v4
	v_cndmask_b32_e64 v6, 0, v6, s12
	v_cndmask_b32_e32 v4, v7, v4, vcc_lo
	v_cndmask_b32_e64 v6, v6, 0x77, vcc_lo
	v_lshl_add_u32 v7, 0x100000, v6, -1
	v_lshlrev_b32_e64 v8, v6, 0x80000
	v_and_b32_e32 v7, v7, v4
	v_cmp_eq_u32_e64 s12, v7, v8
	v_lshrrev_b32_e32 v7, v6, v4
	v_add_nc_u32_e32 v4, 0xffffff89, v5
	v_lshrrev_b32_e32 v5, 23, v7
	v_cndmask_b32_e64 v4, v4, 0xffffff8a, vcc_lo
	v_xor_b32_e32 v5, 1, v5
	v_add_nc_u32_e32 v4, v6, v4
	v_bfe_u32 v6, v7, 20, 1
	v_add_nc_u32_e32 v6, -1, v6
	v_cndmask_b32_e64 v6, 0, v6, s12
	s_mov_b32 s12, exec_lo
	v_add_nc_u32_e32 v6, v6, v7
	v_and_b32_e32 v6, 0xfffff, v6
	v_add_nc_u32_e32 v6, v6, v7
                                        ; implicit-def: $vgpr7
	v_cmpx_ne_u32_e64 v4, v5
	s_xor_b32 s12, exec_lo, s12
; %bb.6197:                             ;   in Loop: Header=BB6_4858 Depth=2
	v_cmp_lt_u32_e32 vcc_lo, 0xffffff, v6
	v_sub_nc_u32_e32 v4, v4, v5
	v_cndmask_b32_e64 v5, 0, 1, vcc_lo
	v_add_co_ci_u32_e64 v7, null, 0, v4, vcc_lo
	v_lshrrev_b32_e32 v6, v5, v6
; %bb.6198:                             ;   in Loop: Header=BB6_4858 Depth=2
	s_andn2_saveexec_b32 s12, s12
; %bb.6199:                             ;   in Loop: Header=BB6_4858 Depth=2
	v_bfe_u32 v7, v6, 23, 1
; %bb.6200:                             ;   in Loop: Header=BB6_4858 Depth=2
	s_or_b32 exec_lo, exec_lo, s12
	v_lshrrev_b32_e32 v4, 20, v6
	v_min_i32_e32 v5, 15, v7
	v_cmp_gt_i32_e32 vcc_lo, 16, v7
	v_and_b32_sdwa v1, v1, v102 dst_sel:DWORD dst_unused:UNUSED_PAD src0_sel:BYTE_3 src1_sel:DWORD
	v_lshlrev_b32_e32 v5, 3, v5
	v_cndmask_b32_e32 v4, 7, v4, vcc_lo
	v_and_b32_e32 v5, 0xf8, v5
	v_or_b32_e32 v6, v7, v4
	v_and_b32_e32 v4, 7, v4
	v_cmp_ne_u32_e32 vcc_lo, 0, v6
	v_or3_b32 v1, v1, v5, v4
	v_lshlrev_b32_e32 v1, 8, v1
	v_cndmask_b32_e32 v85, 0, v1, vcc_lo
.LBB6_6201:                             ;   in Loop: Header=BB6_4858 Depth=2
	s_or_b32 exec_lo, exec_lo, s40
.LBB6_6202:                             ;   in Loop: Header=BB6_4858 Depth=2
	s_or_b32 exec_lo, exec_lo, s29
	v_or_b32_e32 v4, v29, v28
	s_mov_b32 s29, 0
	v_cmp_gt_i16_sdwa s12, v4, v101 src0_sel:BYTE_0 src1_sel:DWORD
	s_and_saveexec_b32 s40, s12
	s_xor_b32 s12, exec_lo, s40
	s_cbranch_execz .LBB6_7256
; %bb.6203:                             ;   in Loop: Header=BB6_4858 Depth=2
	v_cmp_eq_u16_sdwa s41, v4, v102 src0_sel:BYTE_0 src1_sel:DWORD
	s_mov_b32 s29, -1
	s_and_saveexec_b32 s40, s41
; %bb.6204:                             ;   in Loop: Header=BB6_4858 Depth=2
	s_xor_b32 s29, exec_lo, -1
; %bb.6205:                             ;   in Loop: Header=BB6_4858 Depth=2
	s_or_b32 exec_lo, exec_lo, s40
	s_and_b32 s29, s29, exec_lo
	s_or_saveexec_b32 s12, s12
	v_mov_b32_e32 v1, 0x7f800001
	s_xor_b32 exec_lo, exec_lo, s12
	s_cbranch_execnz .LBB6_7257
.LBB6_6206:                             ;   in Loop: Header=BB6_4858 Depth=2
	s_or_b32 exec_lo, exec_lo, s12
	v_lshl_or_b32 v0, v4, 16, v0
	s_and_saveexec_b32 s12, s29
	s_cbranch_execz .LBB6_6208
.LBB6_6207:                             ;   in Loop: Header=BB6_4858 Depth=2
	v_bfe_u32 v1, v0, 16, 3
	v_bfe_u32 v4, v0, 19, 4
	v_ffbh_u32_e32 v5, v1
	v_cmp_eq_u32_e32 vcc_lo, 0, v4
	v_min_u32_e32 v5, 32, v5
	v_subrev_nc_u32_e32 v6, 28, v5
	v_sub_nc_u32_e32 v5, 29, v5
	v_lshlrev_b32_sdwa v6, v6, v0 dst_sel:DWORD dst_unused:UNUSED_PAD src0_sel:DWORD src1_sel:WORD_1
	v_cndmask_b32_e32 v4, v4, v5, vcc_lo
	v_lshlrev_b32_e32 v5, 8, v0
	v_and_b32_e32 v6, 7, v6
	v_lshl_add_u32 v4, v4, 23, 0x3b800000
	v_and_b32_e32 v5, 0x80000000, v5
	v_cndmask_b32_e32 v1, v1, v6, vcc_lo
	v_lshlrev_b32_e32 v1, 20, v1
	v_or3_b32 v1, v5, v4, v1
.LBB6_6208:                             ;   in Loop: Header=BB6_4858 Depth=2
	s_or_b32 exec_lo, exec_lo, s12
	v_and_b32_sdwa v5, v19, v113 dst_sel:DWORD dst_unused:UNUSED_PAD src0_sel:WORD_1 src1_sel:DWORD
	s_mov_b32 s29, 0
	s_mov_b32 s12, exec_lo
	v_cmpx_lt_i16_e32 0x7f, v5
	s_xor_b32 s12, exec_lo, s12
	s_cbranch_execz .LBB6_7258
; %bb.6209:                             ;   in Loop: Header=BB6_4858 Depth=2
	s_mov_b32 s29, -1
	s_mov_b32 s40, exec_lo
	v_cmpx_eq_u16_e32 0x80, v5
; %bb.6210:                             ;   in Loop: Header=BB6_4858 Depth=2
	s_xor_b32 s29, exec_lo, -1
; %bb.6211:                             ;   in Loop: Header=BB6_4858 Depth=2
	s_or_b32 exec_lo, exec_lo, s40
	s_and_b32 s29, s29, exec_lo
                                        ; implicit-def: $vgpr5
	s_or_saveexec_b32 s12, s12
	v_mov_b32_e32 v4, 0x7f800001
	s_xor_b32 exec_lo, exec_lo, s12
	s_cbranch_execnz .LBB6_7259
.LBB6_6212:                             ;   in Loop: Header=BB6_4858 Depth=2
	s_or_b32 exec_lo, exec_lo, s12
	s_and_saveexec_b32 s12, s29
	s_cbranch_execz .LBB6_6214
.LBB6_6213:                             ;   in Loop: Header=BB6_4858 Depth=2
	v_bfe_u32 v4, v19, 16, 3
	v_bfe_u32 v5, v19, 19, 4
	v_ffbh_u32_e32 v6, v4
	v_cmp_eq_u32_e32 vcc_lo, 0, v5
	v_min_u32_e32 v6, 32, v6
	v_subrev_nc_u32_e32 v7, 28, v6
	v_sub_nc_u32_e32 v6, 29, v6
	v_lshlrev_b32_sdwa v7, v7, v19 dst_sel:DWORD dst_unused:UNUSED_PAD src0_sel:DWORD src1_sel:WORD_1
	v_cndmask_b32_e32 v5, v5, v6, vcc_lo
	v_lshlrev_b32_e32 v6, 8, v19
	v_and_b32_e32 v7, 7, v7
	v_lshl_add_u32 v5, v5, 23, 0x3b800000
	v_and_b32_e32 v6, 0x80000000, v6
	v_cndmask_b32_e32 v4, v4, v7, vcc_lo
	v_lshlrev_b32_e32 v4, 20, v4
	v_or3_b32 v4, v6, v5, v4
.LBB6_6214:                             ;   in Loop: Header=BB6_4858 Depth=2
	s_or_b32 exec_lo, exec_lo, s12
	v_add_f32_e32 v1, v1, v4
	v_mov_b32_e32 v28, 0x80
	s_mov_b32 s29, exec_lo
	v_and_b32_e32 v4, 0x7f800000, v1
	v_cmpx_ne_u32_e32 0x7f800000, v4
	s_cbranch_execz .LBB6_6222
; %bb.6215:                             ;   in Loop: Header=BB6_4858 Depth=2
	v_mov_b32_e32 v28, 0
	s_mov_b32 s40, exec_lo
	v_cmpx_ne_u32_e32 0, v1
	s_cbranch_execz .LBB6_6221
; %bb.6216:                             ;   in Loop: Header=BB6_4858 Depth=2
	v_bfe_u32 v5, v1, 23, 8
	v_and_b32_e32 v4, 0x7fffff, v1
	v_cmp_gt_u32_e64 s12, 0x79, v5
	v_sub_nc_u32_e32 v6, 0x78, v5
	v_cmp_eq_u32_e32 vcc_lo, 0, v5
	v_or_b32_e32 v7, 0x800000, v4
	v_cndmask_b32_e64 v6, 0, v6, s12
	v_cndmask_b32_e32 v4, v7, v4, vcc_lo
	v_cndmask_b32_e64 v6, v6, 0x77, vcc_lo
	v_lshl_add_u32 v7, 0x100000, v6, -1
	v_lshlrev_b32_e64 v8, v6, 0x80000
	v_and_b32_e32 v7, v7, v4
	v_cmp_eq_u32_e64 s12, v7, v8
	v_lshrrev_b32_e32 v7, v6, v4
	v_add_nc_u32_e32 v4, 0xffffff89, v5
	v_lshrrev_b32_e32 v5, 23, v7
	v_cndmask_b32_e64 v4, v4, 0xffffff8a, vcc_lo
	v_xor_b32_e32 v5, 1, v5
	v_add_nc_u32_e32 v4, v6, v4
	v_bfe_u32 v6, v7, 20, 1
	v_add_nc_u32_e32 v6, -1, v6
	v_cndmask_b32_e64 v6, 0, v6, s12
	s_mov_b32 s12, exec_lo
	v_add_nc_u32_e32 v6, v6, v7
	v_and_b32_e32 v6, 0xfffff, v6
	v_add_nc_u32_e32 v6, v6, v7
                                        ; implicit-def: $vgpr7
	v_cmpx_ne_u32_e64 v4, v5
	s_xor_b32 s12, exec_lo, s12
; %bb.6217:                             ;   in Loop: Header=BB6_4858 Depth=2
	v_cmp_lt_u32_e32 vcc_lo, 0xffffff, v6
	v_sub_nc_u32_e32 v4, v4, v5
	v_cndmask_b32_e64 v5, 0, 1, vcc_lo
	v_add_co_ci_u32_e64 v7, null, 0, v4, vcc_lo
	v_lshrrev_b32_e32 v6, v5, v6
; %bb.6218:                             ;   in Loop: Header=BB6_4858 Depth=2
	s_andn2_saveexec_b32 s12, s12
; %bb.6219:                             ;   in Loop: Header=BB6_4858 Depth=2
	v_bfe_u32 v7, v6, 23, 1
; %bb.6220:                             ;   in Loop: Header=BB6_4858 Depth=2
	s_or_b32 exec_lo, exec_lo, s12
	v_lshrrev_b32_e32 v4, 20, v6
	v_min_i32_e32 v5, 15, v7
	v_cmp_gt_i32_e32 vcc_lo, 16, v7
	v_and_b32_sdwa v1, v1, v102 dst_sel:DWORD dst_unused:UNUSED_PAD src0_sel:BYTE_3 src1_sel:DWORD
	v_lshlrev_b32_e32 v5, 3, v5
	v_cndmask_b32_e32 v4, 7, v4, vcc_lo
	v_and_b32_e32 v5, 0xf8, v5
	v_or_b32_e32 v6, v7, v4
	v_and_b32_e32 v4, 7, v4
	v_cmp_ne_u32_e32 vcc_lo, 0, v6
	v_or3_b32 v1, v5, v1, v4
	v_cndmask_b32_e32 v28, 0, v1, vcc_lo
.LBB6_6221:                             ;   in Loop: Header=BB6_4858 Depth=2
	s_or_b32 exec_lo, exec_lo, s40
.LBB6_6222:                             ;   in Loop: Header=BB6_4858 Depth=2
	s_or_b32 exec_lo, exec_lo, s29
	v_cmp_gt_i16_sdwa s29, v0, v101 src0_sel:BYTE_3 src1_sel:DWORD
	s_mov_b32 s12, 0
	s_and_saveexec_b32 s40, s29
	s_xor_b32 s29, exec_lo, s40
	s_cbranch_execz .LBB6_7260
; %bb.6223:                             ;   in Loop: Header=BB6_4858 Depth=2
	v_cmp_eq_u16_sdwa s41, v0, v102 src0_sel:BYTE_3 src1_sel:DWORD
	s_mov_b32 s12, -1
	s_and_saveexec_b32 s40, s41
; %bb.6224:                             ;   in Loop: Header=BB6_4858 Depth=2
	s_xor_b32 s12, exec_lo, -1
; %bb.6225:                             ;   in Loop: Header=BB6_4858 Depth=2
	s_or_b32 exec_lo, exec_lo, s40
	s_and_b32 s12, s12, exec_lo
	s_or_saveexec_b32 s29, s29
	v_mov_b32_e32 v1, 0x7f800001
	s_xor_b32 exec_lo, exec_lo, s29
	s_cbranch_execnz .LBB6_7261
.LBB6_6226:                             ;   in Loop: Header=BB6_4858 Depth=2
	s_or_b32 exec_lo, exec_lo, s29
	s_and_saveexec_b32 s29, s12
	s_cbranch_execz .LBB6_6228
.LBB6_6227:                             ;   in Loop: Header=BB6_4858 Depth=2
	v_bfe_u32 v1, v0, 24, 3
	v_bfe_u32 v6, v0, 27, 4
	v_ffbh_u32_e32 v4, v1
	v_cmp_eq_u32_e32 vcc_lo, 0, v6
	v_min_u32_e32 v4, 32, v4
	v_subrev_nc_u32_e32 v5, 28, v4
	v_sub_nc_u32_e32 v4, 29, v4
	v_lshlrev_b32_sdwa v5, v5, v0 dst_sel:DWORD dst_unused:UNUSED_PAD src0_sel:DWORD src1_sel:BYTE_3
	v_cndmask_b32_e32 v4, v6, v4, vcc_lo
	v_and_b32_e32 v0, 0x80000000, v0
	v_and_b32_e32 v5, 7, v5
	v_lshl_add_u32 v4, v4, 23, 0x3b800000
	v_cndmask_b32_e32 v1, v1, v5, vcc_lo
	v_lshlrev_b32_e32 v1, 20, v1
	v_or3_b32 v1, v0, v4, v1
.LBB6_6228:                             ;   in Loop: Header=BB6_4858 Depth=2
	s_or_b32 exec_lo, exec_lo, s29
	v_cmp_gt_i16_sdwa s29, v19, v101 src0_sel:BYTE_3 src1_sel:DWORD
	s_mov_b32 s12, 0
	s_and_saveexec_b32 s40, s29
	s_xor_b32 s29, exec_lo, s40
	s_cbranch_execz .LBB6_7262
; %bb.6229:                             ;   in Loop: Header=BB6_4858 Depth=2
	v_cmp_eq_u16_sdwa s41, v19, v102 src0_sel:BYTE_3 src1_sel:DWORD
	s_mov_b32 s12, -1
	s_and_saveexec_b32 s40, s41
; %bb.6230:                             ;   in Loop: Header=BB6_4858 Depth=2
	s_xor_b32 s12, exec_lo, -1
; %bb.6231:                             ;   in Loop: Header=BB6_4858 Depth=2
	s_or_b32 exec_lo, exec_lo, s40
	s_and_b32 s12, s12, exec_lo
	s_or_saveexec_b32 s29, s29
	v_mov_b32_e32 v0, 0x7f800001
	s_xor_b32 exec_lo, exec_lo, s29
	s_cbranch_execnz .LBB6_7263
.LBB6_6232:                             ;   in Loop: Header=BB6_4858 Depth=2
	s_or_b32 exec_lo, exec_lo, s29
	s_and_saveexec_b32 s29, s12
	s_cbranch_execz .LBB6_6234
.LBB6_6233:                             ;   in Loop: Header=BB6_4858 Depth=2
	v_bfe_u32 v0, v19, 24, 3
	v_bfe_u32 v6, v19, 27, 4
	v_ffbh_u32_e32 v4, v0
	v_cmp_eq_u32_e32 vcc_lo, 0, v6
	v_min_u32_e32 v4, 32, v4
	v_subrev_nc_u32_e32 v5, 28, v4
	v_sub_nc_u32_e32 v4, 29, v4
	v_lshlrev_b32_sdwa v5, v5, v19 dst_sel:DWORD dst_unused:UNUSED_PAD src0_sel:DWORD src1_sel:BYTE_3
	v_cndmask_b32_e32 v4, v6, v4, vcc_lo
	v_and_b32_e32 v5, 7, v5
	v_lshl_add_u32 v4, v4, 23, 0x3b800000
	v_cndmask_b32_e32 v0, v0, v5, vcc_lo
	v_and_b32_e32 v5, 0x80000000, v19
	v_lshlrev_b32_e32 v0, 20, v0
	v_or3_b32 v0, v5, v4, v0
.LBB6_6234:                             ;   in Loop: Header=BB6_4858 Depth=2
	s_or_b32 exec_lo, exec_lo, s29
	v_add_f32_e32 v0, v1, v0
	v_mov_b32_e32 v19, 0x8000
	s_mov_b32 s29, exec_lo
	v_and_b32_e32 v1, 0x7f800000, v0
	v_cmpx_ne_u32_e32 0x7f800000, v1
	s_cbranch_execz .LBB6_6242
; %bb.6235:                             ;   in Loop: Header=BB6_4858 Depth=2
	v_mov_b32_e32 v19, 0
	s_mov_b32 s40, exec_lo
	v_cmpx_ne_u32_e32 0, v0
	s_cbranch_execz .LBB6_6241
; %bb.6236:                             ;   in Loop: Header=BB6_4858 Depth=2
	v_bfe_u32 v4, v0, 23, 8
	v_and_b32_e32 v1, 0x7fffff, v0
	v_cmp_gt_u32_e64 s12, 0x79, v4
	v_sub_nc_u32_e32 v5, 0x78, v4
	v_cmp_eq_u32_e32 vcc_lo, 0, v4
	v_or_b32_e32 v6, 0x800000, v1
	v_cndmask_b32_e64 v5, 0, v5, s12
	v_cndmask_b32_e32 v1, v6, v1, vcc_lo
	v_cndmask_b32_e64 v5, v5, 0x77, vcc_lo
	v_lshl_add_u32 v6, 0x100000, v5, -1
	v_lshlrev_b32_e64 v7, v5, 0x80000
	v_and_b32_e32 v6, v6, v1
	v_cmp_eq_u32_e64 s12, v6, v7
	v_lshrrev_b32_e32 v6, v5, v1
	v_add_nc_u32_e32 v1, 0xffffff89, v4
	v_lshrrev_b32_e32 v4, 23, v6
	v_cndmask_b32_e64 v1, v1, 0xffffff8a, vcc_lo
	v_xor_b32_e32 v4, 1, v4
	v_add_nc_u32_e32 v1, v5, v1
	v_bfe_u32 v5, v6, 20, 1
	v_add_nc_u32_e32 v5, -1, v5
	v_cndmask_b32_e64 v5, 0, v5, s12
	s_mov_b32 s12, exec_lo
	v_add_nc_u32_e32 v5, v5, v6
	v_and_b32_e32 v5, 0xfffff, v5
	v_add_nc_u32_e32 v5, v5, v6
                                        ; implicit-def: $vgpr6
	v_cmpx_ne_u32_e64 v1, v4
	s_xor_b32 s12, exec_lo, s12
; %bb.6237:                             ;   in Loop: Header=BB6_4858 Depth=2
	v_cmp_lt_u32_e32 vcc_lo, 0xffffff, v5
	v_sub_nc_u32_e32 v1, v1, v4
	v_cndmask_b32_e64 v4, 0, 1, vcc_lo
	v_add_co_ci_u32_e64 v6, null, 0, v1, vcc_lo
	v_lshrrev_b32_e32 v5, v4, v5
; %bb.6238:                             ;   in Loop: Header=BB6_4858 Depth=2
	s_andn2_saveexec_b32 s12, s12
; %bb.6239:                             ;   in Loop: Header=BB6_4858 Depth=2
	v_bfe_u32 v6, v5, 23, 1
; %bb.6240:                             ;   in Loop: Header=BB6_4858 Depth=2
	s_or_b32 exec_lo, exec_lo, s12
	v_lshrrev_b32_e32 v1, 20, v5
	v_min_i32_e32 v4, 15, v6
	v_cmp_gt_i32_e32 vcc_lo, 16, v6
	v_and_b32_sdwa v0, v0, v102 dst_sel:DWORD dst_unused:UNUSED_PAD src0_sel:BYTE_3 src1_sel:DWORD
	v_lshlrev_b32_e32 v4, 3, v4
	v_cndmask_b32_e32 v1, 7, v1, vcc_lo
	v_and_b32_e32 v4, 0xf8, v4
	v_or_b32_e32 v5, v6, v1
	v_and_b32_e32 v1, 7, v1
	v_cmp_ne_u32_e32 vcc_lo, 0, v5
	v_or3_b32 v0, v0, v4, v1
	v_lshlrev_b32_e32 v0, 8, v0
	v_cndmask_b32_e32 v19, 0, v0, vcc_lo
.LBB6_6241:                             ;   in Loop: Header=BB6_4858 Depth=2
	s_or_b32 exec_lo, exec_lo, s40
.LBB6_6242:                             ;   in Loop: Header=BB6_4858 Depth=2
	s_or_b32 exec_lo, exec_lo, s29
	v_or_b32_e32 v1, v126, v31
	s_mov_b32 s29, 0
	v_cmp_gt_i16_sdwa s12, v1, v101 src0_sel:BYTE_0 src1_sel:DWORD
	s_and_saveexec_b32 s40, s12
	s_xor_b32 s12, exec_lo, s40
	s_cbranch_execz .LBB6_7264
; %bb.6243:                             ;   in Loop: Header=BB6_4858 Depth=2
	v_cmp_eq_u16_sdwa s41, v1, v102 src0_sel:BYTE_0 src1_sel:DWORD
	s_mov_b32 s29, -1
	s_and_saveexec_b32 s40, s41
; %bb.6244:                             ;   in Loop: Header=BB6_4858 Depth=2
	s_xor_b32 s29, exec_lo, -1
; %bb.6245:                             ;   in Loop: Header=BB6_4858 Depth=2
	s_or_b32 exec_lo, exec_lo, s40
	s_and_b32 s29, s29, exec_lo
	s_or_saveexec_b32 s12, s12
	v_mov_b32_e32 v0, 0x7f800001
	s_xor_b32 exec_lo, exec_lo, s12
	s_cbranch_execnz .LBB6_7265
.LBB6_6246:                             ;   in Loop: Header=BB6_4858 Depth=2
	s_or_b32 exec_lo, exec_lo, s12
	s_and_saveexec_b32 s12, s29
	s_cbranch_execz .LBB6_6248
.LBB6_6247:                             ;   in Loop: Header=BB6_4858 Depth=2
	v_and_b32_e32 v0, 7, v1
	v_bfe_u32 v4, v1, 3, 4
	v_ffbh_u32_e32 v5, v0
	v_cmp_eq_u32_e32 vcc_lo, 0, v4
	v_min_u32_e32 v5, 32, v5
	v_subrev_nc_u32_e32 v6, 28, v5
	v_sub_nc_u32_e32 v5, 29, v5
	v_lshlrev_b32_e32 v6, v6, v1
	v_cndmask_b32_e32 v4, v4, v5, vcc_lo
	v_lshlrev_b32_e32 v5, 24, v1
	v_and_b32_e32 v6, 7, v6
	v_lshl_add_u32 v4, v4, 23, 0x3b800000
	v_and_b32_e32 v5, 0x80000000, v5
	v_cndmask_b32_e32 v0, v0, v6, vcc_lo
	v_lshlrev_b32_e32 v0, 20, v0
	v_or3_b32 v0, v5, v4, v0
.LBB6_6248:                             ;   in Loop: Header=BB6_4858 Depth=2
	s_or_b32 exec_lo, exec_lo, s12
	v_cmp_gt_i16_sdwa s12, v20, v101 src0_sel:BYTE_0 src1_sel:DWORD
	s_mov_b32 s29, 0
	s_and_saveexec_b32 s40, s12
	s_xor_b32 s12, exec_lo, s40
	s_cbranch_execz .LBB6_7266
; %bb.6249:                             ;   in Loop: Header=BB6_4858 Depth=2
	v_cmp_eq_u16_sdwa s41, v20, v102 src0_sel:BYTE_0 src1_sel:DWORD
	s_mov_b32 s29, -1
	s_and_saveexec_b32 s40, s41
; %bb.6250:                             ;   in Loop: Header=BB6_4858 Depth=2
	s_xor_b32 s29, exec_lo, -1
; %bb.6251:                             ;   in Loop: Header=BB6_4858 Depth=2
	s_or_b32 exec_lo, exec_lo, s40
	s_and_b32 s29, s29, exec_lo
	s_or_saveexec_b32 s12, s12
	v_mov_b32_e32 v4, 0x7f800001
	s_xor_b32 exec_lo, exec_lo, s12
	s_cbranch_execnz .LBB6_7267
.LBB6_6252:                             ;   in Loop: Header=BB6_4858 Depth=2
	s_or_b32 exec_lo, exec_lo, s12
	s_and_saveexec_b32 s12, s29
	s_cbranch_execz .LBB6_6254
.LBB6_6253:                             ;   in Loop: Header=BB6_4858 Depth=2
	v_and_b32_e32 v4, 7, v20
	v_bfe_u32 v5, v20, 3, 4
	v_ffbh_u32_e32 v6, v4
	v_cmp_eq_u32_e32 vcc_lo, 0, v5
	v_min_u32_e32 v6, 32, v6
	v_subrev_nc_u32_e32 v7, 28, v6
	v_sub_nc_u32_e32 v6, 29, v6
	v_lshlrev_b32_e32 v7, v7, v20
	v_cndmask_b32_e32 v5, v5, v6, vcc_lo
	v_lshlrev_b32_e32 v6, 24, v20
	v_and_b32_e32 v7, 7, v7
	v_lshl_add_u32 v5, v5, 23, 0x3b800000
	v_and_b32_e32 v6, 0x80000000, v6
	v_cndmask_b32_e32 v4, v4, v7, vcc_lo
	v_lshlrev_b32_e32 v4, 20, v4
	v_or3_b32 v4, v6, v5, v4
.LBB6_6254:                             ;   in Loop: Header=BB6_4858 Depth=2
	s_or_b32 exec_lo, exec_lo, s12
	v_add_f32_e32 v0, v0, v4
	v_mov_b32_e32 v26, 0x80
	s_mov_b32 s29, exec_lo
	v_and_b32_e32 v4, 0x7f800000, v0
	v_cmpx_ne_u32_e32 0x7f800000, v4
	s_cbranch_execz .LBB6_6262
; %bb.6255:                             ;   in Loop: Header=BB6_4858 Depth=2
	v_mov_b32_e32 v26, 0
	s_mov_b32 s40, exec_lo
	v_cmpx_ne_u32_e32 0, v0
	s_cbranch_execz .LBB6_6261
; %bb.6256:                             ;   in Loop: Header=BB6_4858 Depth=2
	v_bfe_u32 v5, v0, 23, 8
	v_and_b32_e32 v4, 0x7fffff, v0
	v_cmp_gt_u32_e64 s12, 0x79, v5
	v_sub_nc_u32_e32 v6, 0x78, v5
	v_cmp_eq_u32_e32 vcc_lo, 0, v5
	v_or_b32_e32 v7, 0x800000, v4
	v_cndmask_b32_e64 v6, 0, v6, s12
	v_cndmask_b32_e32 v4, v7, v4, vcc_lo
	v_cndmask_b32_e64 v6, v6, 0x77, vcc_lo
	v_lshl_add_u32 v7, 0x100000, v6, -1
	v_lshlrev_b32_e64 v8, v6, 0x80000
	v_and_b32_e32 v7, v7, v4
	v_cmp_eq_u32_e64 s12, v7, v8
	v_lshrrev_b32_e32 v7, v6, v4
	v_add_nc_u32_e32 v4, 0xffffff89, v5
	v_lshrrev_b32_e32 v5, 23, v7
	v_cndmask_b32_e64 v4, v4, 0xffffff8a, vcc_lo
	v_xor_b32_e32 v5, 1, v5
	v_add_nc_u32_e32 v4, v6, v4
	v_bfe_u32 v6, v7, 20, 1
	v_add_nc_u32_e32 v6, -1, v6
	v_cndmask_b32_e64 v6, 0, v6, s12
	s_mov_b32 s12, exec_lo
	v_add_nc_u32_e32 v6, v6, v7
	v_and_b32_e32 v6, 0xfffff, v6
	v_add_nc_u32_e32 v6, v6, v7
                                        ; implicit-def: $vgpr7
	v_cmpx_ne_u32_e64 v4, v5
	s_xor_b32 s12, exec_lo, s12
; %bb.6257:                             ;   in Loop: Header=BB6_4858 Depth=2
	v_cmp_lt_u32_e32 vcc_lo, 0xffffff, v6
	v_sub_nc_u32_e32 v4, v4, v5
	v_cndmask_b32_e64 v5, 0, 1, vcc_lo
	v_add_co_ci_u32_e64 v7, null, 0, v4, vcc_lo
	v_lshrrev_b32_e32 v6, v5, v6
; %bb.6258:                             ;   in Loop: Header=BB6_4858 Depth=2
	s_andn2_saveexec_b32 s12, s12
; %bb.6259:                             ;   in Loop: Header=BB6_4858 Depth=2
	v_bfe_u32 v7, v6, 23, 1
; %bb.6260:                             ;   in Loop: Header=BB6_4858 Depth=2
	s_or_b32 exec_lo, exec_lo, s12
	v_lshrrev_b32_e32 v4, 20, v6
	v_min_i32_e32 v5, 15, v7
	v_cmp_gt_i32_e32 vcc_lo, 16, v7
	v_and_b32_sdwa v0, v0, v102 dst_sel:DWORD dst_unused:UNUSED_PAD src0_sel:BYTE_3 src1_sel:DWORD
	v_lshlrev_b32_e32 v5, 3, v5
	v_cndmask_b32_e32 v4, 7, v4, vcc_lo
	v_and_b32_e32 v5, 0xf8, v5
	v_or_b32_e32 v6, v7, v4
	v_and_b32_e32 v4, 7, v4
	v_cmp_ne_u32_e32 vcc_lo, 0, v6
	v_or3_b32 v0, v5, v0, v4
	v_cndmask_b32_e32 v26, 0, v0, vcc_lo
.LBB6_6261:                             ;   in Loop: Header=BB6_4858 Depth=2
	s_or_b32 exec_lo, exec_lo, s40
.LBB6_6262:                             ;   in Loop: Header=BB6_4858 Depth=2
	s_or_b32 exec_lo, exec_lo, s29
	v_cmp_gt_i16_sdwa s29, v1, v101 src0_sel:BYTE_1 src1_sel:DWORD
	s_mov_b32 s12, 0
	s_and_saveexec_b32 s40, s29
	s_xor_b32 s29, exec_lo, s40
	s_cbranch_execz .LBB6_7268
; %bb.6263:                             ;   in Loop: Header=BB6_4858 Depth=2
	v_cmp_eq_u16_sdwa s41, v1, v102 src0_sel:BYTE_1 src1_sel:DWORD
	s_mov_b32 s12, -1
	s_and_saveexec_b32 s40, s41
; %bb.6264:                             ;   in Loop: Header=BB6_4858 Depth=2
	s_xor_b32 s12, exec_lo, -1
; %bb.6265:                             ;   in Loop: Header=BB6_4858 Depth=2
	s_or_b32 exec_lo, exec_lo, s40
	s_and_b32 s12, s12, exec_lo
	s_or_saveexec_b32 s29, s29
	v_mov_b32_e32 v0, 0x7f800001
	s_xor_b32 exec_lo, exec_lo, s29
	s_cbranch_execnz .LBB6_7269
.LBB6_6266:                             ;   in Loop: Header=BB6_4858 Depth=2
	s_or_b32 exec_lo, exec_lo, s29
	s_and_saveexec_b32 s29, s12
	s_cbranch_execz .LBB6_6268
.LBB6_6267:                             ;   in Loop: Header=BB6_4858 Depth=2
	v_and_b32_sdwa v0, v103, v1 dst_sel:DWORD dst_unused:UNUSED_PAD src0_sel:DWORD src1_sel:BYTE_1
	v_and_b32_e32 v4, 7, v0
	v_bfe_u32 v7, v0, 3, 4
	v_ffbh_u32_e32 v5, v4
	v_cmp_eq_u32_e32 vcc_lo, 0, v7
	v_min_u32_e32 v5, 32, v5
	v_subrev_nc_u32_e32 v6, 28, v5
	v_sub_nc_u32_e32 v5, 29, v5
	v_lshlrev_b32_e32 v0, v6, v0
	v_lshlrev_b32_sdwa v6, v112, v1 dst_sel:DWORD dst_unused:UNUSED_PAD src0_sel:DWORD src1_sel:BYTE_1
	v_cndmask_b32_e32 v5, v7, v5, vcc_lo
	v_and_b32_e32 v0, 7, v0
	v_lshl_add_u32 v5, v5, 23, 0x3b800000
	v_cndmask_b32_e32 v0, v4, v0, vcc_lo
	v_and_b32_e32 v4, 0x80000000, v6
	v_lshlrev_b32_e32 v0, 20, v0
	v_or3_b32 v0, v4, v5, v0
.LBB6_6268:                             ;   in Loop: Header=BB6_4858 Depth=2
	s_or_b32 exec_lo, exec_lo, s29
	v_cmp_gt_i16_sdwa s29, v20, v101 src0_sel:BYTE_1 src1_sel:DWORD
	s_mov_b32 s12, 0
	s_and_saveexec_b32 s40, s29
	s_xor_b32 s29, exec_lo, s40
	s_cbranch_execz .LBB6_7270
; %bb.6269:                             ;   in Loop: Header=BB6_4858 Depth=2
	v_cmp_eq_u16_sdwa s41, v20, v102 src0_sel:BYTE_1 src1_sel:DWORD
	s_mov_b32 s12, -1
	s_and_saveexec_b32 s40, s41
; %bb.6270:                             ;   in Loop: Header=BB6_4858 Depth=2
	s_xor_b32 s12, exec_lo, -1
; %bb.6271:                             ;   in Loop: Header=BB6_4858 Depth=2
	s_or_b32 exec_lo, exec_lo, s40
	s_and_b32 s12, s12, exec_lo
	s_or_saveexec_b32 s29, s29
	v_mov_b32_e32 v4, 0x7f800001
	s_xor_b32 exec_lo, exec_lo, s29
	s_cbranch_execnz .LBB6_7271
.LBB6_6272:                             ;   in Loop: Header=BB6_4858 Depth=2
	s_or_b32 exec_lo, exec_lo, s29
	s_and_saveexec_b32 s29, s12
	s_cbranch_execz .LBB6_6274
.LBB6_6273:                             ;   in Loop: Header=BB6_4858 Depth=2
	v_and_b32_sdwa v4, v103, v20 dst_sel:DWORD dst_unused:UNUSED_PAD src0_sel:DWORD src1_sel:BYTE_1
	v_and_b32_e32 v5, 7, v4
	v_bfe_u32 v8, v4, 3, 4
	v_ffbh_u32_e32 v6, v5
	v_cmp_eq_u32_e32 vcc_lo, 0, v8
	v_min_u32_e32 v6, 32, v6
	v_subrev_nc_u32_e32 v7, 28, v6
	v_sub_nc_u32_e32 v6, 29, v6
	v_lshlrev_b32_e32 v4, v7, v4
	v_lshlrev_b32_sdwa v7, v112, v20 dst_sel:DWORD dst_unused:UNUSED_PAD src0_sel:DWORD src1_sel:BYTE_1
	v_cndmask_b32_e32 v6, v8, v6, vcc_lo
	v_and_b32_e32 v4, 7, v4
	v_lshl_add_u32 v6, v6, 23, 0x3b800000
	v_cndmask_b32_e32 v4, v5, v4, vcc_lo
	v_and_b32_e32 v5, 0x80000000, v7
	v_lshlrev_b32_e32 v4, 20, v4
	v_or3_b32 v4, v5, v6, v4
.LBB6_6274:                             ;   in Loop: Header=BB6_4858 Depth=2
	s_or_b32 exec_lo, exec_lo, s29
	v_add_f32_e32 v4, v0, v4
	v_and_b32_e32 v0, 0x7f800000, v4
	v_cmp_ne_u32_e32 vcc_lo, 0x7f800000, v0
	v_mov_b32_e32 v0, 0x8000
	s_and_saveexec_b32 s29, vcc_lo
	s_cbranch_execz .LBB6_6282
; %bb.6275:                             ;   in Loop: Header=BB6_4858 Depth=2
	v_mov_b32_e32 v0, 0
	s_mov_b32 s40, exec_lo
	v_cmpx_ne_u32_e32 0, v4
	s_cbranch_execz .LBB6_6281
; %bb.6276:                             ;   in Loop: Header=BB6_4858 Depth=2
	v_bfe_u32 v5, v4, 23, 8
	v_and_b32_e32 v0, 0x7fffff, v4
	v_cmp_gt_u32_e64 s12, 0x79, v5
	v_sub_nc_u32_e32 v6, 0x78, v5
	v_cmp_eq_u32_e32 vcc_lo, 0, v5
	v_or_b32_e32 v7, 0x800000, v0
	v_cndmask_b32_e64 v6, 0, v6, s12
	v_cndmask_b32_e32 v0, v7, v0, vcc_lo
	v_cndmask_b32_e64 v6, v6, 0x77, vcc_lo
	v_lshl_add_u32 v7, 0x100000, v6, -1
	v_lshlrev_b32_e64 v8, v6, 0x80000
	v_and_b32_e32 v7, v7, v0
	v_cmp_eq_u32_e64 s12, v7, v8
	v_lshrrev_b32_e32 v7, v6, v0
	v_add_nc_u32_e32 v0, 0xffffff89, v5
	v_lshrrev_b32_e32 v5, 23, v7
	v_cndmask_b32_e64 v0, v0, 0xffffff8a, vcc_lo
	v_xor_b32_e32 v5, 1, v5
	v_add_nc_u32_e32 v0, v6, v0
	v_bfe_u32 v6, v7, 20, 1
	v_add_nc_u32_e32 v6, -1, v6
	v_cndmask_b32_e64 v6, 0, v6, s12
	s_mov_b32 s12, exec_lo
	v_add_nc_u32_e32 v6, v6, v7
	v_and_b32_e32 v6, 0xfffff, v6
	v_add_nc_u32_e32 v6, v6, v7
                                        ; implicit-def: $vgpr7
	v_cmpx_ne_u32_e64 v0, v5
	s_xor_b32 s12, exec_lo, s12
; %bb.6277:                             ;   in Loop: Header=BB6_4858 Depth=2
	v_cmp_lt_u32_e32 vcc_lo, 0xffffff, v6
	v_sub_nc_u32_e32 v0, v0, v5
	v_cndmask_b32_e64 v5, 0, 1, vcc_lo
	v_add_co_ci_u32_e64 v7, null, 0, v0, vcc_lo
	v_lshrrev_b32_e32 v6, v5, v6
; %bb.6278:                             ;   in Loop: Header=BB6_4858 Depth=2
	s_andn2_saveexec_b32 s12, s12
; %bb.6279:                             ;   in Loop: Header=BB6_4858 Depth=2
	v_bfe_u32 v7, v6, 23, 1
; %bb.6280:                             ;   in Loop: Header=BB6_4858 Depth=2
	s_or_b32 exec_lo, exec_lo, s12
	v_and_b32_sdwa v0, v4, v102 dst_sel:DWORD dst_unused:UNUSED_PAD src0_sel:BYTE_3 src1_sel:DWORD
	v_lshrrev_b32_e32 v4, 20, v6
	v_min_i32_e32 v5, 15, v7
	v_cmp_gt_i32_e32 vcc_lo, 16, v7
	v_lshlrev_b32_e32 v5, 3, v5
	v_cndmask_b32_e32 v4, 7, v4, vcc_lo
	v_and_b32_e32 v5, 0xf8, v5
	v_or_b32_e32 v6, v7, v4
	v_and_b32_e32 v4, 7, v4
	v_cmp_ne_u32_e32 vcc_lo, 0, v6
	v_or3_b32 v0, v0, v5, v4
	v_lshlrev_b32_e32 v0, 8, v0
	v_cndmask_b32_e32 v0, 0, v0, vcc_lo
.LBB6_6281:                             ;   in Loop: Header=BB6_4858 Depth=2
	s_or_b32 exec_lo, exec_lo, s40
.LBB6_6282:                             ;   in Loop: Header=BB6_4858 Depth=2
	s_or_b32 exec_lo, exec_lo, s29
	v_or_b32_e32 v4, v124, v122
	s_mov_b32 s29, 0
	v_cmp_gt_i16_sdwa s12, v4, v101 src0_sel:BYTE_0 src1_sel:DWORD
	s_and_saveexec_b32 s40, s12
	s_xor_b32 s12, exec_lo, s40
	s_cbranch_execz .LBB6_7272
; %bb.6283:                             ;   in Loop: Header=BB6_4858 Depth=2
	v_cmp_eq_u16_sdwa s41, v4, v102 src0_sel:BYTE_0 src1_sel:DWORD
	s_mov_b32 s29, -1
	s_and_saveexec_b32 s40, s41
; %bb.6284:                             ;   in Loop: Header=BB6_4858 Depth=2
	s_xor_b32 s29, exec_lo, -1
; %bb.6285:                             ;   in Loop: Header=BB6_4858 Depth=2
	s_or_b32 exec_lo, exec_lo, s40
	s_and_b32 s29, s29, exec_lo
	s_or_saveexec_b32 s12, s12
	v_mov_b32_e32 v5, 0x7f800001
	s_xor_b32 exec_lo, exec_lo, s12
	s_cbranch_execnz .LBB6_7273
.LBB6_6286:                             ;   in Loop: Header=BB6_4858 Depth=2
	s_or_b32 exec_lo, exec_lo, s12
	v_lshl_or_b32 v4, v4, 16, v1
	s_and_saveexec_b32 s12, s29
	s_cbranch_execz .LBB6_6288
.LBB6_6287:                             ;   in Loop: Header=BB6_4858 Depth=2
	v_bfe_u32 v1, v4, 16, 3
	v_bfe_u32 v5, v4, 19, 4
	v_ffbh_u32_e32 v6, v1
	v_cmp_eq_u32_e32 vcc_lo, 0, v5
	v_min_u32_e32 v6, 32, v6
	v_subrev_nc_u32_e32 v7, 28, v6
	v_sub_nc_u32_e32 v6, 29, v6
	v_lshlrev_b32_sdwa v7, v7, v4 dst_sel:DWORD dst_unused:UNUSED_PAD src0_sel:DWORD src1_sel:WORD_1
	v_cndmask_b32_e32 v5, v5, v6, vcc_lo
	v_lshlrev_b32_e32 v6, 8, v4
	v_and_b32_e32 v7, 7, v7
	v_lshl_add_u32 v5, v5, 23, 0x3b800000
	v_and_b32_e32 v6, 0x80000000, v6
	v_cndmask_b32_e32 v1, v1, v7, vcc_lo
	v_lshlrev_b32_e32 v1, 20, v1
	v_or3_b32 v5, v6, v5, v1
.LBB6_6288:                             ;   in Loop: Header=BB6_4858 Depth=2
	s_or_b32 exec_lo, exec_lo, s12
	v_and_b32_sdwa v6, v20, v113 dst_sel:DWORD dst_unused:UNUSED_PAD src0_sel:WORD_1 src1_sel:DWORD
	s_mov_b32 s29, 0
	s_mov_b32 s12, exec_lo
	v_cmpx_lt_i16_e32 0x7f, v6
	s_xor_b32 s12, exec_lo, s12
	s_cbranch_execz .LBB6_7274
; %bb.6289:                             ;   in Loop: Header=BB6_4858 Depth=2
	s_mov_b32 s29, -1
	s_mov_b32 s40, exec_lo
	v_cmpx_eq_u16_e32 0x80, v6
; %bb.6290:                             ;   in Loop: Header=BB6_4858 Depth=2
	s_xor_b32 s29, exec_lo, -1
; %bb.6291:                             ;   in Loop: Header=BB6_4858 Depth=2
	s_or_b32 exec_lo, exec_lo, s40
	s_and_b32 s29, s29, exec_lo
                                        ; implicit-def: $vgpr6
	s_or_saveexec_b32 s12, s12
	v_mov_b32_e32 v1, 0x7f800001
	s_xor_b32 exec_lo, exec_lo, s12
	s_cbranch_execnz .LBB6_7275
.LBB6_6292:                             ;   in Loop: Header=BB6_4858 Depth=2
	s_or_b32 exec_lo, exec_lo, s12
	s_and_saveexec_b32 s12, s29
	s_cbranch_execz .LBB6_6294
.LBB6_6293:                             ;   in Loop: Header=BB6_4858 Depth=2
	v_bfe_u32 v1, v20, 16, 3
	v_bfe_u32 v6, v20, 19, 4
	v_ffbh_u32_e32 v7, v1
	v_cmp_eq_u32_e32 vcc_lo, 0, v6
	v_min_u32_e32 v7, 32, v7
	v_subrev_nc_u32_e32 v8, 28, v7
	v_sub_nc_u32_e32 v7, 29, v7
	v_lshlrev_b32_sdwa v8, v8, v20 dst_sel:DWORD dst_unused:UNUSED_PAD src0_sel:DWORD src1_sel:WORD_1
	v_cndmask_b32_e32 v6, v6, v7, vcc_lo
	v_lshlrev_b32_e32 v7, 8, v20
	v_and_b32_e32 v8, 7, v8
	v_lshl_add_u32 v6, v6, 23, 0x3b800000
	v_and_b32_e32 v7, 0x80000000, v7
	v_cndmask_b32_e32 v1, v1, v8, vcc_lo
	v_lshlrev_b32_e32 v1, 20, v1
	v_or3_b32 v1, v7, v6, v1
.LBB6_6294:                             ;   in Loop: Header=BB6_4858 Depth=2
	s_or_b32 exec_lo, exec_lo, s12
	v_add_f32_e32 v5, v5, v1
	v_and_b32_e32 v1, 0x7f800000, v5
	v_cmp_ne_u32_e32 vcc_lo, 0x7f800000, v1
	v_mov_b32_e32 v1, 0x80
	s_and_saveexec_b32 s29, vcc_lo
	s_cbranch_execz .LBB6_6302
; %bb.6295:                             ;   in Loop: Header=BB6_4858 Depth=2
	v_mov_b32_e32 v1, 0
	s_mov_b32 s40, exec_lo
	v_cmpx_ne_u32_e32 0, v5
	s_cbranch_execz .LBB6_6301
; %bb.6296:                             ;   in Loop: Header=BB6_4858 Depth=2
	v_bfe_u32 v6, v5, 23, 8
	v_and_b32_e32 v1, 0x7fffff, v5
	v_cmp_gt_u32_e64 s12, 0x79, v6
	v_sub_nc_u32_e32 v7, 0x78, v6
	v_cmp_eq_u32_e32 vcc_lo, 0, v6
	v_or_b32_e32 v8, 0x800000, v1
	v_cndmask_b32_e64 v7, 0, v7, s12
	v_cndmask_b32_e32 v1, v8, v1, vcc_lo
	v_cndmask_b32_e64 v7, v7, 0x77, vcc_lo
	v_lshl_add_u32 v8, 0x100000, v7, -1
	v_lshlrev_b32_e64 v9, v7, 0x80000
	v_and_b32_e32 v8, v8, v1
	v_cmp_eq_u32_e64 s12, v8, v9
	v_lshrrev_b32_e32 v8, v7, v1
	v_add_nc_u32_e32 v1, 0xffffff89, v6
	v_lshrrev_b32_e32 v6, 23, v8
	v_cndmask_b32_e64 v1, v1, 0xffffff8a, vcc_lo
	v_xor_b32_e32 v6, 1, v6
	v_add_nc_u32_e32 v1, v7, v1
	v_bfe_u32 v7, v8, 20, 1
	v_add_nc_u32_e32 v7, -1, v7
	v_cndmask_b32_e64 v7, 0, v7, s12
	s_mov_b32 s12, exec_lo
	v_add_nc_u32_e32 v7, v7, v8
	v_and_b32_e32 v7, 0xfffff, v7
	v_add_nc_u32_e32 v7, v7, v8
                                        ; implicit-def: $vgpr8
	v_cmpx_ne_u32_e64 v1, v6
	s_xor_b32 s12, exec_lo, s12
; %bb.6297:                             ;   in Loop: Header=BB6_4858 Depth=2
	v_cmp_lt_u32_e32 vcc_lo, 0xffffff, v7
	v_sub_nc_u32_e32 v1, v1, v6
	v_cndmask_b32_e64 v6, 0, 1, vcc_lo
	v_add_co_ci_u32_e64 v8, null, 0, v1, vcc_lo
	v_lshrrev_b32_e32 v7, v6, v7
; %bb.6298:                             ;   in Loop: Header=BB6_4858 Depth=2
	s_andn2_saveexec_b32 s12, s12
; %bb.6299:                             ;   in Loop: Header=BB6_4858 Depth=2
	v_bfe_u32 v8, v7, 23, 1
; %bb.6300:                             ;   in Loop: Header=BB6_4858 Depth=2
	s_or_b32 exec_lo, exec_lo, s12
	v_and_b32_sdwa v1, v5, v102 dst_sel:DWORD dst_unused:UNUSED_PAD src0_sel:BYTE_3 src1_sel:DWORD
	v_lshrrev_b32_e32 v5, 20, v7
	v_min_i32_e32 v6, 15, v8
	v_cmp_gt_i32_e32 vcc_lo, 16, v8
	v_lshlrev_b32_e32 v6, 3, v6
	v_cndmask_b32_e32 v5, 7, v5, vcc_lo
	v_and_b32_e32 v6, 0xf8, v6
	v_or_b32_e32 v7, v8, v5
	v_and_b32_e32 v5, 7, v5
	v_cmp_ne_u32_e32 vcc_lo, 0, v7
	v_or3_b32 v1, v6, v1, v5
	v_cndmask_b32_e32 v1, 0, v1, vcc_lo
.LBB6_6301:                             ;   in Loop: Header=BB6_4858 Depth=2
	s_or_b32 exec_lo, exec_lo, s40
.LBB6_6302:                             ;   in Loop: Header=BB6_4858 Depth=2
	s_or_b32 exec_lo, exec_lo, s29
	v_cmp_gt_i16_sdwa s29, v4, v101 src0_sel:BYTE_3 src1_sel:DWORD
	s_mov_b32 s12, 0
	s_and_saveexec_b32 s40, s29
	s_xor_b32 s29, exec_lo, s40
	s_cbranch_execz .LBB6_7276
; %bb.6303:                             ;   in Loop: Header=BB6_4858 Depth=2
	v_cmp_eq_u16_sdwa s41, v4, v102 src0_sel:BYTE_3 src1_sel:DWORD
	s_mov_b32 s12, -1
	s_and_saveexec_b32 s40, s41
; %bb.6304:                             ;   in Loop: Header=BB6_4858 Depth=2
	s_xor_b32 s12, exec_lo, -1
; %bb.6305:                             ;   in Loop: Header=BB6_4858 Depth=2
	s_or_b32 exec_lo, exec_lo, s40
	s_and_b32 s12, s12, exec_lo
	s_or_saveexec_b32 s29, s29
	v_mov_b32_e32 v5, 0x7f800001
	s_xor_b32 exec_lo, exec_lo, s29
	s_cbranch_execnz .LBB6_7277
.LBB6_6306:                             ;   in Loop: Header=BB6_4858 Depth=2
	s_or_b32 exec_lo, exec_lo, s29
	s_and_saveexec_b32 s29, s12
	s_cbranch_execz .LBB6_6308
.LBB6_6307:                             ;   in Loop: Header=BB6_4858 Depth=2
	v_bfe_u32 v5, v4, 24, 3
	v_bfe_u32 v8, v4, 27, 4
	v_ffbh_u32_e32 v6, v5
	v_cmp_eq_u32_e32 vcc_lo, 0, v8
	v_min_u32_e32 v6, 32, v6
	v_subrev_nc_u32_e32 v7, 28, v6
	v_sub_nc_u32_e32 v6, 29, v6
	v_lshlrev_b32_sdwa v7, v7, v4 dst_sel:DWORD dst_unused:UNUSED_PAD src0_sel:DWORD src1_sel:BYTE_3
	v_cndmask_b32_e32 v6, v8, v6, vcc_lo
	v_and_b32_e32 v4, 0x80000000, v4
	v_and_b32_e32 v7, 7, v7
	v_lshl_add_u32 v6, v6, 23, 0x3b800000
	v_cndmask_b32_e32 v5, v5, v7, vcc_lo
	v_lshlrev_b32_e32 v5, 20, v5
	v_or3_b32 v5, v4, v6, v5
.LBB6_6308:                             ;   in Loop: Header=BB6_4858 Depth=2
	s_or_b32 exec_lo, exec_lo, s29
	v_cmp_gt_i16_sdwa s29, v20, v101 src0_sel:BYTE_3 src1_sel:DWORD
	s_mov_b32 s12, 0
	s_and_saveexec_b32 s40, s29
	s_xor_b32 s29, exec_lo, s40
	s_cbranch_execz .LBB6_7278
; %bb.6309:                             ;   in Loop: Header=BB6_4858 Depth=2
	v_cmp_eq_u16_sdwa s41, v20, v102 src0_sel:BYTE_3 src1_sel:DWORD
	s_mov_b32 s12, -1
	s_and_saveexec_b32 s40, s41
; %bb.6310:                             ;   in Loop: Header=BB6_4858 Depth=2
	s_xor_b32 s12, exec_lo, -1
; %bb.6311:                             ;   in Loop: Header=BB6_4858 Depth=2
	s_or_b32 exec_lo, exec_lo, s40
	s_and_b32 s12, s12, exec_lo
	s_or_saveexec_b32 s29, s29
	v_mov_b32_e32 v4, 0x7f800001
	s_xor_b32 exec_lo, exec_lo, s29
	s_cbranch_execnz .LBB6_7279
.LBB6_6312:                             ;   in Loop: Header=BB6_4858 Depth=2
	s_or_b32 exec_lo, exec_lo, s29
	s_and_saveexec_b32 s29, s12
	s_cbranch_execz .LBB6_6314
.LBB6_6313:                             ;   in Loop: Header=BB6_4858 Depth=2
	v_bfe_u32 v4, v20, 24, 3
	v_bfe_u32 v8, v20, 27, 4
	v_ffbh_u32_e32 v6, v4
	v_cmp_eq_u32_e32 vcc_lo, 0, v8
	v_min_u32_e32 v6, 32, v6
	v_subrev_nc_u32_e32 v7, 28, v6
	v_sub_nc_u32_e32 v6, 29, v6
	v_lshlrev_b32_sdwa v7, v7, v20 dst_sel:DWORD dst_unused:UNUSED_PAD src0_sel:DWORD src1_sel:BYTE_3
	v_cndmask_b32_e32 v6, v8, v6, vcc_lo
	v_and_b32_e32 v7, 7, v7
	v_lshl_add_u32 v6, v6, 23, 0x3b800000
	v_cndmask_b32_e32 v4, v4, v7, vcc_lo
	v_and_b32_e32 v7, 0x80000000, v20
	v_lshlrev_b32_e32 v4, 20, v4
	v_or3_b32 v4, v7, v6, v4
.LBB6_6314:                             ;   in Loop: Header=BB6_4858 Depth=2
	s_or_b32 exec_lo, exec_lo, s29
	v_add_f32_e32 v4, v5, v4
	v_mov_b32_e32 v20, 0x8000
	s_mov_b32 s29, exec_lo
	v_and_b32_e32 v5, 0x7f800000, v4
	v_cmpx_ne_u32_e32 0x7f800000, v5
	s_cbranch_execz .LBB6_6322
; %bb.6315:                             ;   in Loop: Header=BB6_4858 Depth=2
	v_mov_b32_e32 v20, 0
	s_mov_b32 s40, exec_lo
	v_cmpx_ne_u32_e32 0, v4
	s_cbranch_execz .LBB6_6321
; %bb.6316:                             ;   in Loop: Header=BB6_4858 Depth=2
	v_bfe_u32 v6, v4, 23, 8
	v_and_b32_e32 v5, 0x7fffff, v4
	v_cmp_gt_u32_e64 s12, 0x79, v6
	v_sub_nc_u32_e32 v7, 0x78, v6
	v_cmp_eq_u32_e32 vcc_lo, 0, v6
	v_or_b32_e32 v8, 0x800000, v5
	v_cndmask_b32_e64 v7, 0, v7, s12
	v_cndmask_b32_e32 v5, v8, v5, vcc_lo
	v_cndmask_b32_e64 v7, v7, 0x77, vcc_lo
	v_lshl_add_u32 v8, 0x100000, v7, -1
	v_lshlrev_b32_e64 v9, v7, 0x80000
	v_and_b32_e32 v8, v8, v5
	v_cmp_eq_u32_e64 s12, v8, v9
	v_lshrrev_b32_e32 v8, v7, v5
	v_add_nc_u32_e32 v5, 0xffffff89, v6
	v_lshrrev_b32_e32 v6, 23, v8
	v_cndmask_b32_e64 v5, v5, 0xffffff8a, vcc_lo
	v_xor_b32_e32 v6, 1, v6
	v_add_nc_u32_e32 v5, v7, v5
	v_bfe_u32 v7, v8, 20, 1
	v_add_nc_u32_e32 v7, -1, v7
	v_cndmask_b32_e64 v7, 0, v7, s12
	s_mov_b32 s12, exec_lo
	v_add_nc_u32_e32 v7, v7, v8
	v_and_b32_e32 v7, 0xfffff, v7
	v_add_nc_u32_e32 v7, v7, v8
                                        ; implicit-def: $vgpr8
	v_cmpx_ne_u32_e64 v5, v6
	s_xor_b32 s12, exec_lo, s12
; %bb.6317:                             ;   in Loop: Header=BB6_4858 Depth=2
	v_cmp_lt_u32_e32 vcc_lo, 0xffffff, v7
	v_sub_nc_u32_e32 v5, v5, v6
	v_cndmask_b32_e64 v6, 0, 1, vcc_lo
	v_add_co_ci_u32_e64 v8, null, 0, v5, vcc_lo
	v_lshrrev_b32_e32 v7, v6, v7
; %bb.6318:                             ;   in Loop: Header=BB6_4858 Depth=2
	s_andn2_saveexec_b32 s12, s12
; %bb.6319:                             ;   in Loop: Header=BB6_4858 Depth=2
	v_bfe_u32 v8, v7, 23, 1
; %bb.6320:                             ;   in Loop: Header=BB6_4858 Depth=2
	s_or_b32 exec_lo, exec_lo, s12
	v_lshrrev_b32_e32 v5, 20, v7
	v_min_i32_e32 v6, 15, v8
	v_cmp_gt_i32_e32 vcc_lo, 16, v8
	v_and_b32_sdwa v4, v4, v102 dst_sel:DWORD dst_unused:UNUSED_PAD src0_sel:BYTE_3 src1_sel:DWORD
	v_lshlrev_b32_e32 v6, 3, v6
	v_cndmask_b32_e32 v5, 7, v5, vcc_lo
	v_and_b32_e32 v6, 0xf8, v6
	v_or_b32_e32 v7, v8, v5
	v_and_b32_e32 v5, 7, v5
	v_cmp_ne_u32_e32 vcc_lo, 0, v7
	v_or3_b32 v4, v4, v6, v5
	v_lshlrev_b32_e32 v4, 8, v4
	v_cndmask_b32_e32 v20, 0, v4, vcc_lo
.LBB6_6321:                             ;   in Loop: Header=BB6_4858 Depth=2
	s_or_b32 exec_lo, exec_lo, s40
.LBB6_6322:                             ;   in Loop: Header=BB6_4858 Depth=2
	s_or_b32 exec_lo, exec_lo, s29
	v_or_b32_e32 v4, v121, v30
	s_mov_b32 s29, 0
	v_cmp_gt_i16_sdwa s12, v4, v101 src0_sel:BYTE_0 src1_sel:DWORD
	s_and_saveexec_b32 s40, s12
	s_xor_b32 s12, exec_lo, s40
	s_cbranch_execz .LBB6_7280
; %bb.6323:                             ;   in Loop: Header=BB6_4858 Depth=2
	v_cmp_eq_u16_sdwa s41, v4, v102 src0_sel:BYTE_0 src1_sel:DWORD
	s_mov_b32 s29, -1
	s_and_saveexec_b32 s40, s41
; %bb.6324:                             ;   in Loop: Header=BB6_4858 Depth=2
	s_xor_b32 s29, exec_lo, -1
; %bb.6325:                             ;   in Loop: Header=BB6_4858 Depth=2
	s_or_b32 exec_lo, exec_lo, s40
	s_and_b32 s29, s29, exec_lo
	s_or_saveexec_b32 s12, s12
	v_mov_b32_e32 v5, 0x7f800001
	s_xor_b32 exec_lo, exec_lo, s12
	s_cbranch_execnz .LBB6_7281
.LBB6_6326:                             ;   in Loop: Header=BB6_4858 Depth=2
	s_or_b32 exec_lo, exec_lo, s12
	s_and_saveexec_b32 s12, s29
	s_cbranch_execz .LBB6_6328
.LBB6_6327:                             ;   in Loop: Header=BB6_4858 Depth=2
	v_and_b32_e32 v5, 7, v4
	v_bfe_u32 v6, v4, 3, 4
	v_ffbh_u32_e32 v7, v5
	v_cmp_eq_u32_e32 vcc_lo, 0, v6
	v_min_u32_e32 v7, 32, v7
	v_subrev_nc_u32_e32 v8, 28, v7
	v_sub_nc_u32_e32 v7, 29, v7
	v_lshlrev_b32_e32 v8, v8, v4
	v_cndmask_b32_e32 v6, v6, v7, vcc_lo
	v_lshlrev_b32_e32 v7, 24, v4
	v_and_b32_e32 v8, 7, v8
	v_lshl_add_u32 v6, v6, 23, 0x3b800000
	v_and_b32_e32 v7, 0x80000000, v7
	v_cndmask_b32_e32 v5, v5, v8, vcc_lo
	v_lshlrev_b32_e32 v5, 20, v5
	v_or3_b32 v5, v7, v6, v5
.LBB6_6328:                             ;   in Loop: Header=BB6_4858 Depth=2
	s_or_b32 exec_lo, exec_lo, s12
	v_cmp_gt_i16_sdwa s12, v21, v101 src0_sel:BYTE_0 src1_sel:DWORD
	s_mov_b32 s29, 0
	s_and_saveexec_b32 s40, s12
	s_xor_b32 s12, exec_lo, s40
	s_cbranch_execz .LBB6_7282
; %bb.6329:                             ;   in Loop: Header=BB6_4858 Depth=2
	v_cmp_eq_u16_sdwa s41, v21, v102 src0_sel:BYTE_0 src1_sel:DWORD
	s_mov_b32 s29, -1
	s_and_saveexec_b32 s40, s41
; %bb.6330:                             ;   in Loop: Header=BB6_4858 Depth=2
	s_xor_b32 s29, exec_lo, -1
; %bb.6331:                             ;   in Loop: Header=BB6_4858 Depth=2
	s_or_b32 exec_lo, exec_lo, s40
	s_and_b32 s29, s29, exec_lo
	s_or_saveexec_b32 s12, s12
	v_mov_b32_e32 v6, 0x7f800001
	s_xor_b32 exec_lo, exec_lo, s12
	s_cbranch_execnz .LBB6_7283
.LBB6_6332:                             ;   in Loop: Header=BB6_4858 Depth=2
	s_or_b32 exec_lo, exec_lo, s12
	s_and_saveexec_b32 s12, s29
	s_cbranch_execz .LBB6_6334
.LBB6_6333:                             ;   in Loop: Header=BB6_4858 Depth=2
	v_and_b32_e32 v6, 7, v21
	v_bfe_u32 v7, v21, 3, 4
	v_ffbh_u32_e32 v8, v6
	v_cmp_eq_u32_e32 vcc_lo, 0, v7
	v_min_u32_e32 v8, 32, v8
	v_subrev_nc_u32_e32 v9, 28, v8
	v_sub_nc_u32_e32 v8, 29, v8
	v_lshlrev_b32_e32 v9, v9, v21
	v_cndmask_b32_e32 v7, v7, v8, vcc_lo
	v_lshlrev_b32_e32 v8, 24, v21
	v_and_b32_e32 v9, 7, v9
	v_lshl_add_u32 v7, v7, 23, 0x3b800000
	v_and_b32_e32 v8, 0x80000000, v8
	v_cndmask_b32_e32 v6, v6, v9, vcc_lo
	v_lshlrev_b32_e32 v6, 20, v6
	v_or3_b32 v6, v8, v7, v6
.LBB6_6334:                             ;   in Loop: Header=BB6_4858 Depth=2
	s_or_b32 exec_lo, exec_lo, s12
	v_add_f32_e32 v5, v5, v6
	v_mov_b32_e32 v27, 0x80
	s_mov_b32 s29, exec_lo
	v_and_b32_e32 v6, 0x7f800000, v5
	v_cmpx_ne_u32_e32 0x7f800000, v6
	s_cbranch_execz .LBB6_6342
; %bb.6335:                             ;   in Loop: Header=BB6_4858 Depth=2
	v_mov_b32_e32 v27, 0
	s_mov_b32 s40, exec_lo
	v_cmpx_ne_u32_e32 0, v5
	s_cbranch_execz .LBB6_6341
; %bb.6336:                             ;   in Loop: Header=BB6_4858 Depth=2
	v_bfe_u32 v7, v5, 23, 8
	v_and_b32_e32 v6, 0x7fffff, v5
	v_cmp_gt_u32_e64 s12, 0x79, v7
	v_sub_nc_u32_e32 v8, 0x78, v7
	v_cmp_eq_u32_e32 vcc_lo, 0, v7
	v_or_b32_e32 v9, 0x800000, v6
	v_cndmask_b32_e64 v8, 0, v8, s12
	v_cndmask_b32_e32 v6, v9, v6, vcc_lo
	v_cndmask_b32_e64 v8, v8, 0x77, vcc_lo
	v_lshl_add_u32 v9, 0x100000, v8, -1
	v_lshlrev_b32_e64 v27, v8, 0x80000
	v_and_b32_e32 v9, v9, v6
	v_cmp_eq_u32_e64 s12, v9, v27
	v_lshrrev_b32_e32 v9, v8, v6
	v_add_nc_u32_e32 v6, 0xffffff89, v7
	v_lshrrev_b32_e32 v7, 23, v9
	v_cndmask_b32_e64 v6, v6, 0xffffff8a, vcc_lo
	v_xor_b32_e32 v7, 1, v7
	v_add_nc_u32_e32 v6, v8, v6
	v_bfe_u32 v8, v9, 20, 1
	v_add_nc_u32_e32 v8, -1, v8
	v_cndmask_b32_e64 v8, 0, v8, s12
	s_mov_b32 s12, exec_lo
	v_add_nc_u32_e32 v8, v8, v9
	v_and_b32_e32 v8, 0xfffff, v8
	v_add_nc_u32_e32 v8, v8, v9
                                        ; implicit-def: $vgpr9
	v_cmpx_ne_u32_e64 v6, v7
	s_xor_b32 s12, exec_lo, s12
; %bb.6337:                             ;   in Loop: Header=BB6_4858 Depth=2
	v_cmp_lt_u32_e32 vcc_lo, 0xffffff, v8
	v_sub_nc_u32_e32 v6, v6, v7
	v_cndmask_b32_e64 v7, 0, 1, vcc_lo
	v_add_co_ci_u32_e64 v9, null, 0, v6, vcc_lo
	v_lshrrev_b32_e32 v8, v7, v8
; %bb.6338:                             ;   in Loop: Header=BB6_4858 Depth=2
	s_andn2_saveexec_b32 s12, s12
; %bb.6339:                             ;   in Loop: Header=BB6_4858 Depth=2
	v_bfe_u32 v9, v8, 23, 1
; %bb.6340:                             ;   in Loop: Header=BB6_4858 Depth=2
	s_or_b32 exec_lo, exec_lo, s12
	v_lshrrev_b32_e32 v6, 20, v8
	v_min_i32_e32 v7, 15, v9
	v_cmp_gt_i32_e32 vcc_lo, 16, v9
	v_and_b32_sdwa v5, v5, v102 dst_sel:DWORD dst_unused:UNUSED_PAD src0_sel:BYTE_3 src1_sel:DWORD
	v_lshlrev_b32_e32 v7, 3, v7
	v_cndmask_b32_e32 v6, 7, v6, vcc_lo
	v_and_b32_e32 v7, 0xf8, v7
	v_or_b32_e32 v8, v9, v6
	v_and_b32_e32 v6, 7, v6
	v_cmp_ne_u32_e32 vcc_lo, 0, v8
	v_or3_b32 v5, v7, v5, v6
	v_cndmask_b32_e32 v27, 0, v5, vcc_lo
.LBB6_6341:                             ;   in Loop: Header=BB6_4858 Depth=2
	s_or_b32 exec_lo, exec_lo, s40
.LBB6_6342:                             ;   in Loop: Header=BB6_4858 Depth=2
	s_or_b32 exec_lo, exec_lo, s29
	v_cmp_gt_i16_sdwa s29, v4, v101 src0_sel:BYTE_1 src1_sel:DWORD
	s_mov_b32 s12, 0
	s_and_saveexec_b32 s40, s29
	s_xor_b32 s29, exec_lo, s40
	s_cbranch_execz .LBB6_7284
; %bb.6343:                             ;   in Loop: Header=BB6_4858 Depth=2
	v_cmp_eq_u16_sdwa s41, v4, v102 src0_sel:BYTE_1 src1_sel:DWORD
	s_mov_b32 s12, -1
	s_and_saveexec_b32 s40, s41
; %bb.6344:                             ;   in Loop: Header=BB6_4858 Depth=2
	s_xor_b32 s12, exec_lo, -1
; %bb.6345:                             ;   in Loop: Header=BB6_4858 Depth=2
	s_or_b32 exec_lo, exec_lo, s40
	s_and_b32 s12, s12, exec_lo
	s_or_saveexec_b32 s29, s29
	v_mov_b32_e32 v5, 0x7f800001
	s_xor_b32 exec_lo, exec_lo, s29
	s_cbranch_execnz .LBB6_7285
.LBB6_6346:                             ;   in Loop: Header=BB6_4858 Depth=2
	s_or_b32 exec_lo, exec_lo, s29
	s_and_saveexec_b32 s29, s12
	s_cbranch_execz .LBB6_6348
.LBB6_6347:                             ;   in Loop: Header=BB6_4858 Depth=2
	v_and_b32_sdwa v5, v103, v4 dst_sel:DWORD dst_unused:UNUSED_PAD src0_sel:DWORD src1_sel:BYTE_1
	v_and_b32_e32 v6, 7, v5
	v_bfe_u32 v9, v5, 3, 4
	v_ffbh_u32_e32 v7, v6
	v_cmp_eq_u32_e32 vcc_lo, 0, v9
	v_min_u32_e32 v7, 32, v7
	v_subrev_nc_u32_e32 v8, 28, v7
	v_sub_nc_u32_e32 v7, 29, v7
	v_lshlrev_b32_e32 v5, v8, v5
	v_lshlrev_b32_sdwa v8, v112, v4 dst_sel:DWORD dst_unused:UNUSED_PAD src0_sel:DWORD src1_sel:BYTE_1
	v_cndmask_b32_e32 v7, v9, v7, vcc_lo
	v_and_b32_e32 v5, 7, v5
	v_lshl_add_u32 v7, v7, 23, 0x3b800000
	v_cndmask_b32_e32 v5, v6, v5, vcc_lo
	v_and_b32_e32 v6, 0x80000000, v8
	v_lshlrev_b32_e32 v5, 20, v5
	v_or3_b32 v5, v6, v7, v5
.LBB6_6348:                             ;   in Loop: Header=BB6_4858 Depth=2
	s_or_b32 exec_lo, exec_lo, s29
	v_cmp_gt_i16_sdwa s29, v21, v101 src0_sel:BYTE_1 src1_sel:DWORD
	s_mov_b32 s12, 0
	s_and_saveexec_b32 s40, s29
	s_xor_b32 s29, exec_lo, s40
	s_cbranch_execz .LBB6_7286
; %bb.6349:                             ;   in Loop: Header=BB6_4858 Depth=2
	v_cmp_eq_u16_sdwa s41, v21, v102 src0_sel:BYTE_1 src1_sel:DWORD
	s_mov_b32 s12, -1
	s_and_saveexec_b32 s40, s41
; %bb.6350:                             ;   in Loop: Header=BB6_4858 Depth=2
	s_xor_b32 s12, exec_lo, -1
; %bb.6351:                             ;   in Loop: Header=BB6_4858 Depth=2
	s_or_b32 exec_lo, exec_lo, s40
	s_and_b32 s12, s12, exec_lo
	s_or_saveexec_b32 s29, s29
	v_mov_b32_e32 v6, 0x7f800001
	s_xor_b32 exec_lo, exec_lo, s29
	s_cbranch_execnz .LBB6_7287
.LBB6_6352:                             ;   in Loop: Header=BB6_4858 Depth=2
	s_or_b32 exec_lo, exec_lo, s29
	s_and_saveexec_b32 s29, s12
	s_cbranch_execz .LBB6_6354
.LBB6_6353:                             ;   in Loop: Header=BB6_4858 Depth=2
	v_and_b32_sdwa v6, v103, v21 dst_sel:DWORD dst_unused:UNUSED_PAD src0_sel:DWORD src1_sel:BYTE_1
	v_and_b32_e32 v7, 7, v6
	v_bfe_u32 v29, v6, 3, 4
	v_ffbh_u32_e32 v8, v7
	v_cmp_eq_u32_e32 vcc_lo, 0, v29
	v_min_u32_e32 v8, 32, v8
	v_subrev_nc_u32_e32 v9, 28, v8
	v_sub_nc_u32_e32 v8, 29, v8
	v_lshlrev_b32_e32 v6, v9, v6
	v_lshlrev_b32_sdwa v9, v112, v21 dst_sel:DWORD dst_unused:UNUSED_PAD src0_sel:DWORD src1_sel:BYTE_1
	v_cndmask_b32_e32 v8, v29, v8, vcc_lo
	v_and_b32_e32 v6, 7, v6
	v_lshl_add_u32 v8, v8, 23, 0x3b800000
	v_cndmask_b32_e32 v6, v7, v6, vcc_lo
	v_and_b32_e32 v7, 0x80000000, v9
	v_lshlrev_b32_e32 v6, 20, v6
	v_or3_b32 v6, v7, v8, v6
.LBB6_6354:                             ;   in Loop: Header=BB6_4858 Depth=2
	s_or_b32 exec_lo, exec_lo, s29
	v_add_f32_e32 v5, v5, v6
	v_mov_b32_e32 v29, 0x8000
	s_mov_b32 s29, exec_lo
	v_and_b32_e32 v6, 0x7f800000, v5
	v_cmpx_ne_u32_e32 0x7f800000, v6
	s_cbranch_execz .LBB6_6362
; %bb.6355:                             ;   in Loop: Header=BB6_4858 Depth=2
	v_mov_b32_e32 v29, 0
	s_mov_b32 s40, exec_lo
	v_cmpx_ne_u32_e32 0, v5
	s_cbranch_execz .LBB6_6361
; %bb.6356:                             ;   in Loop: Header=BB6_4858 Depth=2
	v_bfe_u32 v7, v5, 23, 8
	v_and_b32_e32 v6, 0x7fffff, v5
	v_cmp_gt_u32_e64 s12, 0x79, v7
	v_sub_nc_u32_e32 v8, 0x78, v7
	v_cmp_eq_u32_e32 vcc_lo, 0, v7
	v_or_b32_e32 v9, 0x800000, v6
	v_cndmask_b32_e64 v8, 0, v8, s12
	v_cndmask_b32_e32 v6, v9, v6, vcc_lo
	v_cndmask_b32_e64 v8, v8, 0x77, vcc_lo
	v_lshl_add_u32 v9, 0x100000, v8, -1
	v_lshlrev_b32_e64 v29, v8, 0x80000
	v_and_b32_e32 v9, v9, v6
	v_cmp_eq_u32_e64 s12, v9, v29
	v_lshrrev_b32_e32 v9, v8, v6
	v_add_nc_u32_e32 v6, 0xffffff89, v7
	v_lshrrev_b32_e32 v7, 23, v9
	v_cndmask_b32_e64 v6, v6, 0xffffff8a, vcc_lo
	v_xor_b32_e32 v7, 1, v7
	v_add_nc_u32_e32 v6, v8, v6
	v_bfe_u32 v8, v9, 20, 1
	v_add_nc_u32_e32 v8, -1, v8
	v_cndmask_b32_e64 v8, 0, v8, s12
	s_mov_b32 s12, exec_lo
	v_add_nc_u32_e32 v8, v8, v9
	v_and_b32_e32 v8, 0xfffff, v8
	v_add_nc_u32_e32 v8, v8, v9
                                        ; implicit-def: $vgpr9
	v_cmpx_ne_u32_e64 v6, v7
	s_xor_b32 s12, exec_lo, s12
; %bb.6357:                             ;   in Loop: Header=BB6_4858 Depth=2
	v_cmp_lt_u32_e32 vcc_lo, 0xffffff, v8
	v_sub_nc_u32_e32 v6, v6, v7
	v_cndmask_b32_e64 v7, 0, 1, vcc_lo
	v_add_co_ci_u32_e64 v9, null, 0, v6, vcc_lo
	v_lshrrev_b32_e32 v8, v7, v8
; %bb.6358:                             ;   in Loop: Header=BB6_4858 Depth=2
	s_andn2_saveexec_b32 s12, s12
; %bb.6359:                             ;   in Loop: Header=BB6_4858 Depth=2
	v_bfe_u32 v9, v8, 23, 1
; %bb.6360:                             ;   in Loop: Header=BB6_4858 Depth=2
	s_or_b32 exec_lo, exec_lo, s12
	v_lshrrev_b32_e32 v6, 20, v8
	v_min_i32_e32 v7, 15, v9
	v_cmp_gt_i32_e32 vcc_lo, 16, v9
	v_and_b32_sdwa v5, v5, v102 dst_sel:DWORD dst_unused:UNUSED_PAD src0_sel:BYTE_3 src1_sel:DWORD
	v_lshlrev_b32_e32 v7, 3, v7
	v_cndmask_b32_e32 v6, 7, v6, vcc_lo
	v_and_b32_e32 v7, 0xf8, v7
	v_or_b32_e32 v8, v9, v6
	v_and_b32_e32 v6, 7, v6
	v_cmp_ne_u32_e32 vcc_lo, 0, v8
	v_or3_b32 v5, v5, v7, v6
	v_lshlrev_b32_e32 v5, 8, v5
	v_cndmask_b32_e32 v29, 0, v5, vcc_lo
.LBB6_6361:                             ;   in Loop: Header=BB6_4858 Depth=2
	s_or_b32 exec_lo, exec_lo, s40
.LBB6_6362:                             ;   in Loop: Header=BB6_4858 Depth=2
	s_or_b32 exec_lo, exec_lo, s29
	v_or_b32_e32 v5, v111, v3
	s_mov_b32 s29, 0
	v_cmp_gt_i16_sdwa s12, v5, v101 src0_sel:BYTE_0 src1_sel:DWORD
	s_and_saveexec_b32 s40, s12
	s_xor_b32 s12, exec_lo, s40
	s_cbranch_execz .LBB6_7288
; %bb.6363:                             ;   in Loop: Header=BB6_4858 Depth=2
	v_cmp_eq_u16_sdwa s41, v5, v102 src0_sel:BYTE_0 src1_sel:DWORD
	s_mov_b32 s29, -1
	s_and_saveexec_b32 s40, s41
; %bb.6364:                             ;   in Loop: Header=BB6_4858 Depth=2
	s_xor_b32 s29, exec_lo, -1
; %bb.6365:                             ;   in Loop: Header=BB6_4858 Depth=2
	s_or_b32 exec_lo, exec_lo, s40
	s_and_b32 s29, s29, exec_lo
	s_or_saveexec_b32 s12, s12
	v_mov_b32_e32 v3, 0x7f800001
	s_xor_b32 exec_lo, exec_lo, s12
	s_cbranch_execnz .LBB6_7289
.LBB6_6366:                             ;   in Loop: Header=BB6_4858 Depth=2
	s_or_b32 exec_lo, exec_lo, s12
	v_lshl_or_b32 v4, v5, 16, v4
	s_and_saveexec_b32 s12, s29
	s_cbranch_execz .LBB6_6368
.LBB6_6367:                             ;   in Loop: Header=BB6_4858 Depth=2
	v_bfe_u32 v3, v4, 16, 3
	v_bfe_u32 v5, v4, 19, 4
	v_ffbh_u32_e32 v6, v3
	v_cmp_eq_u32_e32 vcc_lo, 0, v5
	v_min_u32_e32 v6, 32, v6
	v_subrev_nc_u32_e32 v7, 28, v6
	v_sub_nc_u32_e32 v6, 29, v6
	v_lshlrev_b32_sdwa v7, v7, v4 dst_sel:DWORD dst_unused:UNUSED_PAD src0_sel:DWORD src1_sel:WORD_1
	v_cndmask_b32_e32 v5, v5, v6, vcc_lo
	v_lshlrev_b32_e32 v6, 8, v4
	v_and_b32_e32 v7, 7, v7
	v_lshl_add_u32 v5, v5, 23, 0x3b800000
	v_and_b32_e32 v6, 0x80000000, v6
	v_cndmask_b32_e32 v3, v3, v7, vcc_lo
	v_lshlrev_b32_e32 v3, 20, v3
	v_or3_b32 v3, v6, v5, v3
.LBB6_6368:                             ;   in Loop: Header=BB6_4858 Depth=2
	s_or_b32 exec_lo, exec_lo, s12
	v_and_b32_sdwa v6, v21, v113 dst_sel:DWORD dst_unused:UNUSED_PAD src0_sel:WORD_1 src1_sel:DWORD
	s_mov_b32 s29, 0
	s_mov_b32 s12, exec_lo
	v_cmpx_lt_i16_e32 0x7f, v6
	s_xor_b32 s12, exec_lo, s12
	s_cbranch_execz .LBB6_7290
; %bb.6369:                             ;   in Loop: Header=BB6_4858 Depth=2
	s_mov_b32 s29, -1
	s_mov_b32 s40, exec_lo
	v_cmpx_eq_u16_e32 0x80, v6
; %bb.6370:                             ;   in Loop: Header=BB6_4858 Depth=2
	s_xor_b32 s29, exec_lo, -1
; %bb.6371:                             ;   in Loop: Header=BB6_4858 Depth=2
	s_or_b32 exec_lo, exec_lo, s40
	s_and_b32 s29, s29, exec_lo
                                        ; implicit-def: $vgpr6
	s_or_saveexec_b32 s12, s12
	v_mov_b32_e32 v5, 0x7f800001
	s_xor_b32 exec_lo, exec_lo, s12
	s_cbranch_execnz .LBB6_7291
.LBB6_6372:                             ;   in Loop: Header=BB6_4858 Depth=2
	s_or_b32 exec_lo, exec_lo, s12
	s_and_saveexec_b32 s12, s29
	s_cbranch_execz .LBB6_6374
.LBB6_6373:                             ;   in Loop: Header=BB6_4858 Depth=2
	v_bfe_u32 v5, v21, 16, 3
	v_bfe_u32 v6, v21, 19, 4
	v_ffbh_u32_e32 v7, v5
	v_cmp_eq_u32_e32 vcc_lo, 0, v6
	v_min_u32_e32 v7, 32, v7
	v_subrev_nc_u32_e32 v8, 28, v7
	v_sub_nc_u32_e32 v7, 29, v7
	v_lshlrev_b32_sdwa v8, v8, v21 dst_sel:DWORD dst_unused:UNUSED_PAD src0_sel:DWORD src1_sel:WORD_1
	v_cndmask_b32_e32 v6, v6, v7, vcc_lo
	v_lshlrev_b32_e32 v7, 8, v21
	v_and_b32_e32 v8, 7, v8
	v_lshl_add_u32 v6, v6, 23, 0x3b800000
	v_and_b32_e32 v7, 0x80000000, v7
	v_cndmask_b32_e32 v5, v5, v8, vcc_lo
	v_lshlrev_b32_e32 v5, 20, v5
	v_or3_b32 v5, v7, v6, v5
.LBB6_6374:                             ;   in Loop: Header=BB6_4858 Depth=2
	s_or_b32 exec_lo, exec_lo, s12
	v_add_f32_e32 v5, v3, v5
	v_and_b32_e32 v3, 0x7f800000, v5
	v_cmp_ne_u32_e32 vcc_lo, 0x7f800000, v3
	v_mov_b32_e32 v3, 0x80
	s_and_saveexec_b32 s29, vcc_lo
	s_cbranch_execz .LBB6_6382
; %bb.6375:                             ;   in Loop: Header=BB6_4858 Depth=2
	v_mov_b32_e32 v3, 0
	s_mov_b32 s40, exec_lo
	v_cmpx_ne_u32_e32 0, v5
	s_cbranch_execz .LBB6_6381
; %bb.6376:                             ;   in Loop: Header=BB6_4858 Depth=2
	v_bfe_u32 v6, v5, 23, 8
	v_and_b32_e32 v3, 0x7fffff, v5
	v_cmp_gt_u32_e64 s12, 0x79, v6
	v_sub_nc_u32_e32 v7, 0x78, v6
	v_cmp_eq_u32_e32 vcc_lo, 0, v6
	v_or_b32_e32 v8, 0x800000, v3
	v_cndmask_b32_e64 v7, 0, v7, s12
	v_cndmask_b32_e32 v3, v8, v3, vcc_lo
	v_cndmask_b32_e64 v7, v7, 0x77, vcc_lo
	v_lshl_add_u32 v8, 0x100000, v7, -1
	v_lshlrev_b32_e64 v9, v7, 0x80000
	v_and_b32_e32 v8, v8, v3
	v_cmp_eq_u32_e64 s12, v8, v9
	v_lshrrev_b32_e32 v8, v7, v3
	v_add_nc_u32_e32 v3, 0xffffff89, v6
	v_lshrrev_b32_e32 v6, 23, v8
	v_cndmask_b32_e64 v3, v3, 0xffffff8a, vcc_lo
	v_xor_b32_e32 v6, 1, v6
	v_add_nc_u32_e32 v3, v7, v3
	v_bfe_u32 v7, v8, 20, 1
	v_add_nc_u32_e32 v7, -1, v7
	v_cndmask_b32_e64 v7, 0, v7, s12
	s_mov_b32 s12, exec_lo
	v_add_nc_u32_e32 v7, v7, v8
	v_and_b32_e32 v7, 0xfffff, v7
	v_add_nc_u32_e32 v7, v7, v8
                                        ; implicit-def: $vgpr8
	v_cmpx_ne_u32_e64 v3, v6
	s_xor_b32 s12, exec_lo, s12
; %bb.6377:                             ;   in Loop: Header=BB6_4858 Depth=2
	v_cmp_lt_u32_e32 vcc_lo, 0xffffff, v7
	v_sub_nc_u32_e32 v3, v3, v6
	v_cndmask_b32_e64 v6, 0, 1, vcc_lo
	v_add_co_ci_u32_e64 v8, null, 0, v3, vcc_lo
	v_lshrrev_b32_e32 v7, v6, v7
; %bb.6378:                             ;   in Loop: Header=BB6_4858 Depth=2
	s_andn2_saveexec_b32 s12, s12
; %bb.6379:                             ;   in Loop: Header=BB6_4858 Depth=2
	v_bfe_u32 v8, v7, 23, 1
; %bb.6380:                             ;   in Loop: Header=BB6_4858 Depth=2
	s_or_b32 exec_lo, exec_lo, s12
	v_and_b32_sdwa v3, v5, v102 dst_sel:DWORD dst_unused:UNUSED_PAD src0_sel:BYTE_3 src1_sel:DWORD
	v_lshrrev_b32_e32 v5, 20, v7
	v_min_i32_e32 v6, 15, v8
	v_cmp_gt_i32_e32 vcc_lo, 16, v8
	v_lshlrev_b32_e32 v6, 3, v6
	v_cndmask_b32_e32 v5, 7, v5, vcc_lo
	v_and_b32_e32 v6, 0xf8, v6
	v_or_b32_e32 v7, v8, v5
	v_and_b32_e32 v5, 7, v5
	v_cmp_ne_u32_e32 vcc_lo, 0, v7
	v_or3_b32 v3, v6, v3, v5
	v_cndmask_b32_e32 v3, 0, v3, vcc_lo
.LBB6_6381:                             ;   in Loop: Header=BB6_4858 Depth=2
	s_or_b32 exec_lo, exec_lo, s40
.LBB6_6382:                             ;   in Loop: Header=BB6_4858 Depth=2
	s_or_b32 exec_lo, exec_lo, s29
	v_cmp_gt_i16_sdwa s29, v4, v101 src0_sel:BYTE_3 src1_sel:DWORD
	s_mov_b32 s12, 0
	s_and_saveexec_b32 s40, s29
	s_xor_b32 s29, exec_lo, s40
	s_cbranch_execz .LBB6_7292
; %bb.6383:                             ;   in Loop: Header=BB6_4858 Depth=2
	v_cmp_eq_u16_sdwa s41, v4, v102 src0_sel:BYTE_3 src1_sel:DWORD
	s_mov_b32 s12, -1
	s_and_saveexec_b32 s40, s41
; %bb.6384:                             ;   in Loop: Header=BB6_4858 Depth=2
	s_xor_b32 s12, exec_lo, -1
; %bb.6385:                             ;   in Loop: Header=BB6_4858 Depth=2
	s_or_b32 exec_lo, exec_lo, s40
	s_and_b32 s12, s12, exec_lo
	s_or_saveexec_b32 s29, s29
	v_mov_b32_e32 v5, 0x7f800001
	s_xor_b32 exec_lo, exec_lo, s29
	s_cbranch_execnz .LBB6_7293
.LBB6_6386:                             ;   in Loop: Header=BB6_4858 Depth=2
	s_or_b32 exec_lo, exec_lo, s29
	s_and_saveexec_b32 s29, s12
	s_cbranch_execz .LBB6_6388
.LBB6_6387:                             ;   in Loop: Header=BB6_4858 Depth=2
	v_bfe_u32 v5, v4, 24, 3
	v_bfe_u32 v8, v4, 27, 4
	v_ffbh_u32_e32 v6, v5
	v_cmp_eq_u32_e32 vcc_lo, 0, v8
	v_min_u32_e32 v6, 32, v6
	v_subrev_nc_u32_e32 v7, 28, v6
	v_sub_nc_u32_e32 v6, 29, v6
	v_lshlrev_b32_sdwa v7, v7, v4 dst_sel:DWORD dst_unused:UNUSED_PAD src0_sel:DWORD src1_sel:BYTE_3
	v_cndmask_b32_e32 v6, v8, v6, vcc_lo
	v_and_b32_e32 v4, 0x80000000, v4
	v_and_b32_e32 v7, 7, v7
	v_lshl_add_u32 v6, v6, 23, 0x3b800000
	v_cndmask_b32_e32 v5, v5, v7, vcc_lo
	v_lshlrev_b32_e32 v5, 20, v5
	v_or3_b32 v5, v4, v6, v5
.LBB6_6388:                             ;   in Loop: Header=BB6_4858 Depth=2
	s_or_b32 exec_lo, exec_lo, s29
	v_cmp_gt_i16_sdwa s29, v21, v101 src0_sel:BYTE_3 src1_sel:DWORD
	s_mov_b32 s12, 0
	s_and_saveexec_b32 s40, s29
	s_xor_b32 s29, exec_lo, s40
	s_cbranch_execz .LBB6_7294
; %bb.6389:                             ;   in Loop: Header=BB6_4858 Depth=2
	v_cmp_eq_u16_sdwa s41, v21, v102 src0_sel:BYTE_3 src1_sel:DWORD
	s_mov_b32 s12, -1
	s_and_saveexec_b32 s40, s41
; %bb.6390:                             ;   in Loop: Header=BB6_4858 Depth=2
	s_xor_b32 s12, exec_lo, -1
; %bb.6391:                             ;   in Loop: Header=BB6_4858 Depth=2
	s_or_b32 exec_lo, exec_lo, s40
	s_and_b32 s12, s12, exec_lo
	s_or_saveexec_b32 s29, s29
	v_mov_b32_e32 v4, 0x7f800001
	s_xor_b32 exec_lo, exec_lo, s29
	s_cbranch_execnz .LBB6_7295
.LBB6_6392:                             ;   in Loop: Header=BB6_4858 Depth=2
	s_or_b32 exec_lo, exec_lo, s29
	s_and_saveexec_b32 s29, s12
	s_cbranch_execz .LBB6_6394
.LBB6_6393:                             ;   in Loop: Header=BB6_4858 Depth=2
	v_bfe_u32 v4, v21, 24, 3
	v_bfe_u32 v8, v21, 27, 4
	v_ffbh_u32_e32 v6, v4
	v_cmp_eq_u32_e32 vcc_lo, 0, v8
	v_min_u32_e32 v6, 32, v6
	v_subrev_nc_u32_e32 v7, 28, v6
	v_sub_nc_u32_e32 v6, 29, v6
	v_lshlrev_b32_sdwa v7, v7, v21 dst_sel:DWORD dst_unused:UNUSED_PAD src0_sel:DWORD src1_sel:BYTE_3
	v_cndmask_b32_e32 v6, v8, v6, vcc_lo
	v_and_b32_e32 v7, 7, v7
	v_lshl_add_u32 v6, v6, 23, 0x3b800000
	v_cndmask_b32_e32 v4, v4, v7, vcc_lo
	v_and_b32_e32 v7, 0x80000000, v21
	v_lshlrev_b32_e32 v4, 20, v4
	v_or3_b32 v4, v7, v6, v4
.LBB6_6394:                             ;   in Loop: Header=BB6_4858 Depth=2
	s_or_b32 exec_lo, exec_lo, s29
	v_add_f32_e32 v4, v5, v4
	v_mov_b32_e32 v21, 0x8000
	s_mov_b32 s29, exec_lo
	v_and_b32_e32 v5, 0x7f800000, v4
	v_cmpx_ne_u32_e32 0x7f800000, v5
	s_cbranch_execz .LBB6_6402
; %bb.6395:                             ;   in Loop: Header=BB6_4858 Depth=2
	v_mov_b32_e32 v21, 0
	s_mov_b32 s40, exec_lo
	v_cmpx_ne_u32_e32 0, v4
	s_cbranch_execz .LBB6_6401
; %bb.6396:                             ;   in Loop: Header=BB6_4858 Depth=2
	v_bfe_u32 v6, v4, 23, 8
	v_and_b32_e32 v5, 0x7fffff, v4
	v_cmp_gt_u32_e64 s12, 0x79, v6
	v_sub_nc_u32_e32 v7, 0x78, v6
	v_cmp_eq_u32_e32 vcc_lo, 0, v6
	v_or_b32_e32 v8, 0x800000, v5
	v_cndmask_b32_e64 v7, 0, v7, s12
	v_cndmask_b32_e32 v5, v8, v5, vcc_lo
	v_cndmask_b32_e64 v7, v7, 0x77, vcc_lo
	v_lshl_add_u32 v8, 0x100000, v7, -1
	v_lshlrev_b32_e64 v9, v7, 0x80000
	v_and_b32_e32 v8, v8, v5
	v_cmp_eq_u32_e64 s12, v8, v9
	v_lshrrev_b32_e32 v8, v7, v5
	v_add_nc_u32_e32 v5, 0xffffff89, v6
	v_lshrrev_b32_e32 v6, 23, v8
	v_cndmask_b32_e64 v5, v5, 0xffffff8a, vcc_lo
	v_xor_b32_e32 v6, 1, v6
	v_add_nc_u32_e32 v5, v7, v5
	v_bfe_u32 v7, v8, 20, 1
	v_add_nc_u32_e32 v7, -1, v7
	v_cndmask_b32_e64 v7, 0, v7, s12
	s_mov_b32 s12, exec_lo
	v_add_nc_u32_e32 v7, v7, v8
	v_and_b32_e32 v7, 0xfffff, v7
	v_add_nc_u32_e32 v7, v7, v8
                                        ; implicit-def: $vgpr8
	v_cmpx_ne_u32_e64 v5, v6
	s_xor_b32 s12, exec_lo, s12
; %bb.6397:                             ;   in Loop: Header=BB6_4858 Depth=2
	v_cmp_lt_u32_e32 vcc_lo, 0xffffff, v7
	v_sub_nc_u32_e32 v5, v5, v6
	v_cndmask_b32_e64 v6, 0, 1, vcc_lo
	v_add_co_ci_u32_e64 v8, null, 0, v5, vcc_lo
	v_lshrrev_b32_e32 v7, v6, v7
; %bb.6398:                             ;   in Loop: Header=BB6_4858 Depth=2
	s_andn2_saveexec_b32 s12, s12
; %bb.6399:                             ;   in Loop: Header=BB6_4858 Depth=2
	v_bfe_u32 v8, v7, 23, 1
; %bb.6400:                             ;   in Loop: Header=BB6_4858 Depth=2
	s_or_b32 exec_lo, exec_lo, s12
	v_lshrrev_b32_e32 v5, 20, v7
	v_min_i32_e32 v6, 15, v8
	v_cmp_gt_i32_e32 vcc_lo, 16, v8
	v_and_b32_sdwa v4, v4, v102 dst_sel:DWORD dst_unused:UNUSED_PAD src0_sel:BYTE_3 src1_sel:DWORD
	v_lshlrev_b32_e32 v6, 3, v6
	v_cndmask_b32_e32 v5, 7, v5, vcc_lo
	v_and_b32_e32 v6, 0xf8, v6
	v_or_b32_e32 v7, v8, v5
	v_and_b32_e32 v5, 7, v5
	v_cmp_ne_u32_e32 vcc_lo, 0, v7
	v_or3_b32 v4, v4, v6, v5
	v_lshlrev_b32_e32 v4, 8, v4
	v_cndmask_b32_e32 v21, 0, v4, vcc_lo
.LBB6_6401:                             ;   in Loop: Header=BB6_4858 Depth=2
	s_or_b32 exec_lo, exec_lo, s40
.LBB6_6402:                             ;   in Loop: Header=BB6_4858 Depth=2
	s_or_b32 exec_lo, exec_lo, s29
	v_or_b32_e32 v4, v2, v109
	s_mov_b32 s29, 0
	v_cmp_gt_i16_sdwa s12, v4, v101 src0_sel:BYTE_0 src1_sel:DWORD
	s_and_saveexec_b32 s40, s12
	s_xor_b32 s12, exec_lo, s40
	s_cbranch_execz .LBB6_7296
; %bb.6403:                             ;   in Loop: Header=BB6_4858 Depth=2
	v_cmp_eq_u16_sdwa s41, v4, v102 src0_sel:BYTE_0 src1_sel:DWORD
	s_mov_b32 s29, -1
	s_and_saveexec_b32 s40, s41
; %bb.6404:                             ;   in Loop: Header=BB6_4858 Depth=2
	s_xor_b32 s29, exec_lo, -1
; %bb.6405:                             ;   in Loop: Header=BB6_4858 Depth=2
	s_or_b32 exec_lo, exec_lo, s40
	s_and_b32 s29, s29, exec_lo
	s_or_saveexec_b32 s12, s12
	v_mov_b32_e32 v2, 0x7f800001
	s_xor_b32 exec_lo, exec_lo, s12
	s_cbranch_execnz .LBB6_7297
.LBB6_6406:                             ;   in Loop: Header=BB6_4858 Depth=2
	s_or_b32 exec_lo, exec_lo, s12
	s_and_saveexec_b32 s12, s29
	s_cbranch_execz .LBB6_6408
.LBB6_6407:                             ;   in Loop: Header=BB6_4858 Depth=2
	v_and_b32_e32 v2, 7, v4
	v_bfe_u32 v5, v4, 3, 4
	v_ffbh_u32_e32 v6, v2
	v_cmp_eq_u32_e32 vcc_lo, 0, v5
	v_min_u32_e32 v6, 32, v6
	v_subrev_nc_u32_e32 v7, 28, v6
	v_sub_nc_u32_e32 v6, 29, v6
	v_lshlrev_b32_e32 v7, v7, v4
	v_cndmask_b32_e32 v5, v5, v6, vcc_lo
	v_lshlrev_b32_e32 v6, 24, v4
	v_and_b32_e32 v7, 7, v7
	v_lshl_add_u32 v5, v5, 23, 0x3b800000
	v_and_b32_e32 v6, 0x80000000, v6
	v_cndmask_b32_e32 v2, v2, v7, vcc_lo
	v_lshlrev_b32_e32 v2, 20, v2
	v_or3_b32 v2, v6, v5, v2
.LBB6_6408:                             ;   in Loop: Header=BB6_4858 Depth=2
	s_or_b32 exec_lo, exec_lo, s12
	s_waitcnt vmcnt(1)
	v_cmp_gt_i16_sdwa s12, v14, v101 src0_sel:BYTE_0 src1_sel:DWORD
	s_mov_b32 s29, 0
	s_and_saveexec_b32 s40, s12
	s_xor_b32 s12, exec_lo, s40
	s_cbranch_execz .LBB6_7298
; %bb.6409:                             ;   in Loop: Header=BB6_4858 Depth=2
	v_cmp_eq_u16_sdwa s41, v14, v102 src0_sel:BYTE_0 src1_sel:DWORD
	s_mov_b32 s29, -1
	s_and_saveexec_b32 s40, s41
; %bb.6410:                             ;   in Loop: Header=BB6_4858 Depth=2
	s_xor_b32 s29, exec_lo, -1
; %bb.6411:                             ;   in Loop: Header=BB6_4858 Depth=2
	s_or_b32 exec_lo, exec_lo, s40
	s_and_b32 s29, s29, exec_lo
	s_or_saveexec_b32 s12, s12
	v_mov_b32_e32 v5, 0x7f800001
	s_xor_b32 exec_lo, exec_lo, s12
	s_cbranch_execnz .LBB6_7299
.LBB6_6412:                             ;   in Loop: Header=BB6_4858 Depth=2
	s_or_b32 exec_lo, exec_lo, s12
	s_and_saveexec_b32 s12, s29
	s_cbranch_execz .LBB6_6414
.LBB6_6413:                             ;   in Loop: Header=BB6_4858 Depth=2
	v_and_b32_e32 v5, 7, v14
	v_bfe_u32 v6, v14, 3, 4
	v_ffbh_u32_e32 v7, v5
	v_cmp_eq_u32_e32 vcc_lo, 0, v6
	v_min_u32_e32 v7, 32, v7
	v_subrev_nc_u32_e32 v8, 28, v7
	v_sub_nc_u32_e32 v7, 29, v7
	v_lshlrev_b32_e32 v8, v8, v14
	v_cndmask_b32_e32 v6, v6, v7, vcc_lo
	v_lshlrev_b32_e32 v7, 24, v14
	v_and_b32_e32 v8, 7, v8
	v_lshl_add_u32 v6, v6, 23, 0x3b800000
	v_and_b32_e32 v7, 0x80000000, v7
	v_cndmask_b32_e32 v5, v5, v8, vcc_lo
	v_lshlrev_b32_e32 v5, 20, v5
	v_or3_b32 v5, v7, v6, v5
.LBB6_6414:                             ;   in Loop: Header=BB6_4858 Depth=2
	s_or_b32 exec_lo, exec_lo, s12
	v_add_f32_e32 v5, v2, v5
	v_and_b32_e32 v2, 0x7f800000, v5
	v_cmp_ne_u32_e32 vcc_lo, 0x7f800000, v2
	v_mov_b32_e32 v2, 0x80
	s_and_saveexec_b32 s29, vcc_lo
	s_cbranch_execz .LBB6_6422
; %bb.6415:                             ;   in Loop: Header=BB6_4858 Depth=2
	v_mov_b32_e32 v2, 0
	s_mov_b32 s40, exec_lo
	v_cmpx_ne_u32_e32 0, v5
	s_cbranch_execz .LBB6_6421
; %bb.6416:                             ;   in Loop: Header=BB6_4858 Depth=2
	v_bfe_u32 v6, v5, 23, 8
	v_and_b32_e32 v2, 0x7fffff, v5
	v_cmp_gt_u32_e64 s12, 0x79, v6
	v_sub_nc_u32_e32 v7, 0x78, v6
	v_cmp_eq_u32_e32 vcc_lo, 0, v6
	v_or_b32_e32 v8, 0x800000, v2
	v_cndmask_b32_e64 v7, 0, v7, s12
	v_cndmask_b32_e32 v2, v8, v2, vcc_lo
	v_cndmask_b32_e64 v7, v7, 0x77, vcc_lo
	v_lshl_add_u32 v8, 0x100000, v7, -1
	v_lshlrev_b32_e64 v9, v7, 0x80000
	v_and_b32_e32 v8, v8, v2
	v_cmp_eq_u32_e64 s12, v8, v9
	v_lshrrev_b32_e32 v8, v7, v2
	v_add_nc_u32_e32 v2, 0xffffff89, v6
	v_lshrrev_b32_e32 v6, 23, v8
	v_cndmask_b32_e64 v2, v2, 0xffffff8a, vcc_lo
	v_xor_b32_e32 v6, 1, v6
	v_add_nc_u32_e32 v2, v7, v2
	v_bfe_u32 v7, v8, 20, 1
	v_add_nc_u32_e32 v7, -1, v7
	v_cndmask_b32_e64 v7, 0, v7, s12
	s_mov_b32 s12, exec_lo
	v_add_nc_u32_e32 v7, v7, v8
	v_and_b32_e32 v7, 0xfffff, v7
	v_add_nc_u32_e32 v7, v7, v8
                                        ; implicit-def: $vgpr8
	v_cmpx_ne_u32_e64 v2, v6
	s_xor_b32 s12, exec_lo, s12
; %bb.6417:                             ;   in Loop: Header=BB6_4858 Depth=2
	v_cmp_lt_u32_e32 vcc_lo, 0xffffff, v7
	v_sub_nc_u32_e32 v2, v2, v6
	v_cndmask_b32_e64 v6, 0, 1, vcc_lo
	v_add_co_ci_u32_e64 v8, null, 0, v2, vcc_lo
	v_lshrrev_b32_e32 v7, v6, v7
; %bb.6418:                             ;   in Loop: Header=BB6_4858 Depth=2
	s_andn2_saveexec_b32 s12, s12
; %bb.6419:                             ;   in Loop: Header=BB6_4858 Depth=2
	v_bfe_u32 v8, v7, 23, 1
; %bb.6420:                             ;   in Loop: Header=BB6_4858 Depth=2
	s_or_b32 exec_lo, exec_lo, s12
	v_and_b32_sdwa v2, v5, v102 dst_sel:DWORD dst_unused:UNUSED_PAD src0_sel:BYTE_3 src1_sel:DWORD
	v_lshrrev_b32_e32 v5, 20, v7
	v_min_i32_e32 v6, 15, v8
	v_cmp_gt_i32_e32 vcc_lo, 16, v8
	v_lshlrev_b32_e32 v6, 3, v6
	v_cndmask_b32_e32 v5, 7, v5, vcc_lo
	v_and_b32_e32 v6, 0xf8, v6
	v_or_b32_e32 v7, v8, v5
	v_and_b32_e32 v5, 7, v5
	v_cmp_ne_u32_e32 vcc_lo, 0, v7
	v_or3_b32 v2, v6, v2, v5
	v_cndmask_b32_e32 v2, 0, v2, vcc_lo
.LBB6_6421:                             ;   in Loop: Header=BB6_4858 Depth=2
	s_or_b32 exec_lo, exec_lo, s40
.LBB6_6422:                             ;   in Loop: Header=BB6_4858 Depth=2
	s_or_b32 exec_lo, exec_lo, s29
	v_cmp_gt_i16_sdwa s29, v4, v101 src0_sel:BYTE_1 src1_sel:DWORD
	s_mov_b32 s12, 0
	s_and_saveexec_b32 s40, s29
	s_xor_b32 s29, exec_lo, s40
	s_cbranch_execz .LBB6_7300
; %bb.6423:                             ;   in Loop: Header=BB6_4858 Depth=2
	v_cmp_eq_u16_sdwa s41, v4, v102 src0_sel:BYTE_1 src1_sel:DWORD
	s_mov_b32 s12, -1
	s_and_saveexec_b32 s40, s41
; %bb.6424:                             ;   in Loop: Header=BB6_4858 Depth=2
	s_xor_b32 s12, exec_lo, -1
; %bb.6425:                             ;   in Loop: Header=BB6_4858 Depth=2
	s_or_b32 exec_lo, exec_lo, s40
	s_and_b32 s12, s12, exec_lo
	s_or_saveexec_b32 s29, s29
	v_mov_b32_e32 v5, 0x7f800001
	s_xor_b32 exec_lo, exec_lo, s29
	s_cbranch_execnz .LBB6_7301
.LBB6_6426:                             ;   in Loop: Header=BB6_4858 Depth=2
	s_or_b32 exec_lo, exec_lo, s29
	s_and_saveexec_b32 s29, s12
	s_cbranch_execz .LBB6_6428
.LBB6_6427:                             ;   in Loop: Header=BB6_4858 Depth=2
	v_and_b32_sdwa v5, v103, v4 dst_sel:DWORD dst_unused:UNUSED_PAD src0_sel:DWORD src1_sel:BYTE_1
	v_and_b32_e32 v6, 7, v5
	v_bfe_u32 v9, v5, 3, 4
	v_ffbh_u32_e32 v7, v6
	v_cmp_eq_u32_e32 vcc_lo, 0, v9
	v_min_u32_e32 v7, 32, v7
	v_subrev_nc_u32_e32 v8, 28, v7
	v_sub_nc_u32_e32 v7, 29, v7
	v_lshlrev_b32_e32 v5, v8, v5
	v_lshlrev_b32_sdwa v8, v112, v4 dst_sel:DWORD dst_unused:UNUSED_PAD src0_sel:DWORD src1_sel:BYTE_1
	v_cndmask_b32_e32 v7, v9, v7, vcc_lo
	v_and_b32_e32 v5, 7, v5
	v_lshl_add_u32 v7, v7, 23, 0x3b800000
	v_cndmask_b32_e32 v5, v6, v5, vcc_lo
	v_and_b32_e32 v6, 0x80000000, v8
	v_lshlrev_b32_e32 v5, 20, v5
	v_or3_b32 v5, v6, v7, v5
.LBB6_6428:                             ;   in Loop: Header=BB6_4858 Depth=2
	s_or_b32 exec_lo, exec_lo, s29
	v_cmp_gt_i16_sdwa s29, v14, v101 src0_sel:BYTE_1 src1_sel:DWORD
	s_mov_b32 s12, 0
	s_and_saveexec_b32 s40, s29
	s_xor_b32 s29, exec_lo, s40
	s_cbranch_execz .LBB6_7302
; %bb.6429:                             ;   in Loop: Header=BB6_4858 Depth=2
	v_cmp_eq_u16_sdwa s41, v14, v102 src0_sel:BYTE_1 src1_sel:DWORD
	s_mov_b32 s12, -1
	s_and_saveexec_b32 s40, s41
; %bb.6430:                             ;   in Loop: Header=BB6_4858 Depth=2
	s_xor_b32 s12, exec_lo, -1
; %bb.6431:                             ;   in Loop: Header=BB6_4858 Depth=2
	s_or_b32 exec_lo, exec_lo, s40
	s_and_b32 s12, s12, exec_lo
	s_or_saveexec_b32 s29, s29
	v_mov_b32_e32 v6, 0x7f800001
	s_xor_b32 exec_lo, exec_lo, s29
	s_cbranch_execnz .LBB6_7303
.LBB6_6432:                             ;   in Loop: Header=BB6_4858 Depth=2
	s_or_b32 exec_lo, exec_lo, s29
	s_and_saveexec_b32 s29, s12
	s_cbranch_execz .LBB6_6434
.LBB6_6433:                             ;   in Loop: Header=BB6_4858 Depth=2
	v_and_b32_sdwa v6, v103, v14 dst_sel:DWORD dst_unused:UNUSED_PAD src0_sel:DWORD src1_sel:BYTE_1
	v_and_b32_e32 v7, 7, v6
	v_bfe_u32 v30, v6, 3, 4
	v_ffbh_u32_e32 v8, v7
	v_cmp_eq_u32_e32 vcc_lo, 0, v30
	v_min_u32_e32 v8, 32, v8
	v_subrev_nc_u32_e32 v9, 28, v8
	v_sub_nc_u32_e32 v8, 29, v8
	v_lshlrev_b32_e32 v6, v9, v6
	v_lshlrev_b32_sdwa v9, v112, v14 dst_sel:DWORD dst_unused:UNUSED_PAD src0_sel:DWORD src1_sel:BYTE_1
	v_cndmask_b32_e32 v8, v30, v8, vcc_lo
	v_and_b32_e32 v6, 7, v6
	v_lshl_add_u32 v8, v8, 23, 0x3b800000
	v_cndmask_b32_e32 v6, v7, v6, vcc_lo
	v_and_b32_e32 v7, 0x80000000, v9
	v_lshlrev_b32_e32 v6, 20, v6
	v_or3_b32 v6, v7, v8, v6
.LBB6_6434:                             ;   in Loop: Header=BB6_4858 Depth=2
	s_or_b32 exec_lo, exec_lo, s29
	v_add_f32_e32 v5, v5, v6
	v_mov_b32_e32 v30, 0x8000
	s_mov_b32 s29, exec_lo
	v_and_b32_e32 v6, 0x7f800000, v5
	v_cmpx_ne_u32_e32 0x7f800000, v6
	s_cbranch_execz .LBB6_6442
; %bb.6435:                             ;   in Loop: Header=BB6_4858 Depth=2
	v_mov_b32_e32 v30, 0
	s_mov_b32 s40, exec_lo
	v_cmpx_ne_u32_e32 0, v5
	s_cbranch_execz .LBB6_6441
; %bb.6436:                             ;   in Loop: Header=BB6_4858 Depth=2
	v_bfe_u32 v7, v5, 23, 8
	v_and_b32_e32 v6, 0x7fffff, v5
	v_cmp_gt_u32_e64 s12, 0x79, v7
	v_sub_nc_u32_e32 v8, 0x78, v7
	v_cmp_eq_u32_e32 vcc_lo, 0, v7
	v_or_b32_e32 v9, 0x800000, v6
	v_cndmask_b32_e64 v8, 0, v8, s12
	v_cndmask_b32_e32 v6, v9, v6, vcc_lo
	v_cndmask_b32_e64 v8, v8, 0x77, vcc_lo
	v_lshl_add_u32 v9, 0x100000, v8, -1
	v_lshlrev_b32_e64 v30, v8, 0x80000
	v_and_b32_e32 v9, v9, v6
	v_cmp_eq_u32_e64 s12, v9, v30
	v_lshrrev_b32_e32 v9, v8, v6
	v_add_nc_u32_e32 v6, 0xffffff89, v7
	v_lshrrev_b32_e32 v7, 23, v9
	v_cndmask_b32_e64 v6, v6, 0xffffff8a, vcc_lo
	v_xor_b32_e32 v7, 1, v7
	v_add_nc_u32_e32 v6, v8, v6
	v_bfe_u32 v8, v9, 20, 1
	v_add_nc_u32_e32 v8, -1, v8
	v_cndmask_b32_e64 v8, 0, v8, s12
	s_mov_b32 s12, exec_lo
	v_add_nc_u32_e32 v8, v8, v9
	v_and_b32_e32 v8, 0xfffff, v8
	v_add_nc_u32_e32 v8, v8, v9
                                        ; implicit-def: $vgpr9
	v_cmpx_ne_u32_e64 v6, v7
	s_xor_b32 s12, exec_lo, s12
; %bb.6437:                             ;   in Loop: Header=BB6_4858 Depth=2
	v_cmp_lt_u32_e32 vcc_lo, 0xffffff, v8
	v_sub_nc_u32_e32 v6, v6, v7
	v_cndmask_b32_e64 v7, 0, 1, vcc_lo
	v_add_co_ci_u32_e64 v9, null, 0, v6, vcc_lo
	v_lshrrev_b32_e32 v8, v7, v8
; %bb.6438:                             ;   in Loop: Header=BB6_4858 Depth=2
	s_andn2_saveexec_b32 s12, s12
; %bb.6439:                             ;   in Loop: Header=BB6_4858 Depth=2
	v_bfe_u32 v9, v8, 23, 1
; %bb.6440:                             ;   in Loop: Header=BB6_4858 Depth=2
	s_or_b32 exec_lo, exec_lo, s12
	v_lshrrev_b32_e32 v6, 20, v8
	v_min_i32_e32 v7, 15, v9
	v_cmp_gt_i32_e32 vcc_lo, 16, v9
	v_and_b32_sdwa v5, v5, v102 dst_sel:DWORD dst_unused:UNUSED_PAD src0_sel:BYTE_3 src1_sel:DWORD
	v_lshlrev_b32_e32 v7, 3, v7
	v_cndmask_b32_e32 v6, 7, v6, vcc_lo
	v_and_b32_e32 v7, 0xf8, v7
	v_or_b32_e32 v8, v9, v6
	v_and_b32_e32 v6, 7, v6
	v_cmp_ne_u32_e32 vcc_lo, 0, v8
	v_or3_b32 v5, v5, v7, v6
	v_lshlrev_b32_e32 v5, 8, v5
	v_cndmask_b32_e32 v30, 0, v5, vcc_lo
.LBB6_6441:                             ;   in Loop: Header=BB6_4858 Depth=2
	s_or_b32 exec_lo, exec_lo, s40
.LBB6_6442:                             ;   in Loop: Header=BB6_4858 Depth=2
	s_or_b32 exec_lo, exec_lo, s29
	v_or_b32_e32 v5, v108, v107
	s_mov_b32 s29, 0
	v_cmp_gt_i16_sdwa s12, v5, v101 src0_sel:BYTE_0 src1_sel:DWORD
	s_and_saveexec_b32 s40, s12
	s_xor_b32 s12, exec_lo, s40
	s_cbranch_execz .LBB6_7304
; %bb.6443:                             ;   in Loop: Header=BB6_4858 Depth=2
	v_cmp_eq_u16_sdwa s41, v5, v102 src0_sel:BYTE_0 src1_sel:DWORD
	s_mov_b32 s29, -1
	s_and_saveexec_b32 s40, s41
; %bb.6444:                             ;   in Loop: Header=BB6_4858 Depth=2
	s_xor_b32 s29, exec_lo, -1
; %bb.6445:                             ;   in Loop: Header=BB6_4858 Depth=2
	s_or_b32 exec_lo, exec_lo, s40
	s_and_b32 s29, s29, exec_lo
	s_or_saveexec_b32 s12, s12
	v_mov_b32_e32 v6, 0x7f800001
	s_xor_b32 exec_lo, exec_lo, s12
	s_cbranch_execnz .LBB6_7305
.LBB6_6446:                             ;   in Loop: Header=BB6_4858 Depth=2
	s_or_b32 exec_lo, exec_lo, s12
	v_lshl_or_b32 v5, v5, 16, v4
	s_and_saveexec_b32 s12, s29
	s_cbranch_execz .LBB6_6448
.LBB6_6447:                             ;   in Loop: Header=BB6_4858 Depth=2
	v_bfe_u32 v4, v5, 16, 3
	v_bfe_u32 v6, v5, 19, 4
	v_ffbh_u32_e32 v7, v4
	v_cmp_eq_u32_e32 vcc_lo, 0, v6
	v_min_u32_e32 v7, 32, v7
	v_subrev_nc_u32_e32 v8, 28, v7
	v_sub_nc_u32_e32 v7, 29, v7
	v_lshlrev_b32_sdwa v8, v8, v5 dst_sel:DWORD dst_unused:UNUSED_PAD src0_sel:DWORD src1_sel:WORD_1
	v_cndmask_b32_e32 v6, v6, v7, vcc_lo
	v_lshlrev_b32_e32 v7, 8, v5
	v_and_b32_e32 v8, 7, v8
	v_lshl_add_u32 v6, v6, 23, 0x3b800000
	v_and_b32_e32 v7, 0x80000000, v7
	v_cndmask_b32_e32 v4, v4, v8, vcc_lo
	v_lshlrev_b32_e32 v4, 20, v4
	v_or3_b32 v6, v7, v6, v4
.LBB6_6448:                             ;   in Loop: Header=BB6_4858 Depth=2
	s_or_b32 exec_lo, exec_lo, s12
	v_and_b32_sdwa v7, v14, v113 dst_sel:DWORD dst_unused:UNUSED_PAD src0_sel:WORD_1 src1_sel:DWORD
	s_mov_b32 s29, 0
	s_mov_b32 s12, exec_lo
	v_cmpx_lt_i16_e32 0x7f, v7
	s_xor_b32 s12, exec_lo, s12
	s_cbranch_execz .LBB6_7306
; %bb.6449:                             ;   in Loop: Header=BB6_4858 Depth=2
	s_mov_b32 s29, -1
	s_mov_b32 s40, exec_lo
	v_cmpx_eq_u16_e32 0x80, v7
; %bb.6450:                             ;   in Loop: Header=BB6_4858 Depth=2
	s_xor_b32 s29, exec_lo, -1
; %bb.6451:                             ;   in Loop: Header=BB6_4858 Depth=2
	s_or_b32 exec_lo, exec_lo, s40
	s_and_b32 s29, s29, exec_lo
                                        ; implicit-def: $vgpr7
	s_or_saveexec_b32 s12, s12
	v_mov_b32_e32 v4, 0x7f800001
	s_xor_b32 exec_lo, exec_lo, s12
	s_cbranch_execnz .LBB6_7307
.LBB6_6452:                             ;   in Loop: Header=BB6_4858 Depth=2
	s_or_b32 exec_lo, exec_lo, s12
	s_and_saveexec_b32 s12, s29
	s_cbranch_execz .LBB6_6454
.LBB6_6453:                             ;   in Loop: Header=BB6_4858 Depth=2
	v_bfe_u32 v4, v14, 16, 3
	v_bfe_u32 v7, v14, 19, 4
	v_ffbh_u32_e32 v8, v4
	v_cmp_eq_u32_e32 vcc_lo, 0, v7
	v_min_u32_e32 v8, 32, v8
	v_subrev_nc_u32_e32 v9, 28, v8
	v_sub_nc_u32_e32 v8, 29, v8
	v_lshlrev_b32_sdwa v9, v9, v14 dst_sel:DWORD dst_unused:UNUSED_PAD src0_sel:DWORD src1_sel:WORD_1
	v_cndmask_b32_e32 v7, v7, v8, vcc_lo
	v_lshlrev_b32_e32 v8, 8, v14
	v_and_b32_e32 v9, 7, v9
	v_lshl_add_u32 v7, v7, 23, 0x3b800000
	v_and_b32_e32 v8, 0x80000000, v8
	v_cndmask_b32_e32 v4, v4, v9, vcc_lo
	v_lshlrev_b32_e32 v4, 20, v4
	v_or3_b32 v4, v8, v7, v4
.LBB6_6454:                             ;   in Loop: Header=BB6_4858 Depth=2
	s_or_b32 exec_lo, exec_lo, s12
	v_add_f32_e32 v6, v6, v4
	v_and_b32_e32 v4, 0x7f800000, v6
	v_cmp_ne_u32_e32 vcc_lo, 0x7f800000, v4
	v_mov_b32_e32 v4, 0x80
	s_and_saveexec_b32 s29, vcc_lo
	s_cbranch_execz .LBB6_6462
; %bb.6455:                             ;   in Loop: Header=BB6_4858 Depth=2
	v_mov_b32_e32 v4, 0
	s_mov_b32 s40, exec_lo
	v_cmpx_ne_u32_e32 0, v6
	s_cbranch_execz .LBB6_6461
; %bb.6456:                             ;   in Loop: Header=BB6_4858 Depth=2
	v_bfe_u32 v7, v6, 23, 8
	v_and_b32_e32 v4, 0x7fffff, v6
	v_cmp_gt_u32_e64 s12, 0x79, v7
	v_sub_nc_u32_e32 v8, 0x78, v7
	v_cmp_eq_u32_e32 vcc_lo, 0, v7
	v_or_b32_e32 v9, 0x800000, v4
	v_cndmask_b32_e64 v8, 0, v8, s12
	v_cndmask_b32_e32 v4, v9, v4, vcc_lo
	v_cndmask_b32_e64 v8, v8, 0x77, vcc_lo
	v_lshl_add_u32 v9, 0x100000, v8, -1
	v_lshlrev_b32_e64 v31, v8, 0x80000
	v_and_b32_e32 v9, v9, v4
	v_cmp_eq_u32_e64 s12, v9, v31
	v_lshrrev_b32_e32 v9, v8, v4
	v_add_nc_u32_e32 v4, 0xffffff89, v7
	v_lshrrev_b32_e32 v7, 23, v9
	v_cndmask_b32_e64 v4, v4, 0xffffff8a, vcc_lo
	v_xor_b32_e32 v7, 1, v7
	v_add_nc_u32_e32 v4, v8, v4
	v_bfe_u32 v8, v9, 20, 1
	v_add_nc_u32_e32 v8, -1, v8
	v_cndmask_b32_e64 v8, 0, v8, s12
	s_mov_b32 s12, exec_lo
	v_add_nc_u32_e32 v8, v8, v9
	v_and_b32_e32 v8, 0xfffff, v8
	v_add_nc_u32_e32 v8, v8, v9
                                        ; implicit-def: $vgpr9
	v_cmpx_ne_u32_e64 v4, v7
	s_xor_b32 s12, exec_lo, s12
; %bb.6457:                             ;   in Loop: Header=BB6_4858 Depth=2
	v_cmp_lt_u32_e32 vcc_lo, 0xffffff, v8
	v_sub_nc_u32_e32 v4, v4, v7
	v_cndmask_b32_e64 v7, 0, 1, vcc_lo
	v_add_co_ci_u32_e64 v9, null, 0, v4, vcc_lo
	v_lshrrev_b32_e32 v8, v7, v8
; %bb.6458:                             ;   in Loop: Header=BB6_4858 Depth=2
	s_andn2_saveexec_b32 s12, s12
; %bb.6459:                             ;   in Loop: Header=BB6_4858 Depth=2
	v_bfe_u32 v9, v8, 23, 1
; %bb.6460:                             ;   in Loop: Header=BB6_4858 Depth=2
	s_or_b32 exec_lo, exec_lo, s12
	v_and_b32_sdwa v4, v6, v102 dst_sel:DWORD dst_unused:UNUSED_PAD src0_sel:BYTE_3 src1_sel:DWORD
	v_lshrrev_b32_e32 v6, 20, v8
	v_min_i32_e32 v7, 15, v9
	v_cmp_gt_i32_e32 vcc_lo, 16, v9
	v_lshlrev_b32_e32 v7, 3, v7
	v_cndmask_b32_e32 v6, 7, v6, vcc_lo
	v_and_b32_e32 v7, 0xf8, v7
	v_or_b32_e32 v8, v9, v6
	v_and_b32_e32 v6, 7, v6
	v_cmp_ne_u32_e32 vcc_lo, 0, v8
	v_or3_b32 v4, v7, v4, v6
	v_cndmask_b32_e32 v4, 0, v4, vcc_lo
.LBB6_6461:                             ;   in Loop: Header=BB6_4858 Depth=2
	s_or_b32 exec_lo, exec_lo, s40
.LBB6_6462:                             ;   in Loop: Header=BB6_4858 Depth=2
	s_or_b32 exec_lo, exec_lo, s29
	v_cmp_gt_i16_sdwa s29, v5, v101 src0_sel:BYTE_3 src1_sel:DWORD
	s_mov_b32 s12, 0
	s_and_saveexec_b32 s40, s29
	s_xor_b32 s29, exec_lo, s40
	s_cbranch_execz .LBB6_7308
; %bb.6463:                             ;   in Loop: Header=BB6_4858 Depth=2
	v_cmp_eq_u16_sdwa s41, v5, v102 src0_sel:BYTE_3 src1_sel:DWORD
	s_mov_b32 s12, -1
	s_and_saveexec_b32 s40, s41
; %bb.6464:                             ;   in Loop: Header=BB6_4858 Depth=2
	s_xor_b32 s12, exec_lo, -1
; %bb.6465:                             ;   in Loop: Header=BB6_4858 Depth=2
	s_or_b32 exec_lo, exec_lo, s40
	s_and_b32 s12, s12, exec_lo
	s_or_saveexec_b32 s29, s29
	v_mov_b32_e32 v6, 0x7f800001
	s_xor_b32 exec_lo, exec_lo, s29
	s_cbranch_execnz .LBB6_7309
.LBB6_6466:                             ;   in Loop: Header=BB6_4858 Depth=2
	s_or_b32 exec_lo, exec_lo, s29
	s_and_saveexec_b32 s29, s12
	s_cbranch_execz .LBB6_6468
.LBB6_6467:                             ;   in Loop: Header=BB6_4858 Depth=2
	v_bfe_u32 v6, v5, 24, 3
	v_bfe_u32 v9, v5, 27, 4
	v_ffbh_u32_e32 v7, v6
	v_cmp_eq_u32_e32 vcc_lo, 0, v9
	v_min_u32_e32 v7, 32, v7
	v_subrev_nc_u32_e32 v8, 28, v7
	v_sub_nc_u32_e32 v7, 29, v7
	v_lshlrev_b32_sdwa v8, v8, v5 dst_sel:DWORD dst_unused:UNUSED_PAD src0_sel:DWORD src1_sel:BYTE_3
	v_cndmask_b32_e32 v7, v9, v7, vcc_lo
	v_and_b32_e32 v5, 0x80000000, v5
	v_and_b32_e32 v8, 7, v8
	v_lshl_add_u32 v7, v7, 23, 0x3b800000
	v_cndmask_b32_e32 v6, v6, v8, vcc_lo
	v_lshlrev_b32_e32 v6, 20, v6
	v_or3_b32 v6, v5, v7, v6
.LBB6_6468:                             ;   in Loop: Header=BB6_4858 Depth=2
	s_or_b32 exec_lo, exec_lo, s29
	v_cmp_gt_i16_sdwa s29, v14, v101 src0_sel:BYTE_3 src1_sel:DWORD
	s_mov_b32 s12, 0
	s_and_saveexec_b32 s40, s29
	s_xor_b32 s29, exec_lo, s40
	s_cbranch_execz .LBB6_7310
; %bb.6469:                             ;   in Loop: Header=BB6_4858 Depth=2
	v_cmp_eq_u16_sdwa s41, v14, v102 src0_sel:BYTE_3 src1_sel:DWORD
	s_mov_b32 s12, -1
	s_and_saveexec_b32 s40, s41
; %bb.6470:                             ;   in Loop: Header=BB6_4858 Depth=2
	s_xor_b32 s12, exec_lo, -1
; %bb.6471:                             ;   in Loop: Header=BB6_4858 Depth=2
	s_or_b32 exec_lo, exec_lo, s40
	s_and_b32 s12, s12, exec_lo
	s_or_saveexec_b32 s29, s29
	v_mov_b32_e32 v5, 0x7f800001
	s_xor_b32 exec_lo, exec_lo, s29
	s_cbranch_execnz .LBB6_7311
.LBB6_6472:                             ;   in Loop: Header=BB6_4858 Depth=2
	s_or_b32 exec_lo, exec_lo, s29
	s_and_saveexec_b32 s29, s12
	s_cbranch_execz .LBB6_6474
.LBB6_6473:                             ;   in Loop: Header=BB6_4858 Depth=2
	v_bfe_u32 v5, v14, 24, 3
	v_bfe_u32 v9, v14, 27, 4
	v_ffbh_u32_e32 v7, v5
	v_cmp_eq_u32_e32 vcc_lo, 0, v9
	v_min_u32_e32 v7, 32, v7
	v_subrev_nc_u32_e32 v8, 28, v7
	v_sub_nc_u32_e32 v7, 29, v7
	v_lshlrev_b32_sdwa v8, v8, v14 dst_sel:DWORD dst_unused:UNUSED_PAD src0_sel:DWORD src1_sel:BYTE_3
	v_cndmask_b32_e32 v7, v9, v7, vcc_lo
	v_and_b32_e32 v8, 7, v8
	v_lshl_add_u32 v7, v7, 23, 0x3b800000
	v_cndmask_b32_e32 v5, v5, v8, vcc_lo
	v_and_b32_e32 v8, 0x80000000, v14
	v_lshlrev_b32_e32 v5, 20, v5
	v_or3_b32 v5, v8, v7, v5
.LBB6_6474:                             ;   in Loop: Header=BB6_4858 Depth=2
	s_or_b32 exec_lo, exec_lo, s29
	v_add_f32_e32 v6, v6, v5
	v_and_b32_e32 v5, 0x7f800000, v6
	v_cmp_ne_u32_e32 vcc_lo, 0x7f800000, v5
	v_mov_b32_e32 v5, 0x8000
	s_and_saveexec_b32 s29, vcc_lo
	s_cbranch_execz .LBB6_6482
; %bb.6475:                             ;   in Loop: Header=BB6_4858 Depth=2
	v_mov_b32_e32 v5, 0
	s_mov_b32 s40, exec_lo
	v_cmpx_ne_u32_e32 0, v6
	s_cbranch_execz .LBB6_6481
; %bb.6476:                             ;   in Loop: Header=BB6_4858 Depth=2
	v_bfe_u32 v7, v6, 23, 8
	v_and_b32_e32 v5, 0x7fffff, v6
	v_cmp_gt_u32_e64 s12, 0x79, v7
	v_sub_nc_u32_e32 v8, 0x78, v7
	v_cmp_eq_u32_e32 vcc_lo, 0, v7
	v_or_b32_e32 v9, 0x800000, v5
	v_cndmask_b32_e64 v8, 0, v8, s12
	v_cndmask_b32_e32 v5, v9, v5, vcc_lo
	v_cndmask_b32_e64 v8, v8, 0x77, vcc_lo
	v_lshl_add_u32 v9, 0x100000, v8, -1
	v_lshlrev_b32_e64 v14, v8, 0x80000
	v_and_b32_e32 v9, v9, v5
	v_cmp_eq_u32_e64 s12, v9, v14
	v_lshrrev_b32_e32 v9, v8, v5
	v_add_nc_u32_e32 v5, 0xffffff89, v7
	v_lshrrev_b32_e32 v7, 23, v9
	v_cndmask_b32_e64 v5, v5, 0xffffff8a, vcc_lo
	v_xor_b32_e32 v7, 1, v7
	v_add_nc_u32_e32 v5, v8, v5
	v_bfe_u32 v8, v9, 20, 1
	v_add_nc_u32_e32 v8, -1, v8
	v_cndmask_b32_e64 v8, 0, v8, s12
	s_mov_b32 s12, exec_lo
	v_add_nc_u32_e32 v8, v8, v9
	v_and_b32_e32 v8, 0xfffff, v8
	v_add_nc_u32_e32 v8, v8, v9
                                        ; implicit-def: $vgpr9
	v_cmpx_ne_u32_e64 v5, v7
	s_xor_b32 s12, exec_lo, s12
; %bb.6477:                             ;   in Loop: Header=BB6_4858 Depth=2
	v_cmp_lt_u32_e32 vcc_lo, 0xffffff, v8
	v_sub_nc_u32_e32 v5, v5, v7
	v_cndmask_b32_e64 v7, 0, 1, vcc_lo
	v_add_co_ci_u32_e64 v9, null, 0, v5, vcc_lo
	v_lshrrev_b32_e32 v8, v7, v8
; %bb.6478:                             ;   in Loop: Header=BB6_4858 Depth=2
	s_andn2_saveexec_b32 s12, s12
; %bb.6479:                             ;   in Loop: Header=BB6_4858 Depth=2
	v_bfe_u32 v9, v8, 23, 1
; %bb.6480:                             ;   in Loop: Header=BB6_4858 Depth=2
	s_or_b32 exec_lo, exec_lo, s12
	v_and_b32_sdwa v5, v6, v102 dst_sel:DWORD dst_unused:UNUSED_PAD src0_sel:BYTE_3 src1_sel:DWORD
	v_lshrrev_b32_e32 v6, 20, v8
	v_min_i32_e32 v7, 15, v9
	v_cmp_gt_i32_e32 vcc_lo, 16, v9
	v_lshlrev_b32_e32 v7, 3, v7
	v_cndmask_b32_e32 v6, 7, v6, vcc_lo
	v_and_b32_e32 v7, 0xf8, v7
	v_or_b32_e32 v8, v9, v6
	v_and_b32_e32 v6, 7, v6
	v_cmp_ne_u32_e32 vcc_lo, 0, v8
	v_or3_b32 v5, v5, v7, v6
	v_lshlrev_b32_e32 v5, 8, v5
	v_cndmask_b32_e32 v5, 0, v5, vcc_lo
.LBB6_6481:                             ;   in Loop: Header=BB6_4858 Depth=2
	s_or_b32 exec_lo, exec_lo, s40
.LBB6_6482:                             ;   in Loop: Header=BB6_4858 Depth=2
	s_or_b32 exec_lo, exec_lo, s29
	v_or_b32_e32 v6, v105, v104
	s_mov_b32 s29, 0
	v_cmp_gt_i16_sdwa s12, v6, v101 src0_sel:BYTE_0 src1_sel:DWORD
	s_and_saveexec_b32 s40, s12
	s_xor_b32 s12, exec_lo, s40
	s_cbranch_execz .LBB6_7312
; %bb.6483:                             ;   in Loop: Header=BB6_4858 Depth=2
	v_cmp_eq_u16_sdwa s41, v6, v102 src0_sel:BYTE_0 src1_sel:DWORD
	s_mov_b32 s29, -1
	s_and_saveexec_b32 s40, s41
; %bb.6484:                             ;   in Loop: Header=BB6_4858 Depth=2
	s_xor_b32 s29, exec_lo, -1
; %bb.6485:                             ;   in Loop: Header=BB6_4858 Depth=2
	s_or_b32 exec_lo, exec_lo, s40
	s_and_b32 s29, s29, exec_lo
	s_or_saveexec_b32 s12, s12
	v_mov_b32_e32 v7, 0x7f800001
	s_xor_b32 exec_lo, exec_lo, s12
	s_cbranch_execnz .LBB6_7313
.LBB6_6486:                             ;   in Loop: Header=BB6_4858 Depth=2
	s_or_b32 exec_lo, exec_lo, s12
	s_and_saveexec_b32 s12, s29
	s_cbranch_execz .LBB6_6488
.LBB6_6487:                             ;   in Loop: Header=BB6_4858 Depth=2
	v_and_b32_e32 v7, 7, v6
	v_bfe_u32 v8, v6, 3, 4
	v_ffbh_u32_e32 v9, v7
	v_cmp_eq_u32_e32 vcc_lo, 0, v8
	v_min_u32_e32 v9, 32, v9
	v_subrev_nc_u32_e32 v14, 28, v9
	v_sub_nc_u32_e32 v9, 29, v9
	v_lshlrev_b32_e32 v14, v14, v6
	v_cndmask_b32_e32 v8, v8, v9, vcc_lo
	v_lshlrev_b32_e32 v9, 24, v6
	v_and_b32_e32 v14, 7, v14
	v_lshl_add_u32 v8, v8, 23, 0x3b800000
	v_and_b32_e32 v9, 0x80000000, v9
	v_cndmask_b32_e32 v7, v7, v14, vcc_lo
	v_lshlrev_b32_e32 v7, 20, v7
	v_or3_b32 v7, v9, v8, v7
.LBB6_6488:                             ;   in Loop: Header=BB6_4858 Depth=2
	s_or_b32 exec_lo, exec_lo, s12
	v_cmp_gt_i16_sdwa s12, v15, v101 src0_sel:BYTE_0 src1_sel:DWORD
	s_mov_b32 s29, 0
	s_and_saveexec_b32 s40, s12
	s_xor_b32 s12, exec_lo, s40
	s_cbranch_execz .LBB6_7314
; %bb.6489:                             ;   in Loop: Header=BB6_4858 Depth=2
	v_cmp_eq_u16_sdwa s41, v15, v102 src0_sel:BYTE_0 src1_sel:DWORD
	s_mov_b32 s29, -1
	s_and_saveexec_b32 s40, s41
; %bb.6490:                             ;   in Loop: Header=BB6_4858 Depth=2
	s_xor_b32 s29, exec_lo, -1
; %bb.6491:                             ;   in Loop: Header=BB6_4858 Depth=2
	s_or_b32 exec_lo, exec_lo, s40
	s_and_b32 s29, s29, exec_lo
	s_or_saveexec_b32 s12, s12
	v_mov_b32_e32 v8, 0x7f800001
	s_xor_b32 exec_lo, exec_lo, s12
	s_cbranch_execnz .LBB6_7315
.LBB6_6492:                             ;   in Loop: Header=BB6_4858 Depth=2
	s_or_b32 exec_lo, exec_lo, s12
	s_and_saveexec_b32 s12, s29
	s_cbranch_execz .LBB6_6494
.LBB6_6493:                             ;   in Loop: Header=BB6_4858 Depth=2
	v_and_b32_e32 v8, 7, v15
	v_bfe_u32 v9, v15, 3, 4
	v_ffbh_u32_e32 v14, v8
	v_cmp_eq_u32_e32 vcc_lo, 0, v9
	v_min_u32_e32 v14, 32, v14
	v_subrev_nc_u32_e32 v31, 28, v14
	v_sub_nc_u32_e32 v14, 29, v14
	v_lshlrev_b32_e32 v31, v31, v15
	v_cndmask_b32_e32 v9, v9, v14, vcc_lo
	v_lshlrev_b32_e32 v14, 24, v15
	v_and_b32_e32 v31, 7, v31
	v_lshl_add_u32 v9, v9, 23, 0x3b800000
	v_and_b32_e32 v14, 0x80000000, v14
	v_cndmask_b32_e32 v8, v8, v31, vcc_lo
	v_lshlrev_b32_e32 v8, 20, v8
	v_or3_b32 v8, v14, v9, v8
.LBB6_6494:                             ;   in Loop: Header=BB6_4858 Depth=2
	s_or_b32 exec_lo, exec_lo, s12
	v_add_f32_e32 v7, v7, v8
	v_mov_b32_e32 v14, 0x80
	s_mov_b32 s29, exec_lo
	v_and_b32_e32 v8, 0x7f800000, v7
	v_cmpx_ne_u32_e32 0x7f800000, v8
	s_cbranch_execz .LBB6_6502
; %bb.6495:                             ;   in Loop: Header=BB6_4858 Depth=2
	v_mov_b32_e32 v14, 0
	s_mov_b32 s40, exec_lo
	v_cmpx_ne_u32_e32 0, v7
	s_cbranch_execz .LBB6_6501
; %bb.6496:                             ;   in Loop: Header=BB6_4858 Depth=2
	v_bfe_u32 v9, v7, 23, 8
	v_and_b32_e32 v8, 0x7fffff, v7
	v_cmp_gt_u32_e64 s12, 0x79, v9
	v_sub_nc_u32_e32 v14, 0x78, v9
	v_cmp_eq_u32_e32 vcc_lo, 0, v9
	v_or_b32_e32 v31, 0x800000, v8
	v_cndmask_b32_e64 v14, 0, v14, s12
	v_cndmask_b32_e32 v8, v31, v8, vcc_lo
	v_cndmask_b32_e64 v14, v14, 0x77, vcc_lo
	v_lshl_add_u32 v31, 0x100000, v14, -1
	v_lshlrev_b32_e64 v32, v14, 0x80000
	v_and_b32_e32 v31, v31, v8
	v_cmp_eq_u32_e64 s12, v31, v32
	v_lshrrev_b32_e32 v31, v14, v8
	v_add_nc_u32_e32 v8, 0xffffff89, v9
	v_lshrrev_b32_e32 v9, 23, v31
	v_cndmask_b32_e64 v8, v8, 0xffffff8a, vcc_lo
	v_xor_b32_e32 v9, 1, v9
	v_add_nc_u32_e32 v8, v14, v8
	v_bfe_u32 v14, v31, 20, 1
	v_add_nc_u32_e32 v14, -1, v14
	v_cndmask_b32_e64 v14, 0, v14, s12
	s_mov_b32 s12, exec_lo
	v_add_nc_u32_e32 v14, v14, v31
	v_and_b32_e32 v14, 0xfffff, v14
	v_add_nc_u32_e32 v14, v14, v31
                                        ; implicit-def: $vgpr31
	v_cmpx_ne_u32_e64 v8, v9
	s_xor_b32 s12, exec_lo, s12
; %bb.6497:                             ;   in Loop: Header=BB6_4858 Depth=2
	v_cmp_lt_u32_e32 vcc_lo, 0xffffff, v14
	v_sub_nc_u32_e32 v8, v8, v9
	v_cndmask_b32_e64 v9, 0, 1, vcc_lo
	v_add_co_ci_u32_e64 v31, null, 0, v8, vcc_lo
	v_lshrrev_b32_e32 v14, v9, v14
; %bb.6498:                             ;   in Loop: Header=BB6_4858 Depth=2
	s_andn2_saveexec_b32 s12, s12
; %bb.6499:                             ;   in Loop: Header=BB6_4858 Depth=2
	v_bfe_u32 v31, v14, 23, 1
; %bb.6500:                             ;   in Loop: Header=BB6_4858 Depth=2
	s_or_b32 exec_lo, exec_lo, s12
	v_lshrrev_b32_e32 v8, 20, v14
	v_min_i32_e32 v9, 15, v31
	v_cmp_gt_i32_e32 vcc_lo, 16, v31
	v_and_b32_sdwa v7, v7, v102 dst_sel:DWORD dst_unused:UNUSED_PAD src0_sel:BYTE_3 src1_sel:DWORD
	v_lshlrev_b32_e32 v9, 3, v9
	v_cndmask_b32_e32 v8, 7, v8, vcc_lo
	v_and_b32_e32 v9, 0xf8, v9
	v_or_b32_e32 v14, v31, v8
	v_and_b32_e32 v8, 7, v8
	v_cmp_ne_u32_e32 vcc_lo, 0, v14
	v_or3_b32 v7, v9, v7, v8
	v_cndmask_b32_e32 v14, 0, v7, vcc_lo
.LBB6_6501:                             ;   in Loop: Header=BB6_4858 Depth=2
	s_or_b32 exec_lo, exec_lo, s40
.LBB6_6502:                             ;   in Loop: Header=BB6_4858 Depth=2
	s_or_b32 exec_lo, exec_lo, s29
	v_cmp_gt_i16_sdwa s29, v6, v101 src0_sel:BYTE_1 src1_sel:DWORD
	s_mov_b32 s12, 0
	s_and_saveexec_b32 s40, s29
	s_xor_b32 s29, exec_lo, s40
	s_cbranch_execz .LBB6_7316
; %bb.6503:                             ;   in Loop: Header=BB6_4858 Depth=2
	v_cmp_eq_u16_sdwa s41, v6, v102 src0_sel:BYTE_1 src1_sel:DWORD
	s_mov_b32 s12, -1
	s_and_saveexec_b32 s40, s41
; %bb.6504:                             ;   in Loop: Header=BB6_4858 Depth=2
	s_xor_b32 s12, exec_lo, -1
; %bb.6505:                             ;   in Loop: Header=BB6_4858 Depth=2
	s_or_b32 exec_lo, exec_lo, s40
	s_and_b32 s12, s12, exec_lo
	s_or_saveexec_b32 s29, s29
	v_mov_b32_e32 v7, 0x7f800001
	s_xor_b32 exec_lo, exec_lo, s29
	s_cbranch_execnz .LBB6_7317
.LBB6_6506:                             ;   in Loop: Header=BB6_4858 Depth=2
	s_or_b32 exec_lo, exec_lo, s29
	s_and_saveexec_b32 s29, s12
	s_cbranch_execz .LBB6_6508
.LBB6_6507:                             ;   in Loop: Header=BB6_4858 Depth=2
	v_and_b32_sdwa v7, v103, v6 dst_sel:DWORD dst_unused:UNUSED_PAD src0_sel:DWORD src1_sel:BYTE_1
	v_and_b32_e32 v8, 7, v7
	v_bfe_u32 v32, v7, 3, 4
	v_ffbh_u32_e32 v9, v8
	v_cmp_eq_u32_e32 vcc_lo, 0, v32
	v_min_u32_e32 v9, 32, v9
	v_subrev_nc_u32_e32 v31, 28, v9
	v_sub_nc_u32_e32 v9, 29, v9
	v_lshlrev_b32_e32 v7, v31, v7
	v_lshlrev_b32_sdwa v31, v112, v6 dst_sel:DWORD dst_unused:UNUSED_PAD src0_sel:DWORD src1_sel:BYTE_1
	v_cndmask_b32_e32 v9, v32, v9, vcc_lo
	v_and_b32_e32 v7, 7, v7
	v_lshl_add_u32 v9, v9, 23, 0x3b800000
	v_cndmask_b32_e32 v7, v8, v7, vcc_lo
	v_and_b32_e32 v8, 0x80000000, v31
	v_lshlrev_b32_e32 v7, 20, v7
	v_or3_b32 v7, v8, v9, v7
.LBB6_6508:                             ;   in Loop: Header=BB6_4858 Depth=2
	s_or_b32 exec_lo, exec_lo, s29
	v_cmp_gt_i16_sdwa s29, v15, v101 src0_sel:BYTE_1 src1_sel:DWORD
	s_mov_b32 s12, 0
	s_and_saveexec_b32 s40, s29
	s_xor_b32 s29, exec_lo, s40
	s_cbranch_execz .LBB6_7318
; %bb.6509:                             ;   in Loop: Header=BB6_4858 Depth=2
	v_cmp_eq_u16_sdwa s41, v15, v102 src0_sel:BYTE_1 src1_sel:DWORD
	s_mov_b32 s12, -1
	s_and_saveexec_b32 s40, s41
; %bb.6510:                             ;   in Loop: Header=BB6_4858 Depth=2
	s_xor_b32 s12, exec_lo, -1
; %bb.6511:                             ;   in Loop: Header=BB6_4858 Depth=2
	s_or_b32 exec_lo, exec_lo, s40
	s_and_b32 s12, s12, exec_lo
	s_or_saveexec_b32 s29, s29
	v_mov_b32_e32 v8, 0x7f800001
	s_xor_b32 exec_lo, exec_lo, s29
	s_cbranch_execnz .LBB6_7319
.LBB6_6512:                             ;   in Loop: Header=BB6_4858 Depth=2
	s_or_b32 exec_lo, exec_lo, s29
	s_and_saveexec_b32 s29, s12
	s_cbranch_execz .LBB6_6514
.LBB6_6513:                             ;   in Loop: Header=BB6_4858 Depth=2
	v_and_b32_sdwa v8, v103, v15 dst_sel:DWORD dst_unused:UNUSED_PAD src0_sel:DWORD src1_sel:BYTE_1
	v_and_b32_e32 v9, 7, v8
	v_bfe_u32 v33, v8, 3, 4
	v_ffbh_u32_e32 v31, v9
	v_cmp_eq_u32_e32 vcc_lo, 0, v33
	v_min_u32_e32 v31, 32, v31
	v_subrev_nc_u32_e32 v32, 28, v31
	v_sub_nc_u32_e32 v31, 29, v31
	v_lshlrev_b32_e32 v8, v32, v8
	v_lshlrev_b32_sdwa v32, v112, v15 dst_sel:DWORD dst_unused:UNUSED_PAD src0_sel:DWORD src1_sel:BYTE_1
	v_cndmask_b32_e32 v31, v33, v31, vcc_lo
	v_and_b32_e32 v8, 7, v8
	v_lshl_add_u32 v31, v31, 23, 0x3b800000
	v_cndmask_b32_e32 v8, v9, v8, vcc_lo
	v_and_b32_e32 v9, 0x80000000, v32
	v_lshlrev_b32_e32 v8, 20, v8
	v_or3_b32 v8, v9, v31, v8
.LBB6_6514:                             ;   in Loop: Header=BB6_4858 Depth=2
	s_or_b32 exec_lo, exec_lo, s29
	v_add_f32_e32 v7, v7, v8
	v_mov_b32_e32 v31, 0x8000
	s_mov_b32 s29, exec_lo
	v_and_b32_e32 v8, 0x7f800000, v7
	v_cmpx_ne_u32_e32 0x7f800000, v8
	s_cbranch_execz .LBB6_6522
; %bb.6515:                             ;   in Loop: Header=BB6_4858 Depth=2
	v_mov_b32_e32 v31, 0
	s_mov_b32 s40, exec_lo
	v_cmpx_ne_u32_e32 0, v7
	s_cbranch_execz .LBB6_6521
; %bb.6516:                             ;   in Loop: Header=BB6_4858 Depth=2
	v_bfe_u32 v9, v7, 23, 8
	v_and_b32_e32 v8, 0x7fffff, v7
	v_cmp_gt_u32_e64 s12, 0x79, v9
	v_sub_nc_u32_e32 v31, 0x78, v9
	v_cmp_eq_u32_e32 vcc_lo, 0, v9
	v_or_b32_e32 v32, 0x800000, v8
	v_cndmask_b32_e64 v31, 0, v31, s12
	v_cndmask_b32_e32 v8, v32, v8, vcc_lo
	v_cndmask_b32_e64 v31, v31, 0x77, vcc_lo
	v_lshl_add_u32 v32, 0x100000, v31, -1
	v_lshlrev_b32_e64 v33, v31, 0x80000
	v_and_b32_e32 v32, v32, v8
	v_cmp_eq_u32_e64 s12, v32, v33
	v_lshrrev_b32_e32 v32, v31, v8
	v_add_nc_u32_e32 v8, 0xffffff89, v9
	v_lshrrev_b32_e32 v9, 23, v32
	v_cndmask_b32_e64 v8, v8, 0xffffff8a, vcc_lo
	v_xor_b32_e32 v9, 1, v9
	v_add_nc_u32_e32 v8, v31, v8
	v_bfe_u32 v31, v32, 20, 1
	v_add_nc_u32_e32 v31, -1, v31
	v_cndmask_b32_e64 v31, 0, v31, s12
	s_mov_b32 s12, exec_lo
	v_add_nc_u32_e32 v31, v31, v32
	v_and_b32_e32 v31, 0xfffff, v31
	v_add_nc_u32_e32 v31, v31, v32
                                        ; implicit-def: $vgpr32
	v_cmpx_ne_u32_e64 v8, v9
	s_xor_b32 s12, exec_lo, s12
; %bb.6517:                             ;   in Loop: Header=BB6_4858 Depth=2
	v_cmp_lt_u32_e32 vcc_lo, 0xffffff, v31
	v_sub_nc_u32_e32 v8, v8, v9
	v_cndmask_b32_e64 v9, 0, 1, vcc_lo
	v_add_co_ci_u32_e64 v32, null, 0, v8, vcc_lo
	v_lshrrev_b32_e32 v31, v9, v31
; %bb.6518:                             ;   in Loop: Header=BB6_4858 Depth=2
	s_andn2_saveexec_b32 s12, s12
; %bb.6519:                             ;   in Loop: Header=BB6_4858 Depth=2
	v_bfe_u32 v32, v31, 23, 1
; %bb.6520:                             ;   in Loop: Header=BB6_4858 Depth=2
	s_or_b32 exec_lo, exec_lo, s12
	v_lshrrev_b32_e32 v8, 20, v31
	v_min_i32_e32 v9, 15, v32
	v_cmp_gt_i32_e32 vcc_lo, 16, v32
	v_and_b32_sdwa v7, v7, v102 dst_sel:DWORD dst_unused:UNUSED_PAD src0_sel:BYTE_3 src1_sel:DWORD
	v_lshlrev_b32_e32 v9, 3, v9
	v_cndmask_b32_e32 v8, 7, v8, vcc_lo
	v_and_b32_e32 v9, 0xf8, v9
	v_or_b32_e32 v31, v32, v8
	v_and_b32_e32 v8, 7, v8
	v_cmp_ne_u32_e32 vcc_lo, 0, v31
	v_or3_b32 v7, v7, v9, v8
	v_lshlrev_b32_e32 v7, 8, v7
	v_cndmask_b32_e32 v31, 0, v7, vcc_lo
.LBB6_6521:                             ;   in Loop: Header=BB6_4858 Depth=2
	s_or_b32 exec_lo, exec_lo, s40
.LBB6_6522:                             ;   in Loop: Header=BB6_4858 Depth=2
	s_or_b32 exec_lo, exec_lo, s29
	v_or_b32_e32 v8, v94, v93
	s_mov_b32 s29, 0
	v_cmp_gt_i16_sdwa s12, v8, v101 src0_sel:BYTE_0 src1_sel:DWORD
	s_and_saveexec_b32 s40, s12
	s_xor_b32 s12, exec_lo, s40
	s_cbranch_execz .LBB6_7320
; %bb.6523:                             ;   in Loop: Header=BB6_4858 Depth=2
	v_cmp_eq_u16_sdwa s41, v8, v102 src0_sel:BYTE_0 src1_sel:DWORD
	s_mov_b32 s29, -1
	s_and_saveexec_b32 s40, s41
; %bb.6524:                             ;   in Loop: Header=BB6_4858 Depth=2
	s_xor_b32 s29, exec_lo, -1
; %bb.6525:                             ;   in Loop: Header=BB6_4858 Depth=2
	s_or_b32 exec_lo, exec_lo, s40
	s_and_b32 s29, s29, exec_lo
	s_or_saveexec_b32 s12, s12
	v_mov_b32_e32 v7, 0x7f800001
	s_xor_b32 exec_lo, exec_lo, s12
	s_cbranch_execnz .LBB6_7321
.LBB6_6526:                             ;   in Loop: Header=BB6_4858 Depth=2
	s_or_b32 exec_lo, exec_lo, s12
	v_lshl_or_b32 v6, v8, 16, v6
	s_and_saveexec_b32 s12, s29
	s_cbranch_execz .LBB6_6528
.LBB6_6527:                             ;   in Loop: Header=BB6_4858 Depth=2
	v_bfe_u32 v7, v6, 16, 3
	v_bfe_u32 v8, v6, 19, 4
	v_ffbh_u32_e32 v9, v7
	v_cmp_eq_u32_e32 vcc_lo, 0, v8
	v_min_u32_e32 v9, 32, v9
	v_subrev_nc_u32_e32 v32, 28, v9
	v_sub_nc_u32_e32 v9, 29, v9
	v_lshlrev_b32_sdwa v32, v32, v6 dst_sel:DWORD dst_unused:UNUSED_PAD src0_sel:DWORD src1_sel:WORD_1
	v_cndmask_b32_e32 v8, v8, v9, vcc_lo
	v_lshlrev_b32_e32 v9, 8, v6
	v_and_b32_e32 v32, 7, v32
	v_lshl_add_u32 v8, v8, 23, 0x3b800000
	v_and_b32_e32 v9, 0x80000000, v9
	v_cndmask_b32_e32 v7, v7, v32, vcc_lo
	v_lshlrev_b32_e32 v7, 20, v7
	v_or3_b32 v7, v9, v8, v7
.LBB6_6528:                             ;   in Loop: Header=BB6_4858 Depth=2
	s_or_b32 exec_lo, exec_lo, s12
	v_and_b32_sdwa v9, v15, v113 dst_sel:DWORD dst_unused:UNUSED_PAD src0_sel:WORD_1 src1_sel:DWORD
	s_mov_b32 s29, 0
	s_mov_b32 s12, exec_lo
	v_cmpx_lt_i16_e32 0x7f, v9
	s_xor_b32 s12, exec_lo, s12
	s_cbranch_execz .LBB6_7322
; %bb.6529:                             ;   in Loop: Header=BB6_4858 Depth=2
	s_mov_b32 s29, -1
	s_mov_b32 s40, exec_lo
	v_cmpx_eq_u16_e32 0x80, v9
; %bb.6530:                             ;   in Loop: Header=BB6_4858 Depth=2
	s_xor_b32 s29, exec_lo, -1
; %bb.6531:                             ;   in Loop: Header=BB6_4858 Depth=2
	s_or_b32 exec_lo, exec_lo, s40
	s_and_b32 s29, s29, exec_lo
                                        ; implicit-def: $vgpr9
	s_or_saveexec_b32 s12, s12
	v_mov_b32_e32 v8, 0x7f800001
	s_xor_b32 exec_lo, exec_lo, s12
	s_cbranch_execnz .LBB6_7323
.LBB6_6532:                             ;   in Loop: Header=BB6_4858 Depth=2
	s_or_b32 exec_lo, exec_lo, s12
	s_and_saveexec_b32 s12, s29
	s_cbranch_execz .LBB6_6534
.LBB6_6533:                             ;   in Loop: Header=BB6_4858 Depth=2
	v_bfe_u32 v8, v15, 16, 3
	v_bfe_u32 v9, v15, 19, 4
	v_ffbh_u32_e32 v32, v8
	v_cmp_eq_u32_e32 vcc_lo, 0, v9
	v_min_u32_e32 v32, 32, v32
	v_subrev_nc_u32_e32 v33, 28, v32
	v_sub_nc_u32_e32 v32, 29, v32
	v_lshlrev_b32_sdwa v33, v33, v15 dst_sel:DWORD dst_unused:UNUSED_PAD src0_sel:DWORD src1_sel:WORD_1
	v_cndmask_b32_e32 v9, v9, v32, vcc_lo
	v_lshlrev_b32_e32 v32, 8, v15
	v_and_b32_e32 v33, 7, v33
	v_lshl_add_u32 v9, v9, 23, 0x3b800000
	v_and_b32_e32 v32, 0x80000000, v32
	v_cndmask_b32_e32 v8, v8, v33, vcc_lo
	v_lshlrev_b32_e32 v8, 20, v8
	v_or3_b32 v8, v32, v9, v8
.LBB6_6534:                             ;   in Loop: Header=BB6_4858 Depth=2
	s_or_b32 exec_lo, exec_lo, s12
	v_add_f32_e32 v7, v7, v8
	v_mov_b32_e32 v34, 0x80
	s_mov_b32 s29, exec_lo
	v_and_b32_e32 v8, 0x7f800000, v7
	v_cmpx_ne_u32_e32 0x7f800000, v8
	s_cbranch_execz .LBB6_6542
; %bb.6535:                             ;   in Loop: Header=BB6_4858 Depth=2
	v_mov_b32_e32 v34, 0
	s_mov_b32 s40, exec_lo
	v_cmpx_ne_u32_e32 0, v7
	s_cbranch_execz .LBB6_6541
; %bb.6536:                             ;   in Loop: Header=BB6_4858 Depth=2
	v_bfe_u32 v9, v7, 23, 8
	v_and_b32_e32 v8, 0x7fffff, v7
	v_cmp_gt_u32_e64 s12, 0x79, v9
	v_sub_nc_u32_e32 v32, 0x78, v9
	v_cmp_eq_u32_e32 vcc_lo, 0, v9
	v_or_b32_e32 v33, 0x800000, v8
	v_cndmask_b32_e64 v32, 0, v32, s12
	v_cndmask_b32_e32 v8, v33, v8, vcc_lo
	v_cndmask_b32_e64 v32, v32, 0x77, vcc_lo
	v_lshl_add_u32 v33, 0x100000, v32, -1
	v_lshlrev_b32_e64 v34, v32, 0x80000
	v_and_b32_e32 v33, v33, v8
	v_cmp_eq_u32_e64 s12, v33, v34
	v_lshrrev_b32_e32 v33, v32, v8
	v_add_nc_u32_e32 v8, 0xffffff89, v9
	v_lshrrev_b32_e32 v9, 23, v33
	v_cndmask_b32_e64 v8, v8, 0xffffff8a, vcc_lo
	v_xor_b32_e32 v9, 1, v9
	v_add_nc_u32_e32 v8, v32, v8
	v_bfe_u32 v32, v33, 20, 1
	v_add_nc_u32_e32 v32, -1, v32
	v_cndmask_b32_e64 v32, 0, v32, s12
	s_mov_b32 s12, exec_lo
	v_add_nc_u32_e32 v32, v32, v33
	v_and_b32_e32 v32, 0xfffff, v32
	v_add_nc_u32_e32 v32, v32, v33
                                        ; implicit-def: $vgpr33
	v_cmpx_ne_u32_e64 v8, v9
	s_xor_b32 s12, exec_lo, s12
; %bb.6537:                             ;   in Loop: Header=BB6_4858 Depth=2
	v_cmp_lt_u32_e32 vcc_lo, 0xffffff, v32
	v_sub_nc_u32_e32 v8, v8, v9
	v_cndmask_b32_e64 v9, 0, 1, vcc_lo
	v_add_co_ci_u32_e64 v33, null, 0, v8, vcc_lo
	v_lshrrev_b32_e32 v32, v9, v32
; %bb.6538:                             ;   in Loop: Header=BB6_4858 Depth=2
	s_andn2_saveexec_b32 s12, s12
; %bb.6539:                             ;   in Loop: Header=BB6_4858 Depth=2
	v_bfe_u32 v33, v32, 23, 1
; %bb.6540:                             ;   in Loop: Header=BB6_4858 Depth=2
	s_or_b32 exec_lo, exec_lo, s12
	v_lshrrev_b32_e32 v8, 20, v32
	v_min_i32_e32 v9, 15, v33
	v_cmp_gt_i32_e32 vcc_lo, 16, v33
	v_and_b32_sdwa v7, v7, v102 dst_sel:DWORD dst_unused:UNUSED_PAD src0_sel:BYTE_3 src1_sel:DWORD
	v_lshlrev_b32_e32 v9, 3, v9
	v_cndmask_b32_e32 v8, 7, v8, vcc_lo
	v_and_b32_e32 v9, 0xf8, v9
	v_or_b32_e32 v32, v33, v8
	v_and_b32_e32 v8, 7, v8
	v_cmp_ne_u32_e32 vcc_lo, 0, v32
	v_or3_b32 v7, v9, v7, v8
	v_cndmask_b32_e32 v34, 0, v7, vcc_lo
.LBB6_6541:                             ;   in Loop: Header=BB6_4858 Depth=2
	s_or_b32 exec_lo, exec_lo, s40
.LBB6_6542:                             ;   in Loop: Header=BB6_4858 Depth=2
	s_or_b32 exec_lo, exec_lo, s29
	v_cmp_gt_i16_sdwa s29, v6, v101 src0_sel:BYTE_3 src1_sel:DWORD
	s_mov_b32 s12, 0
	s_and_saveexec_b32 s40, s29
	s_xor_b32 s29, exec_lo, s40
	s_cbranch_execz .LBB6_7324
; %bb.6543:                             ;   in Loop: Header=BB6_4858 Depth=2
	v_cmp_eq_u16_sdwa s41, v6, v102 src0_sel:BYTE_3 src1_sel:DWORD
	s_mov_b32 s12, -1
	s_and_saveexec_b32 s40, s41
; %bb.6544:                             ;   in Loop: Header=BB6_4858 Depth=2
	s_xor_b32 s12, exec_lo, -1
; %bb.6545:                             ;   in Loop: Header=BB6_4858 Depth=2
	s_or_b32 exec_lo, exec_lo, s40
	s_and_b32 s12, s12, exec_lo
	s_or_saveexec_b32 s29, s29
	v_mov_b32_e32 v7, 0x7f800001
	s_xor_b32 exec_lo, exec_lo, s29
	s_cbranch_execnz .LBB6_7325
.LBB6_6546:                             ;   in Loop: Header=BB6_4858 Depth=2
	s_or_b32 exec_lo, exec_lo, s29
	s_and_saveexec_b32 s29, s12
	s_cbranch_execz .LBB6_6548
.LBB6_6547:                             ;   in Loop: Header=BB6_4858 Depth=2
	v_bfe_u32 v7, v6, 24, 3
	v_bfe_u32 v32, v6, 27, 4
	v_ffbh_u32_e32 v8, v7
	v_cmp_eq_u32_e32 vcc_lo, 0, v32
	v_min_u32_e32 v8, 32, v8
	v_subrev_nc_u32_e32 v9, 28, v8
	v_sub_nc_u32_e32 v8, 29, v8
	v_lshlrev_b32_sdwa v9, v9, v6 dst_sel:DWORD dst_unused:UNUSED_PAD src0_sel:DWORD src1_sel:BYTE_3
	v_cndmask_b32_e32 v8, v32, v8, vcc_lo
	v_and_b32_e32 v6, 0x80000000, v6
	v_and_b32_e32 v9, 7, v9
	v_lshl_add_u32 v8, v8, 23, 0x3b800000
	v_cndmask_b32_e32 v7, v7, v9, vcc_lo
	v_lshlrev_b32_e32 v7, 20, v7
	v_or3_b32 v7, v6, v8, v7
.LBB6_6548:                             ;   in Loop: Header=BB6_4858 Depth=2
	s_or_b32 exec_lo, exec_lo, s29
	v_cmp_gt_i16_sdwa s29, v15, v101 src0_sel:BYTE_3 src1_sel:DWORD
	s_mov_b32 s12, 0
	s_and_saveexec_b32 s40, s29
	s_xor_b32 s29, exec_lo, s40
	s_cbranch_execz .LBB6_7326
; %bb.6549:                             ;   in Loop: Header=BB6_4858 Depth=2
	v_cmp_eq_u16_sdwa s41, v15, v102 src0_sel:BYTE_3 src1_sel:DWORD
	s_mov_b32 s12, -1
	s_and_saveexec_b32 s40, s41
; %bb.6550:                             ;   in Loop: Header=BB6_4858 Depth=2
	s_xor_b32 s12, exec_lo, -1
; %bb.6551:                             ;   in Loop: Header=BB6_4858 Depth=2
	s_or_b32 exec_lo, exec_lo, s40
	s_and_b32 s12, s12, exec_lo
	s_or_saveexec_b32 s29, s29
	v_mov_b32_e32 v6, 0x7f800001
	s_xor_b32 exec_lo, exec_lo, s29
	s_cbranch_execnz .LBB6_7327
.LBB6_6552:                             ;   in Loop: Header=BB6_4858 Depth=2
	s_or_b32 exec_lo, exec_lo, s29
	s_and_saveexec_b32 s29, s12
	s_cbranch_execz .LBB6_6554
.LBB6_6553:                             ;   in Loop: Header=BB6_4858 Depth=2
	v_bfe_u32 v6, v15, 24, 3
	v_bfe_u32 v32, v15, 27, 4
	v_ffbh_u32_e32 v8, v6
	v_cmp_eq_u32_e32 vcc_lo, 0, v32
	v_min_u32_e32 v8, 32, v8
	v_subrev_nc_u32_e32 v9, 28, v8
	v_sub_nc_u32_e32 v8, 29, v8
	v_lshlrev_b32_sdwa v9, v9, v15 dst_sel:DWORD dst_unused:UNUSED_PAD src0_sel:DWORD src1_sel:BYTE_3
	v_cndmask_b32_e32 v8, v32, v8, vcc_lo
	v_and_b32_e32 v9, 7, v9
	v_lshl_add_u32 v8, v8, 23, 0x3b800000
	v_cndmask_b32_e32 v6, v6, v9, vcc_lo
	v_and_b32_e32 v9, 0x80000000, v15
	v_lshlrev_b32_e32 v6, 20, v6
	v_or3_b32 v6, v9, v8, v6
.LBB6_6554:                             ;   in Loop: Header=BB6_4858 Depth=2
	s_or_b32 exec_lo, exec_lo, s29
	v_add_f32_e32 v7, v7, v6
	v_and_b32_e32 v6, 0x7f800000, v7
	v_cmp_ne_u32_e32 vcc_lo, 0x7f800000, v6
	v_mov_b32_e32 v6, 0x8000
	s_and_saveexec_b32 s29, vcc_lo
	s_cbranch_execz .LBB6_6562
; %bb.6555:                             ;   in Loop: Header=BB6_4858 Depth=2
	v_mov_b32_e32 v6, 0
	s_mov_b32 s40, exec_lo
	v_cmpx_ne_u32_e32 0, v7
	s_cbranch_execz .LBB6_6561
; %bb.6556:                             ;   in Loop: Header=BB6_4858 Depth=2
	v_bfe_u32 v8, v7, 23, 8
	v_and_b32_e32 v6, 0x7fffff, v7
	v_cmp_gt_u32_e64 s12, 0x79, v8
	v_sub_nc_u32_e32 v9, 0x78, v8
	v_cmp_eq_u32_e32 vcc_lo, 0, v8
	v_or_b32_e32 v15, 0x800000, v6
	v_cndmask_b32_e64 v9, 0, v9, s12
	v_cndmask_b32_e32 v6, v15, v6, vcc_lo
	v_cndmask_b32_e64 v9, v9, 0x77, vcc_lo
	v_lshl_add_u32 v15, 0x100000, v9, -1
	v_lshlrev_b32_e64 v32, v9, 0x80000
	v_and_b32_e32 v15, v15, v6
	v_cmp_eq_u32_e64 s12, v15, v32
	v_lshrrev_b32_e32 v15, v9, v6
	v_add_nc_u32_e32 v6, 0xffffff89, v8
	v_lshrrev_b32_e32 v8, 23, v15
	v_cndmask_b32_e64 v6, v6, 0xffffff8a, vcc_lo
	v_xor_b32_e32 v8, 1, v8
	v_add_nc_u32_e32 v6, v9, v6
	v_bfe_u32 v9, v15, 20, 1
	v_add_nc_u32_e32 v9, -1, v9
	v_cndmask_b32_e64 v9, 0, v9, s12
	s_mov_b32 s12, exec_lo
	v_add_nc_u32_e32 v9, v9, v15
	v_and_b32_e32 v9, 0xfffff, v9
	v_add_nc_u32_e32 v9, v9, v15
                                        ; implicit-def: $vgpr15
	v_cmpx_ne_u32_e64 v6, v8
	s_xor_b32 s12, exec_lo, s12
; %bb.6557:                             ;   in Loop: Header=BB6_4858 Depth=2
	v_cmp_lt_u32_e32 vcc_lo, 0xffffff, v9
	v_sub_nc_u32_e32 v6, v6, v8
	v_cndmask_b32_e64 v8, 0, 1, vcc_lo
	v_add_co_ci_u32_e64 v15, null, 0, v6, vcc_lo
	v_lshrrev_b32_e32 v9, v8, v9
; %bb.6558:                             ;   in Loop: Header=BB6_4858 Depth=2
	s_andn2_saveexec_b32 s12, s12
; %bb.6559:                             ;   in Loop: Header=BB6_4858 Depth=2
	v_bfe_u32 v15, v9, 23, 1
; %bb.6560:                             ;   in Loop: Header=BB6_4858 Depth=2
	s_or_b32 exec_lo, exec_lo, s12
	v_and_b32_sdwa v6, v7, v102 dst_sel:DWORD dst_unused:UNUSED_PAD src0_sel:BYTE_3 src1_sel:DWORD
	v_lshrrev_b32_e32 v7, 20, v9
	v_min_i32_e32 v8, 15, v15
	v_cmp_gt_i32_e32 vcc_lo, 16, v15
	v_lshlrev_b32_e32 v8, 3, v8
	v_cndmask_b32_e32 v7, 7, v7, vcc_lo
	v_and_b32_e32 v8, 0xf8, v8
	v_or_b32_e32 v9, v15, v7
	v_and_b32_e32 v7, 7, v7
	v_cmp_ne_u32_e32 vcc_lo, 0, v9
	v_or3_b32 v6, v6, v8, v7
	v_lshlrev_b32_e32 v6, 8, v6
	v_cndmask_b32_e32 v6, 0, v6, vcc_lo
.LBB6_6561:                             ;   in Loop: Header=BB6_4858 Depth=2
	s_or_b32 exec_lo, exec_lo, s40
.LBB6_6562:                             ;   in Loop: Header=BB6_4858 Depth=2
	s_or_b32 exec_lo, exec_lo, s29
	v_or_b32_e32 v9, v92, v91
	s_mov_b32 s29, 0
	v_cmp_gt_i16_sdwa s12, v9, v101 src0_sel:BYTE_0 src1_sel:DWORD
	s_and_saveexec_b32 s40, s12
	s_xor_b32 s12, exec_lo, s40
	s_cbranch_execz .LBB6_7328
; %bb.6563:                             ;   in Loop: Header=BB6_4858 Depth=2
	v_cmp_eq_u16_sdwa s41, v9, v102 src0_sel:BYTE_0 src1_sel:DWORD
	s_mov_b32 s29, -1
	s_and_saveexec_b32 s40, s41
; %bb.6564:                             ;   in Loop: Header=BB6_4858 Depth=2
	s_xor_b32 s29, exec_lo, -1
; %bb.6565:                             ;   in Loop: Header=BB6_4858 Depth=2
	s_or_b32 exec_lo, exec_lo, s40
	s_and_b32 s29, s29, exec_lo
	s_or_saveexec_b32 s12, s12
	v_mov_b32_e32 v7, 0x7f800001
	s_xor_b32 exec_lo, exec_lo, s12
	s_cbranch_execnz .LBB6_7329
.LBB6_6566:                             ;   in Loop: Header=BB6_4858 Depth=2
	s_or_b32 exec_lo, exec_lo, s12
	s_and_saveexec_b32 s12, s29
	s_cbranch_execz .LBB6_6568
.LBB6_6567:                             ;   in Loop: Header=BB6_4858 Depth=2
	v_and_b32_e32 v7, 7, v9
	v_bfe_u32 v8, v9, 3, 4
	v_ffbh_u32_e32 v15, v7
	v_cmp_eq_u32_e32 vcc_lo, 0, v8
	v_min_u32_e32 v15, 32, v15
	v_subrev_nc_u32_e32 v32, 28, v15
	v_sub_nc_u32_e32 v15, 29, v15
	v_lshlrev_b32_e32 v32, v32, v9
	v_cndmask_b32_e32 v8, v8, v15, vcc_lo
	v_lshlrev_b32_e32 v15, 24, v9
	v_and_b32_e32 v32, 7, v32
	v_lshl_add_u32 v8, v8, 23, 0x3b800000
	v_and_b32_e32 v15, 0x80000000, v15
	v_cndmask_b32_e32 v7, v7, v32, vcc_lo
	v_lshlrev_b32_e32 v7, 20, v7
	v_or3_b32 v7, v15, v8, v7
.LBB6_6568:                             ;   in Loop: Header=BB6_4858 Depth=2
	s_or_b32 exec_lo, exec_lo, s12
	v_cmp_gt_i16_sdwa s12, v16, v101 src0_sel:BYTE_0 src1_sel:DWORD
	s_mov_b32 s29, 0
	s_and_saveexec_b32 s40, s12
	s_xor_b32 s12, exec_lo, s40
	s_cbranch_execz .LBB6_7330
; %bb.6569:                             ;   in Loop: Header=BB6_4858 Depth=2
	v_cmp_eq_u16_sdwa s41, v16, v102 src0_sel:BYTE_0 src1_sel:DWORD
	s_mov_b32 s29, -1
	s_and_saveexec_b32 s40, s41
; %bb.6570:                             ;   in Loop: Header=BB6_4858 Depth=2
	s_xor_b32 s29, exec_lo, -1
; %bb.6571:                             ;   in Loop: Header=BB6_4858 Depth=2
	s_or_b32 exec_lo, exec_lo, s40
	s_and_b32 s29, s29, exec_lo
	s_or_saveexec_b32 s12, s12
	v_mov_b32_e32 v8, 0x7f800001
	s_xor_b32 exec_lo, exec_lo, s12
	s_cbranch_execnz .LBB6_7331
.LBB6_6572:                             ;   in Loop: Header=BB6_4858 Depth=2
	s_or_b32 exec_lo, exec_lo, s12
	s_and_saveexec_b32 s12, s29
	s_cbranch_execz .LBB6_6574
.LBB6_6573:                             ;   in Loop: Header=BB6_4858 Depth=2
	v_and_b32_e32 v8, 7, v16
	v_bfe_u32 v15, v16, 3, 4
	v_ffbh_u32_e32 v32, v8
	v_cmp_eq_u32_e32 vcc_lo, 0, v15
	v_min_u32_e32 v32, 32, v32
	v_subrev_nc_u32_e32 v33, 28, v32
	v_sub_nc_u32_e32 v32, 29, v32
	v_lshlrev_b32_e32 v33, v33, v16
	v_cndmask_b32_e32 v15, v15, v32, vcc_lo
	v_lshlrev_b32_e32 v32, 24, v16
	v_and_b32_e32 v33, 7, v33
	v_lshl_add_u32 v15, v15, 23, 0x3b800000
	v_and_b32_e32 v32, 0x80000000, v32
	v_cndmask_b32_e32 v8, v8, v33, vcc_lo
	v_lshlrev_b32_e32 v8, 20, v8
	v_or3_b32 v8, v32, v15, v8
.LBB6_6574:                             ;   in Loop: Header=BB6_4858 Depth=2
	s_or_b32 exec_lo, exec_lo, s12
	v_add_f32_e32 v8, v7, v8
	v_and_b32_e32 v7, 0x7f800000, v8
	v_cmp_ne_u32_e32 vcc_lo, 0x7f800000, v7
	v_mov_b32_e32 v7, 0x80
	s_and_saveexec_b32 s29, vcc_lo
	s_cbranch_execz .LBB6_6582
; %bb.6575:                             ;   in Loop: Header=BB6_4858 Depth=2
	v_mov_b32_e32 v7, 0
	s_mov_b32 s40, exec_lo
	v_cmpx_ne_u32_e32 0, v8
	s_cbranch_execz .LBB6_6581
; %bb.6576:                             ;   in Loop: Header=BB6_4858 Depth=2
	v_bfe_u32 v15, v8, 23, 8
	v_and_b32_e32 v7, 0x7fffff, v8
	v_cmp_gt_u32_e64 s12, 0x79, v15
	v_sub_nc_u32_e32 v32, 0x78, v15
	v_cmp_eq_u32_e32 vcc_lo, 0, v15
	v_or_b32_e32 v33, 0x800000, v7
	v_cndmask_b32_e64 v32, 0, v32, s12
	v_cndmask_b32_e32 v7, v33, v7, vcc_lo
	v_cndmask_b32_e64 v32, v32, 0x77, vcc_lo
	v_lshl_add_u32 v33, 0x100000, v32, -1
	v_lshlrev_b32_e64 v35, v32, 0x80000
	v_and_b32_e32 v33, v33, v7
	v_cmp_eq_u32_e64 s12, v33, v35
	v_lshrrev_b32_e32 v33, v32, v7
	v_add_nc_u32_e32 v7, 0xffffff89, v15
	v_lshrrev_b32_e32 v15, 23, v33
	v_cndmask_b32_e64 v7, v7, 0xffffff8a, vcc_lo
	v_xor_b32_e32 v15, 1, v15
	v_add_nc_u32_e32 v7, v32, v7
	v_bfe_u32 v32, v33, 20, 1
	v_add_nc_u32_e32 v32, -1, v32
	v_cndmask_b32_e64 v32, 0, v32, s12
	s_mov_b32 s12, exec_lo
	v_add_nc_u32_e32 v32, v32, v33
	v_and_b32_e32 v32, 0xfffff, v32
	v_add_nc_u32_e32 v32, v32, v33
                                        ; implicit-def: $vgpr33
	v_cmpx_ne_u32_e64 v7, v15
	s_xor_b32 s12, exec_lo, s12
; %bb.6577:                             ;   in Loop: Header=BB6_4858 Depth=2
	v_cmp_lt_u32_e32 vcc_lo, 0xffffff, v32
	v_sub_nc_u32_e32 v7, v7, v15
	v_cndmask_b32_e64 v15, 0, 1, vcc_lo
	v_add_co_ci_u32_e64 v33, null, 0, v7, vcc_lo
	v_lshrrev_b32_e32 v32, v15, v32
; %bb.6578:                             ;   in Loop: Header=BB6_4858 Depth=2
	s_andn2_saveexec_b32 s12, s12
; %bb.6579:                             ;   in Loop: Header=BB6_4858 Depth=2
	v_bfe_u32 v33, v32, 23, 1
; %bb.6580:                             ;   in Loop: Header=BB6_4858 Depth=2
	s_or_b32 exec_lo, exec_lo, s12
	v_and_b32_sdwa v7, v8, v102 dst_sel:DWORD dst_unused:UNUSED_PAD src0_sel:BYTE_3 src1_sel:DWORD
	v_lshrrev_b32_e32 v8, 20, v32
	v_min_i32_e32 v15, 15, v33
	v_cmp_gt_i32_e32 vcc_lo, 16, v33
	v_lshlrev_b32_e32 v15, 3, v15
	v_cndmask_b32_e32 v8, 7, v8, vcc_lo
	v_and_b32_e32 v15, 0xf8, v15
	v_or_b32_e32 v32, v33, v8
	v_and_b32_e32 v8, 7, v8
	v_cmp_ne_u32_e32 vcc_lo, 0, v32
	v_or3_b32 v7, v15, v7, v8
	v_cndmask_b32_e32 v7, 0, v7, vcc_lo
.LBB6_6581:                             ;   in Loop: Header=BB6_4858 Depth=2
	s_or_b32 exec_lo, exec_lo, s40
.LBB6_6582:                             ;   in Loop: Header=BB6_4858 Depth=2
	s_or_b32 exec_lo, exec_lo, s29
	v_cmp_gt_i16_sdwa s29, v9, v101 src0_sel:BYTE_1 src1_sel:DWORD
	s_mov_b32 s12, 0
	s_and_saveexec_b32 s40, s29
	s_xor_b32 s29, exec_lo, s40
	s_cbranch_execz .LBB6_7332
; %bb.6583:                             ;   in Loop: Header=BB6_4858 Depth=2
	v_cmp_eq_u16_sdwa s41, v9, v102 src0_sel:BYTE_1 src1_sel:DWORD
	s_mov_b32 s12, -1
	s_and_saveexec_b32 s40, s41
; %bb.6584:                             ;   in Loop: Header=BB6_4858 Depth=2
	s_xor_b32 s12, exec_lo, -1
; %bb.6585:                             ;   in Loop: Header=BB6_4858 Depth=2
	s_or_b32 exec_lo, exec_lo, s40
	s_and_b32 s12, s12, exec_lo
	s_or_saveexec_b32 s29, s29
	v_mov_b32_e32 v8, 0x7f800001
	s_xor_b32 exec_lo, exec_lo, s29
	s_cbranch_execnz .LBB6_7333
.LBB6_6586:                             ;   in Loop: Header=BB6_4858 Depth=2
	s_or_b32 exec_lo, exec_lo, s29
	s_and_saveexec_b32 s29, s12
	s_cbranch_execz .LBB6_6588
.LBB6_6587:                             ;   in Loop: Header=BB6_4858 Depth=2
	v_and_b32_sdwa v8, v103, v9 dst_sel:DWORD dst_unused:UNUSED_PAD src0_sel:DWORD src1_sel:BYTE_1
	v_and_b32_e32 v15, 7, v8
	v_bfe_u32 v35, v8, 3, 4
	v_ffbh_u32_e32 v32, v15
	v_cmp_eq_u32_e32 vcc_lo, 0, v35
	v_min_u32_e32 v32, 32, v32
	v_subrev_nc_u32_e32 v33, 28, v32
	v_sub_nc_u32_e32 v32, 29, v32
	v_lshlrev_b32_e32 v8, v33, v8
	v_lshlrev_b32_sdwa v33, v112, v9 dst_sel:DWORD dst_unused:UNUSED_PAD src0_sel:DWORD src1_sel:BYTE_1
	v_cndmask_b32_e32 v32, v35, v32, vcc_lo
	v_and_b32_e32 v8, 7, v8
	v_lshl_add_u32 v32, v32, 23, 0x3b800000
	v_cndmask_b32_e32 v8, v15, v8, vcc_lo
	v_and_b32_e32 v15, 0x80000000, v33
	v_lshlrev_b32_e32 v8, 20, v8
	v_or3_b32 v8, v15, v32, v8
.LBB6_6588:                             ;   in Loop: Header=BB6_4858 Depth=2
	s_or_b32 exec_lo, exec_lo, s29
	v_cmp_gt_i16_sdwa s29, v16, v101 src0_sel:BYTE_1 src1_sel:DWORD
	s_mov_b32 s12, 0
	s_and_saveexec_b32 s40, s29
	s_xor_b32 s29, exec_lo, s40
	s_cbranch_execz .LBB6_7334
; %bb.6589:                             ;   in Loop: Header=BB6_4858 Depth=2
	v_cmp_eq_u16_sdwa s41, v16, v102 src0_sel:BYTE_1 src1_sel:DWORD
	s_mov_b32 s12, -1
	s_and_saveexec_b32 s40, s41
; %bb.6590:                             ;   in Loop: Header=BB6_4858 Depth=2
	s_xor_b32 s12, exec_lo, -1
; %bb.6591:                             ;   in Loop: Header=BB6_4858 Depth=2
	s_or_b32 exec_lo, exec_lo, s40
	s_and_b32 s12, s12, exec_lo
	s_or_saveexec_b32 s29, s29
	v_mov_b32_e32 v15, 0x7f800001
	s_xor_b32 exec_lo, exec_lo, s29
	s_cbranch_execnz .LBB6_7335
.LBB6_6592:                             ;   in Loop: Header=BB6_4858 Depth=2
	s_or_b32 exec_lo, exec_lo, s29
	s_and_saveexec_b32 s29, s12
	s_cbranch_execz .LBB6_6594
.LBB6_6593:                             ;   in Loop: Header=BB6_4858 Depth=2
	v_and_b32_sdwa v15, v103, v16 dst_sel:DWORD dst_unused:UNUSED_PAD src0_sel:DWORD src1_sel:BYTE_1
	v_and_b32_e32 v32, 7, v15
	v_bfe_u32 v36, v15, 3, 4
	v_ffbh_u32_e32 v33, v32
	v_cmp_eq_u32_e32 vcc_lo, 0, v36
	v_min_u32_e32 v33, 32, v33
	v_subrev_nc_u32_e32 v35, 28, v33
	v_sub_nc_u32_e32 v33, 29, v33
	v_lshlrev_b32_e32 v15, v35, v15
	v_lshlrev_b32_sdwa v35, v112, v16 dst_sel:DWORD dst_unused:UNUSED_PAD src0_sel:DWORD src1_sel:BYTE_1
	v_cndmask_b32_e32 v33, v36, v33, vcc_lo
	v_and_b32_e32 v15, 7, v15
	v_lshl_add_u32 v33, v33, 23, 0x3b800000
	v_cndmask_b32_e32 v15, v32, v15, vcc_lo
	v_and_b32_e32 v32, 0x80000000, v35
	v_lshlrev_b32_e32 v15, 20, v15
	v_or3_b32 v15, v32, v33, v15
.LBB6_6594:                             ;   in Loop: Header=BB6_4858 Depth=2
	s_or_b32 exec_lo, exec_lo, s29
	v_add_f32_e32 v15, v8, v15
	v_and_b32_e32 v8, 0x7f800000, v15
	v_cmp_ne_u32_e32 vcc_lo, 0x7f800000, v8
	v_mov_b32_e32 v8, 0x8000
	s_and_saveexec_b32 s29, vcc_lo
	s_cbranch_execz .LBB6_6602
; %bb.6595:                             ;   in Loop: Header=BB6_4858 Depth=2
	v_mov_b32_e32 v8, 0
	s_mov_b32 s40, exec_lo
	v_cmpx_ne_u32_e32 0, v15
	s_cbranch_execz .LBB6_6601
; %bb.6596:                             ;   in Loop: Header=BB6_4858 Depth=2
	v_bfe_u32 v32, v15, 23, 8
	v_and_b32_e32 v8, 0x7fffff, v15
	v_cmp_gt_u32_e64 s12, 0x79, v32
	v_sub_nc_u32_e32 v33, 0x78, v32
	v_cmp_eq_u32_e32 vcc_lo, 0, v32
	v_or_b32_e32 v35, 0x800000, v8
	v_cndmask_b32_e64 v33, 0, v33, s12
	v_cndmask_b32_e32 v8, v35, v8, vcc_lo
	v_cndmask_b32_e64 v33, v33, 0x77, vcc_lo
	v_lshl_add_u32 v35, 0x100000, v33, -1
	v_lshlrev_b32_e64 v36, v33, 0x80000
	v_and_b32_e32 v35, v35, v8
	v_cmp_eq_u32_e64 s12, v35, v36
	v_lshrrev_b32_e32 v35, v33, v8
	v_add_nc_u32_e32 v8, 0xffffff89, v32
	v_lshrrev_b32_e32 v32, 23, v35
	v_cndmask_b32_e64 v8, v8, 0xffffff8a, vcc_lo
	v_xor_b32_e32 v32, 1, v32
	v_add_nc_u32_e32 v8, v33, v8
	v_bfe_u32 v33, v35, 20, 1
	v_add_nc_u32_e32 v33, -1, v33
	v_cndmask_b32_e64 v33, 0, v33, s12
	s_mov_b32 s12, exec_lo
	v_add_nc_u32_e32 v33, v33, v35
	v_and_b32_e32 v33, 0xfffff, v33
	v_add_nc_u32_e32 v33, v33, v35
                                        ; implicit-def: $vgpr35
	v_cmpx_ne_u32_e64 v8, v32
	s_xor_b32 s12, exec_lo, s12
; %bb.6597:                             ;   in Loop: Header=BB6_4858 Depth=2
	v_cmp_lt_u32_e32 vcc_lo, 0xffffff, v33
	v_sub_nc_u32_e32 v8, v8, v32
	v_cndmask_b32_e64 v32, 0, 1, vcc_lo
	v_add_co_ci_u32_e64 v35, null, 0, v8, vcc_lo
	v_lshrrev_b32_e32 v33, v32, v33
; %bb.6598:                             ;   in Loop: Header=BB6_4858 Depth=2
	s_andn2_saveexec_b32 s12, s12
; %bb.6599:                             ;   in Loop: Header=BB6_4858 Depth=2
	v_bfe_u32 v35, v33, 23, 1
; %bb.6600:                             ;   in Loop: Header=BB6_4858 Depth=2
	s_or_b32 exec_lo, exec_lo, s12
	v_and_b32_sdwa v8, v15, v102 dst_sel:DWORD dst_unused:UNUSED_PAD src0_sel:BYTE_3 src1_sel:DWORD
	v_lshrrev_b32_e32 v15, 20, v33
	v_min_i32_e32 v32, 15, v35
	v_cmp_gt_i32_e32 vcc_lo, 16, v35
	v_lshlrev_b32_e32 v32, 3, v32
	v_cndmask_b32_e32 v15, 7, v15, vcc_lo
	v_and_b32_e32 v32, 0xf8, v32
	v_or_b32_e32 v33, v35, v15
	v_and_b32_e32 v15, 7, v15
	v_cmp_ne_u32_e32 vcc_lo, 0, v33
	v_or3_b32 v8, v8, v32, v15
	v_lshlrev_b32_e32 v8, 8, v8
	v_cndmask_b32_e32 v8, 0, v8, vcc_lo
.LBB6_6601:                             ;   in Loop: Header=BB6_4858 Depth=2
	s_or_b32 exec_lo, exec_lo, s40
.LBB6_6602:                             ;   in Loop: Header=BB6_4858 Depth=2
	s_or_b32 exec_lo, exec_lo, s29
	v_or_b32_e32 v15, v89, v88
	s_mov_b32 s29, 0
	v_cmp_gt_i16_sdwa s12, v15, v101 src0_sel:BYTE_0 src1_sel:DWORD
	s_and_saveexec_b32 s40, s12
	s_xor_b32 s12, exec_lo, s40
	s_cbranch_execz .LBB6_7336
; %bb.6603:                             ;   in Loop: Header=BB6_4858 Depth=2
	v_cmp_eq_u16_sdwa s41, v15, v102 src0_sel:BYTE_0 src1_sel:DWORD
	s_mov_b32 s29, -1
	s_and_saveexec_b32 s40, s41
; %bb.6604:                             ;   in Loop: Header=BB6_4858 Depth=2
	s_xor_b32 s29, exec_lo, -1
; %bb.6605:                             ;   in Loop: Header=BB6_4858 Depth=2
	s_or_b32 exec_lo, exec_lo, s40
	s_and_b32 s29, s29, exec_lo
	s_or_saveexec_b32 s12, s12
	v_mov_b32_e32 v32, 0x7f800001
	s_xor_b32 exec_lo, exec_lo, s12
	s_cbranch_execnz .LBB6_7337
.LBB6_6606:                             ;   in Loop: Header=BB6_4858 Depth=2
	s_or_b32 exec_lo, exec_lo, s12
	v_lshl_or_b32 v15, v15, 16, v9
	s_and_saveexec_b32 s12, s29
	s_cbranch_execz .LBB6_6608
.LBB6_6607:                             ;   in Loop: Header=BB6_4858 Depth=2
	v_bfe_u32 v9, v15, 16, 3
	v_bfe_u32 v32, v15, 19, 4
	v_ffbh_u32_e32 v33, v9
	v_cmp_eq_u32_e32 vcc_lo, 0, v32
	v_min_u32_e32 v33, 32, v33
	v_subrev_nc_u32_e32 v35, 28, v33
	v_sub_nc_u32_e32 v33, 29, v33
	v_lshlrev_b32_sdwa v35, v35, v15 dst_sel:DWORD dst_unused:UNUSED_PAD src0_sel:DWORD src1_sel:WORD_1
	v_cndmask_b32_e32 v32, v32, v33, vcc_lo
	v_lshlrev_b32_e32 v33, 8, v15
	v_and_b32_e32 v35, 7, v35
	v_lshl_add_u32 v32, v32, 23, 0x3b800000
	v_and_b32_e32 v33, 0x80000000, v33
	v_cndmask_b32_e32 v9, v9, v35, vcc_lo
	v_lshlrev_b32_e32 v9, 20, v9
	v_or3_b32 v32, v33, v32, v9
.LBB6_6608:                             ;   in Loop: Header=BB6_4858 Depth=2
	s_or_b32 exec_lo, exec_lo, s12
	v_and_b32_sdwa v33, v16, v113 dst_sel:DWORD dst_unused:UNUSED_PAD src0_sel:WORD_1 src1_sel:DWORD
	s_mov_b32 s29, 0
	s_mov_b32 s12, exec_lo
	v_cmpx_lt_i16_e32 0x7f, v33
	s_xor_b32 s12, exec_lo, s12
	s_cbranch_execz .LBB6_7338
; %bb.6609:                             ;   in Loop: Header=BB6_4858 Depth=2
	s_mov_b32 s29, -1
	s_mov_b32 s40, exec_lo
	v_cmpx_eq_u16_e32 0x80, v33
; %bb.6610:                             ;   in Loop: Header=BB6_4858 Depth=2
	s_xor_b32 s29, exec_lo, -1
; %bb.6611:                             ;   in Loop: Header=BB6_4858 Depth=2
	s_or_b32 exec_lo, exec_lo, s40
	s_and_b32 s29, s29, exec_lo
                                        ; implicit-def: $vgpr33
	s_or_saveexec_b32 s12, s12
	v_mov_b32_e32 v9, 0x7f800001
	s_xor_b32 exec_lo, exec_lo, s12
	s_cbranch_execnz .LBB6_7339
.LBB6_6612:                             ;   in Loop: Header=BB6_4858 Depth=2
	s_or_b32 exec_lo, exec_lo, s12
	s_and_saveexec_b32 s12, s29
	s_cbranch_execz .LBB6_6614
.LBB6_6613:                             ;   in Loop: Header=BB6_4858 Depth=2
	v_bfe_u32 v9, v16, 16, 3
	v_bfe_u32 v33, v16, 19, 4
	v_ffbh_u32_e32 v35, v9
	v_cmp_eq_u32_e32 vcc_lo, 0, v33
	v_min_u32_e32 v35, 32, v35
	v_subrev_nc_u32_e32 v36, 28, v35
	v_sub_nc_u32_e32 v35, 29, v35
	v_lshlrev_b32_sdwa v36, v36, v16 dst_sel:DWORD dst_unused:UNUSED_PAD src0_sel:DWORD src1_sel:WORD_1
	v_cndmask_b32_e32 v33, v33, v35, vcc_lo
	v_lshlrev_b32_e32 v35, 8, v16
	v_and_b32_e32 v36, 7, v36
	v_lshl_add_u32 v33, v33, 23, 0x3b800000
	v_and_b32_e32 v35, 0x80000000, v35
	v_cndmask_b32_e32 v9, v9, v36, vcc_lo
	v_lshlrev_b32_e32 v9, 20, v9
	v_or3_b32 v9, v35, v33, v9
.LBB6_6614:                             ;   in Loop: Header=BB6_4858 Depth=2
	s_or_b32 exec_lo, exec_lo, s12
	v_add_f32_e32 v32, v32, v9
	v_and_b32_e32 v9, 0x7f800000, v32
	v_cmp_ne_u32_e32 vcc_lo, 0x7f800000, v9
	v_mov_b32_e32 v9, 0x80
	s_and_saveexec_b32 s29, vcc_lo
	s_cbranch_execz .LBB6_6622
; %bb.6615:                             ;   in Loop: Header=BB6_4858 Depth=2
	v_mov_b32_e32 v9, 0
	s_mov_b32 s40, exec_lo
	v_cmpx_ne_u32_e32 0, v32
	s_cbranch_execz .LBB6_6621
; %bb.6616:                             ;   in Loop: Header=BB6_4858 Depth=2
	v_bfe_u32 v33, v32, 23, 8
	v_and_b32_e32 v9, 0x7fffff, v32
	v_cmp_gt_u32_e64 s12, 0x79, v33
	v_sub_nc_u32_e32 v35, 0x78, v33
	v_cmp_eq_u32_e32 vcc_lo, 0, v33
	v_or_b32_e32 v36, 0x800000, v9
	v_cndmask_b32_e64 v35, 0, v35, s12
	v_cndmask_b32_e32 v9, v36, v9, vcc_lo
	v_cndmask_b32_e64 v35, v35, 0x77, vcc_lo
	v_lshl_add_u32 v36, 0x100000, v35, -1
	v_lshlrev_b32_e64 v37, v35, 0x80000
	v_and_b32_e32 v36, v36, v9
	v_cmp_eq_u32_e64 s12, v36, v37
	v_lshrrev_b32_e32 v36, v35, v9
	v_add_nc_u32_e32 v9, 0xffffff89, v33
	v_lshrrev_b32_e32 v33, 23, v36
	v_cndmask_b32_e64 v9, v9, 0xffffff8a, vcc_lo
	v_xor_b32_e32 v33, 1, v33
	v_add_nc_u32_e32 v9, v35, v9
	v_bfe_u32 v35, v36, 20, 1
	v_add_nc_u32_e32 v35, -1, v35
	v_cndmask_b32_e64 v35, 0, v35, s12
	s_mov_b32 s12, exec_lo
	v_add_nc_u32_e32 v35, v35, v36
	v_and_b32_e32 v35, 0xfffff, v35
	v_add_nc_u32_e32 v35, v35, v36
                                        ; implicit-def: $vgpr36
	v_cmpx_ne_u32_e64 v9, v33
	s_xor_b32 s12, exec_lo, s12
; %bb.6617:                             ;   in Loop: Header=BB6_4858 Depth=2
	v_cmp_lt_u32_e32 vcc_lo, 0xffffff, v35
	v_sub_nc_u32_e32 v9, v9, v33
	v_cndmask_b32_e64 v33, 0, 1, vcc_lo
	v_add_co_ci_u32_e64 v36, null, 0, v9, vcc_lo
	v_lshrrev_b32_e32 v35, v33, v35
; %bb.6618:                             ;   in Loop: Header=BB6_4858 Depth=2
	s_andn2_saveexec_b32 s12, s12
; %bb.6619:                             ;   in Loop: Header=BB6_4858 Depth=2
	v_bfe_u32 v36, v35, 23, 1
; %bb.6620:                             ;   in Loop: Header=BB6_4858 Depth=2
	s_or_b32 exec_lo, exec_lo, s12
	v_and_b32_sdwa v9, v32, v102 dst_sel:DWORD dst_unused:UNUSED_PAD src0_sel:BYTE_3 src1_sel:DWORD
	v_lshrrev_b32_e32 v32, 20, v35
	v_min_i32_e32 v33, 15, v36
	v_cmp_gt_i32_e32 vcc_lo, 16, v36
	v_lshlrev_b32_e32 v33, 3, v33
	v_cndmask_b32_e32 v32, 7, v32, vcc_lo
	v_and_b32_e32 v33, 0xf8, v33
	v_or_b32_e32 v35, v36, v32
	v_and_b32_e32 v32, 7, v32
	v_cmp_ne_u32_e32 vcc_lo, 0, v35
	v_or3_b32 v9, v33, v9, v32
	v_cndmask_b32_e32 v9, 0, v9, vcc_lo
.LBB6_6621:                             ;   in Loop: Header=BB6_4858 Depth=2
	s_or_b32 exec_lo, exec_lo, s40
.LBB6_6622:                             ;   in Loop: Header=BB6_4858 Depth=2
	s_or_b32 exec_lo, exec_lo, s29
	v_cmp_gt_i16_sdwa s29, v15, v101 src0_sel:BYTE_3 src1_sel:DWORD
	s_mov_b32 s12, 0
	s_and_saveexec_b32 s40, s29
	s_xor_b32 s29, exec_lo, s40
	s_cbranch_execz .LBB6_7340
; %bb.6623:                             ;   in Loop: Header=BB6_4858 Depth=2
	v_cmp_eq_u16_sdwa s41, v15, v102 src0_sel:BYTE_3 src1_sel:DWORD
	s_mov_b32 s12, -1
	s_and_saveexec_b32 s40, s41
; %bb.6624:                             ;   in Loop: Header=BB6_4858 Depth=2
	s_xor_b32 s12, exec_lo, -1
; %bb.6625:                             ;   in Loop: Header=BB6_4858 Depth=2
	s_or_b32 exec_lo, exec_lo, s40
	s_and_b32 s12, s12, exec_lo
	s_or_saveexec_b32 s29, s29
	v_mov_b32_e32 v32, 0x7f800001
	s_xor_b32 exec_lo, exec_lo, s29
	s_cbranch_execnz .LBB6_7341
.LBB6_6626:                             ;   in Loop: Header=BB6_4858 Depth=2
	s_or_b32 exec_lo, exec_lo, s29
	s_and_saveexec_b32 s29, s12
	s_cbranch_execz .LBB6_6628
.LBB6_6627:                             ;   in Loop: Header=BB6_4858 Depth=2
	v_bfe_u32 v32, v15, 24, 3
	v_bfe_u32 v36, v15, 27, 4
	v_ffbh_u32_e32 v33, v32
	v_cmp_eq_u32_e32 vcc_lo, 0, v36
	v_min_u32_e32 v33, 32, v33
	v_subrev_nc_u32_e32 v35, 28, v33
	v_sub_nc_u32_e32 v33, 29, v33
	v_lshlrev_b32_sdwa v35, v35, v15 dst_sel:DWORD dst_unused:UNUSED_PAD src0_sel:DWORD src1_sel:BYTE_3
	v_cndmask_b32_e32 v33, v36, v33, vcc_lo
	v_and_b32_e32 v15, 0x80000000, v15
	v_and_b32_e32 v35, 7, v35
	v_lshl_add_u32 v33, v33, 23, 0x3b800000
	v_cndmask_b32_e32 v32, v32, v35, vcc_lo
	v_lshlrev_b32_e32 v32, 20, v32
	v_or3_b32 v32, v15, v33, v32
.LBB6_6628:                             ;   in Loop: Header=BB6_4858 Depth=2
	s_or_b32 exec_lo, exec_lo, s29
	v_cmp_gt_i16_sdwa s29, v16, v101 src0_sel:BYTE_3 src1_sel:DWORD
	s_mov_b32 s12, 0
	s_and_saveexec_b32 s40, s29
	s_xor_b32 s29, exec_lo, s40
	s_cbranch_execz .LBB6_7342
; %bb.6629:                             ;   in Loop: Header=BB6_4858 Depth=2
	v_cmp_eq_u16_sdwa s41, v16, v102 src0_sel:BYTE_3 src1_sel:DWORD
	s_mov_b32 s12, -1
	s_and_saveexec_b32 s40, s41
; %bb.6630:                             ;   in Loop: Header=BB6_4858 Depth=2
	s_xor_b32 s12, exec_lo, -1
; %bb.6631:                             ;   in Loop: Header=BB6_4858 Depth=2
	s_or_b32 exec_lo, exec_lo, s40
	s_and_b32 s12, s12, exec_lo
	s_or_saveexec_b32 s29, s29
	v_mov_b32_e32 v15, 0x7f800001
	s_xor_b32 exec_lo, exec_lo, s29
	s_cbranch_execnz .LBB6_7343
.LBB6_6632:                             ;   in Loop: Header=BB6_4858 Depth=2
	s_or_b32 exec_lo, exec_lo, s29
	s_and_saveexec_b32 s29, s12
	s_cbranch_execz .LBB6_6634
.LBB6_6633:                             ;   in Loop: Header=BB6_4858 Depth=2
	v_bfe_u32 v15, v16, 24, 3
	v_bfe_u32 v36, v16, 27, 4
	v_ffbh_u32_e32 v33, v15
	v_cmp_eq_u32_e32 vcc_lo, 0, v36
	v_min_u32_e32 v33, 32, v33
	v_subrev_nc_u32_e32 v35, 28, v33
	v_sub_nc_u32_e32 v33, 29, v33
	v_lshlrev_b32_sdwa v35, v35, v16 dst_sel:DWORD dst_unused:UNUSED_PAD src0_sel:DWORD src1_sel:BYTE_3
	v_cndmask_b32_e32 v33, v36, v33, vcc_lo
	v_and_b32_e32 v16, 0x80000000, v16
	v_and_b32_e32 v35, 7, v35
	v_lshl_add_u32 v33, v33, 23, 0x3b800000
	v_cndmask_b32_e32 v15, v15, v35, vcc_lo
	v_lshlrev_b32_e32 v15, 20, v15
	v_or3_b32 v15, v16, v33, v15
.LBB6_6634:                             ;   in Loop: Header=BB6_4858 Depth=2
	s_or_b32 exec_lo, exec_lo, s29
	v_add_f32_e32 v16, v32, v15
	v_and_b32_e32 v15, 0x7f800000, v16
	v_cmp_ne_u32_e32 vcc_lo, 0x7f800000, v15
	v_mov_b32_e32 v15, 0x8000
	s_and_saveexec_b32 s29, vcc_lo
	s_cbranch_execz .LBB6_6642
; %bb.6635:                             ;   in Loop: Header=BB6_4858 Depth=2
	v_mov_b32_e32 v15, 0
	s_mov_b32 s40, exec_lo
	v_cmpx_ne_u32_e32 0, v16
	s_cbranch_execz .LBB6_6641
; %bb.6636:                             ;   in Loop: Header=BB6_4858 Depth=2
	v_bfe_u32 v32, v16, 23, 8
	v_and_b32_e32 v15, 0x7fffff, v16
	v_cmp_gt_u32_e64 s12, 0x79, v32
	v_sub_nc_u32_e32 v33, 0x78, v32
	v_cmp_eq_u32_e32 vcc_lo, 0, v32
	v_or_b32_e32 v35, 0x800000, v15
	v_cndmask_b32_e64 v33, 0, v33, s12
	v_cndmask_b32_e32 v15, v35, v15, vcc_lo
	v_cndmask_b32_e64 v33, v33, 0x77, vcc_lo
	v_lshl_add_u32 v35, 0x100000, v33, -1
	v_lshlrev_b32_e64 v36, v33, 0x80000
	v_and_b32_e32 v35, v35, v15
	v_cmp_eq_u32_e64 s12, v35, v36
	v_lshrrev_b32_e32 v35, v33, v15
	v_add_nc_u32_e32 v15, 0xffffff89, v32
	v_lshrrev_b32_e32 v32, 23, v35
	v_cndmask_b32_e64 v15, v15, 0xffffff8a, vcc_lo
	v_xor_b32_e32 v32, 1, v32
	v_add_nc_u32_e32 v15, v33, v15
	v_bfe_u32 v33, v35, 20, 1
	v_add_nc_u32_e32 v33, -1, v33
	v_cndmask_b32_e64 v33, 0, v33, s12
	s_mov_b32 s12, exec_lo
	v_add_nc_u32_e32 v33, v33, v35
	v_and_b32_e32 v33, 0xfffff, v33
	v_add_nc_u32_e32 v33, v33, v35
                                        ; implicit-def: $vgpr35
	v_cmpx_ne_u32_e64 v15, v32
	s_xor_b32 s12, exec_lo, s12
; %bb.6637:                             ;   in Loop: Header=BB6_4858 Depth=2
	v_cmp_lt_u32_e32 vcc_lo, 0xffffff, v33
	v_sub_nc_u32_e32 v15, v15, v32
	v_cndmask_b32_e64 v32, 0, 1, vcc_lo
	v_add_co_ci_u32_e64 v35, null, 0, v15, vcc_lo
	v_lshrrev_b32_e32 v33, v32, v33
; %bb.6638:                             ;   in Loop: Header=BB6_4858 Depth=2
	s_andn2_saveexec_b32 s12, s12
; %bb.6639:                             ;   in Loop: Header=BB6_4858 Depth=2
	v_bfe_u32 v35, v33, 23, 1
; %bb.6640:                             ;   in Loop: Header=BB6_4858 Depth=2
	s_or_b32 exec_lo, exec_lo, s12
	v_and_b32_sdwa v15, v16, v102 dst_sel:DWORD dst_unused:UNUSED_PAD src0_sel:BYTE_3 src1_sel:DWORD
	v_lshrrev_b32_e32 v16, 20, v33
	v_min_i32_e32 v32, 15, v35
	v_cmp_gt_i32_e32 vcc_lo, 16, v35
	v_lshlrev_b32_e32 v32, 3, v32
	v_cndmask_b32_e32 v16, 7, v16, vcc_lo
	v_and_b32_e32 v32, 0xf8, v32
	v_or_b32_e32 v33, v35, v16
	v_and_b32_e32 v16, 7, v16
	v_cmp_ne_u32_e32 vcc_lo, 0, v33
	v_or3_b32 v15, v15, v32, v16
	v_lshlrev_b32_e32 v15, 8, v15
	v_cndmask_b32_e32 v15, 0, v15, vcc_lo
.LBB6_6641:                             ;   in Loop: Header=BB6_4858 Depth=2
	s_or_b32 exec_lo, exec_lo, s40
.LBB6_6642:                             ;   in Loop: Header=BB6_4858 Depth=2
	s_or_b32 exec_lo, exec_lo, s29
	v_or_b32_e32 v33, v78, v77
	s_mov_b32 s29, 0
	v_cmp_gt_i16_sdwa s12, v33, v101 src0_sel:BYTE_0 src1_sel:DWORD
	s_and_saveexec_b32 s40, s12
	s_xor_b32 s12, exec_lo, s40
	s_cbranch_execz .LBB6_7344
; %bb.6643:                             ;   in Loop: Header=BB6_4858 Depth=2
	v_cmp_eq_u16_sdwa s41, v33, v102 src0_sel:BYTE_0 src1_sel:DWORD
	s_mov_b32 s29, -1
	s_and_saveexec_b32 s40, s41
; %bb.6644:                             ;   in Loop: Header=BB6_4858 Depth=2
	s_xor_b32 s29, exec_lo, -1
; %bb.6645:                             ;   in Loop: Header=BB6_4858 Depth=2
	s_or_b32 exec_lo, exec_lo, s40
	s_and_b32 s29, s29, exec_lo
	s_or_saveexec_b32 s12, s12
	v_mov_b32_e32 v16, 0x7f800001
	s_xor_b32 exec_lo, exec_lo, s12
	s_cbranch_execnz .LBB6_7345
.LBB6_6646:                             ;   in Loop: Header=BB6_4858 Depth=2
	s_or_b32 exec_lo, exec_lo, s12
	s_and_saveexec_b32 s12, s29
	s_cbranch_execz .LBB6_6648
.LBB6_6647:                             ;   in Loop: Header=BB6_4858 Depth=2
	v_and_b32_e32 v16, 7, v33
	v_bfe_u32 v32, v33, 3, 4
	v_ffbh_u32_e32 v35, v16
	v_cmp_eq_u32_e32 vcc_lo, 0, v32
	v_min_u32_e32 v35, 32, v35
	v_subrev_nc_u32_e32 v36, 28, v35
	v_sub_nc_u32_e32 v35, 29, v35
	v_lshlrev_b32_e32 v36, v36, v33
	v_cndmask_b32_e32 v32, v32, v35, vcc_lo
	v_lshlrev_b32_e32 v35, 24, v33
	v_and_b32_e32 v36, 7, v36
	v_lshl_add_u32 v32, v32, 23, 0x3b800000
	v_and_b32_e32 v35, 0x80000000, v35
	v_cndmask_b32_e32 v16, v16, v36, vcc_lo
	v_lshlrev_b32_e32 v16, 20, v16
	v_or3_b32 v16, v35, v32, v16
.LBB6_6648:                             ;   in Loop: Header=BB6_4858 Depth=2
	s_or_b32 exec_lo, exec_lo, s12
	v_cmp_gt_i16_sdwa s12, v17, v101 src0_sel:BYTE_0 src1_sel:DWORD
	s_mov_b32 s29, 0
	s_and_saveexec_b32 s40, s12
	s_xor_b32 s12, exec_lo, s40
	s_cbranch_execz .LBB6_7346
; %bb.6649:                             ;   in Loop: Header=BB6_4858 Depth=2
	v_cmp_eq_u16_sdwa s41, v17, v102 src0_sel:BYTE_0 src1_sel:DWORD
	s_mov_b32 s29, -1
	s_and_saveexec_b32 s40, s41
; %bb.6650:                             ;   in Loop: Header=BB6_4858 Depth=2
	s_xor_b32 s29, exec_lo, -1
; %bb.6651:                             ;   in Loop: Header=BB6_4858 Depth=2
	s_or_b32 exec_lo, exec_lo, s40
	s_and_b32 s29, s29, exec_lo
	s_or_saveexec_b32 s12, s12
	v_mov_b32_e32 v32, 0x7f800001
	s_xor_b32 exec_lo, exec_lo, s12
	s_cbranch_execnz .LBB6_7347
.LBB6_6652:                             ;   in Loop: Header=BB6_4858 Depth=2
	s_or_b32 exec_lo, exec_lo, s12
	s_and_saveexec_b32 s12, s29
	s_cbranch_execz .LBB6_6654
.LBB6_6653:                             ;   in Loop: Header=BB6_4858 Depth=2
	v_and_b32_e32 v32, 7, v17
	v_bfe_u32 v35, v17, 3, 4
	v_ffbh_u32_e32 v36, v32
	v_cmp_eq_u32_e32 vcc_lo, 0, v35
	v_min_u32_e32 v36, 32, v36
	v_subrev_nc_u32_e32 v37, 28, v36
	v_sub_nc_u32_e32 v36, 29, v36
	v_lshlrev_b32_e32 v37, v37, v17
	v_cndmask_b32_e32 v35, v35, v36, vcc_lo
	v_lshlrev_b32_e32 v36, 24, v17
	v_and_b32_e32 v37, 7, v37
	v_lshl_add_u32 v35, v35, 23, 0x3b800000
	v_and_b32_e32 v36, 0x80000000, v36
	v_cndmask_b32_e32 v32, v32, v37, vcc_lo
	v_lshlrev_b32_e32 v32, 20, v32
	v_or3_b32 v32, v36, v35, v32
.LBB6_6654:                             ;   in Loop: Header=BB6_4858 Depth=2
	s_or_b32 exec_lo, exec_lo, s12
	v_add_f32_e32 v32, v16, v32
	v_and_b32_e32 v16, 0x7f800000, v32
	v_cmp_ne_u32_e32 vcc_lo, 0x7f800000, v16
	v_mov_b32_e32 v16, 0x80
	s_and_saveexec_b32 s29, vcc_lo
	s_cbranch_execz .LBB6_6662
; %bb.6655:                             ;   in Loop: Header=BB6_4858 Depth=2
	v_mov_b32_e32 v16, 0
	s_mov_b32 s40, exec_lo
	v_cmpx_ne_u32_e32 0, v32
	s_cbranch_execz .LBB6_6661
; %bb.6656:                             ;   in Loop: Header=BB6_4858 Depth=2
	v_bfe_u32 v35, v32, 23, 8
	v_and_b32_e32 v16, 0x7fffff, v32
	v_cmp_gt_u32_e64 s12, 0x79, v35
	v_sub_nc_u32_e32 v36, 0x78, v35
	v_cmp_eq_u32_e32 vcc_lo, 0, v35
	v_or_b32_e32 v37, 0x800000, v16
	v_cndmask_b32_e64 v36, 0, v36, s12
	v_cndmask_b32_e32 v16, v37, v16, vcc_lo
	v_cndmask_b32_e64 v36, v36, 0x77, vcc_lo
	v_lshl_add_u32 v37, 0x100000, v36, -1
	v_lshlrev_b32_e64 v48, v36, 0x80000
	v_and_b32_e32 v37, v37, v16
	v_cmp_eq_u32_e64 s12, v37, v48
	v_lshrrev_b32_e32 v37, v36, v16
	v_add_nc_u32_e32 v16, 0xffffff89, v35
	v_lshrrev_b32_e32 v35, 23, v37
	v_cndmask_b32_e64 v16, v16, 0xffffff8a, vcc_lo
	v_xor_b32_e32 v35, 1, v35
	v_add_nc_u32_e32 v16, v36, v16
	v_bfe_u32 v36, v37, 20, 1
	v_add_nc_u32_e32 v36, -1, v36
	v_cndmask_b32_e64 v36, 0, v36, s12
	s_mov_b32 s12, exec_lo
	v_add_nc_u32_e32 v36, v36, v37
	v_and_b32_e32 v36, 0xfffff, v36
	v_add_nc_u32_e32 v36, v36, v37
                                        ; implicit-def: $vgpr37
	v_cmpx_ne_u32_e64 v16, v35
	s_xor_b32 s12, exec_lo, s12
; %bb.6657:                             ;   in Loop: Header=BB6_4858 Depth=2
	v_cmp_lt_u32_e32 vcc_lo, 0xffffff, v36
	v_sub_nc_u32_e32 v16, v16, v35
	v_cndmask_b32_e64 v35, 0, 1, vcc_lo
	v_add_co_ci_u32_e64 v37, null, 0, v16, vcc_lo
	v_lshrrev_b32_e32 v36, v35, v36
; %bb.6658:                             ;   in Loop: Header=BB6_4858 Depth=2
	s_andn2_saveexec_b32 s12, s12
; %bb.6659:                             ;   in Loop: Header=BB6_4858 Depth=2
	v_bfe_u32 v37, v36, 23, 1
; %bb.6660:                             ;   in Loop: Header=BB6_4858 Depth=2
	s_or_b32 exec_lo, exec_lo, s12
	v_and_b32_sdwa v16, v32, v102 dst_sel:DWORD dst_unused:UNUSED_PAD src0_sel:BYTE_3 src1_sel:DWORD
	v_lshrrev_b32_e32 v32, 20, v36
	v_min_i32_e32 v35, 15, v37
	v_cmp_gt_i32_e32 vcc_lo, 16, v37
	v_lshlrev_b32_e32 v35, 3, v35
	v_cndmask_b32_e32 v32, 7, v32, vcc_lo
	v_and_b32_e32 v35, 0xf8, v35
	v_or_b32_e32 v36, v37, v32
	v_and_b32_e32 v32, 7, v32
	v_cmp_ne_u32_e32 vcc_lo, 0, v36
	v_or3_b32 v16, v35, v16, v32
	v_cndmask_b32_e32 v16, 0, v16, vcc_lo
.LBB6_6661:                             ;   in Loop: Header=BB6_4858 Depth=2
	s_or_b32 exec_lo, exec_lo, s40
.LBB6_6662:                             ;   in Loop: Header=BB6_4858 Depth=2
	s_or_b32 exec_lo, exec_lo, s29
	v_cmp_gt_i16_sdwa s29, v33, v101 src0_sel:BYTE_1 src1_sel:DWORD
	s_mov_b32 s12, 0
	s_and_saveexec_b32 s40, s29
	s_xor_b32 s29, exec_lo, s40
	s_cbranch_execz .LBB6_7348
; %bb.6663:                             ;   in Loop: Header=BB6_4858 Depth=2
	v_cmp_eq_u16_sdwa s41, v33, v102 src0_sel:BYTE_1 src1_sel:DWORD
	s_mov_b32 s12, -1
	s_and_saveexec_b32 s40, s41
; %bb.6664:                             ;   in Loop: Header=BB6_4858 Depth=2
	s_xor_b32 s12, exec_lo, -1
; %bb.6665:                             ;   in Loop: Header=BB6_4858 Depth=2
	s_or_b32 exec_lo, exec_lo, s40
	s_and_b32 s12, s12, exec_lo
	s_or_saveexec_b32 s29, s29
	v_mov_b32_e32 v32, 0x7f800001
	s_xor_b32 exec_lo, exec_lo, s29
	s_cbranch_execnz .LBB6_7349
.LBB6_6666:                             ;   in Loop: Header=BB6_4858 Depth=2
	s_or_b32 exec_lo, exec_lo, s29
	s_and_saveexec_b32 s29, s12
	s_cbranch_execz .LBB6_6668
.LBB6_6667:                             ;   in Loop: Header=BB6_4858 Depth=2
	v_and_b32_sdwa v32, v103, v33 dst_sel:DWORD dst_unused:UNUSED_PAD src0_sel:DWORD src1_sel:BYTE_1
	v_and_b32_e32 v35, 7, v32
	v_bfe_u32 v48, v32, 3, 4
	v_ffbh_u32_e32 v36, v35
	v_cmp_eq_u32_e32 vcc_lo, 0, v48
	v_min_u32_e32 v36, 32, v36
	v_subrev_nc_u32_e32 v37, 28, v36
	v_sub_nc_u32_e32 v36, 29, v36
	v_lshlrev_b32_e32 v32, v37, v32
	v_lshlrev_b32_sdwa v37, v112, v33 dst_sel:DWORD dst_unused:UNUSED_PAD src0_sel:DWORD src1_sel:BYTE_1
	v_cndmask_b32_e32 v36, v48, v36, vcc_lo
	v_and_b32_e32 v32, 7, v32
	v_lshl_add_u32 v36, v36, 23, 0x3b800000
	v_cndmask_b32_e32 v32, v35, v32, vcc_lo
	v_and_b32_e32 v35, 0x80000000, v37
	v_lshlrev_b32_e32 v32, 20, v32
	v_or3_b32 v32, v35, v36, v32
.LBB6_6668:                             ;   in Loop: Header=BB6_4858 Depth=2
	s_or_b32 exec_lo, exec_lo, s29
	v_cmp_gt_i16_sdwa s29, v17, v101 src0_sel:BYTE_1 src1_sel:DWORD
	s_mov_b32 s12, 0
	s_and_saveexec_b32 s40, s29
	s_xor_b32 s29, exec_lo, s40
	s_cbranch_execz .LBB6_7350
; %bb.6669:                             ;   in Loop: Header=BB6_4858 Depth=2
	v_cmp_eq_u16_sdwa s41, v17, v102 src0_sel:BYTE_1 src1_sel:DWORD
	s_mov_b32 s12, -1
	s_and_saveexec_b32 s40, s41
; %bb.6670:                             ;   in Loop: Header=BB6_4858 Depth=2
	s_xor_b32 s12, exec_lo, -1
; %bb.6671:                             ;   in Loop: Header=BB6_4858 Depth=2
	s_or_b32 exec_lo, exec_lo, s40
	s_and_b32 s12, s12, exec_lo
	s_or_saveexec_b32 s29, s29
	v_mov_b32_e32 v35, 0x7f800001
	s_xor_b32 exec_lo, exec_lo, s29
	s_cbranch_execnz .LBB6_7351
.LBB6_6672:                             ;   in Loop: Header=BB6_4858 Depth=2
	s_or_b32 exec_lo, exec_lo, s29
	s_and_saveexec_b32 s29, s12
	s_cbranch_execz .LBB6_6674
.LBB6_6673:                             ;   in Loop: Header=BB6_4858 Depth=2
	v_and_b32_sdwa v35, v103, v17 dst_sel:DWORD dst_unused:UNUSED_PAD src0_sel:DWORD src1_sel:BYTE_1
	v_and_b32_e32 v36, 7, v35
	v_bfe_u32 v49, v35, 3, 4
	v_ffbh_u32_e32 v37, v36
	v_cmp_eq_u32_e32 vcc_lo, 0, v49
	v_min_u32_e32 v37, 32, v37
	v_subrev_nc_u32_e32 v48, 28, v37
	v_sub_nc_u32_e32 v37, 29, v37
	v_lshlrev_b32_e32 v35, v48, v35
	v_lshlrev_b32_sdwa v48, v112, v17 dst_sel:DWORD dst_unused:UNUSED_PAD src0_sel:DWORD src1_sel:BYTE_1
	v_cndmask_b32_e32 v37, v49, v37, vcc_lo
	v_and_b32_e32 v35, 7, v35
	v_lshl_add_u32 v37, v37, 23, 0x3b800000
	v_cndmask_b32_e32 v35, v36, v35, vcc_lo
	v_and_b32_e32 v36, 0x80000000, v48
	v_lshlrev_b32_e32 v35, 20, v35
	v_or3_b32 v35, v36, v37, v35
.LBB6_6674:                             ;   in Loop: Header=BB6_4858 Depth=2
	s_or_b32 exec_lo, exec_lo, s29
	v_add_f32_e32 v35, v32, v35
	v_and_b32_e32 v32, 0x7f800000, v35
	v_cmp_ne_u32_e32 vcc_lo, 0x7f800000, v32
	v_mov_b32_e32 v32, 0x8000
	s_and_saveexec_b32 s29, vcc_lo
	s_cbranch_execz .LBB6_6682
; %bb.6675:                             ;   in Loop: Header=BB6_4858 Depth=2
	v_mov_b32_e32 v32, 0
	s_mov_b32 s40, exec_lo
	v_cmpx_ne_u32_e32 0, v35
	s_cbranch_execz .LBB6_6681
; %bb.6676:                             ;   in Loop: Header=BB6_4858 Depth=2
	v_bfe_u32 v36, v35, 23, 8
	v_and_b32_e32 v32, 0x7fffff, v35
	v_cmp_gt_u32_e64 s12, 0x79, v36
	v_sub_nc_u32_e32 v37, 0x78, v36
	v_cmp_eq_u32_e32 vcc_lo, 0, v36
	v_or_b32_e32 v48, 0x800000, v32
	v_cndmask_b32_e64 v37, 0, v37, s12
	v_cndmask_b32_e32 v32, v48, v32, vcc_lo
	v_cndmask_b32_e64 v37, v37, 0x77, vcc_lo
	v_lshl_add_u32 v48, 0x100000, v37, -1
	v_lshlrev_b32_e64 v49, v37, 0x80000
	v_and_b32_e32 v48, v48, v32
	v_cmp_eq_u32_e64 s12, v48, v49
	v_lshrrev_b32_e32 v48, v37, v32
	v_add_nc_u32_e32 v32, 0xffffff89, v36
	v_lshrrev_b32_e32 v36, 23, v48
	v_cndmask_b32_e64 v32, v32, 0xffffff8a, vcc_lo
	v_xor_b32_e32 v36, 1, v36
	v_add_nc_u32_e32 v32, v37, v32
	v_bfe_u32 v37, v48, 20, 1
	v_add_nc_u32_e32 v37, -1, v37
	v_cndmask_b32_e64 v37, 0, v37, s12
	s_mov_b32 s12, exec_lo
	v_add_nc_u32_e32 v37, v37, v48
	v_and_b32_e32 v37, 0xfffff, v37
	v_add_nc_u32_e32 v37, v37, v48
                                        ; implicit-def: $vgpr48
	v_cmpx_ne_u32_e64 v32, v36
	s_xor_b32 s12, exec_lo, s12
; %bb.6677:                             ;   in Loop: Header=BB6_4858 Depth=2
	v_cmp_lt_u32_e32 vcc_lo, 0xffffff, v37
	v_sub_nc_u32_e32 v32, v32, v36
	v_cndmask_b32_e64 v36, 0, 1, vcc_lo
	v_add_co_ci_u32_e64 v48, null, 0, v32, vcc_lo
	v_lshrrev_b32_e32 v37, v36, v37
; %bb.6678:                             ;   in Loop: Header=BB6_4858 Depth=2
	s_andn2_saveexec_b32 s12, s12
; %bb.6679:                             ;   in Loop: Header=BB6_4858 Depth=2
	v_bfe_u32 v48, v37, 23, 1
; %bb.6680:                             ;   in Loop: Header=BB6_4858 Depth=2
	s_or_b32 exec_lo, exec_lo, s12
	v_and_b32_sdwa v32, v35, v102 dst_sel:DWORD dst_unused:UNUSED_PAD src0_sel:BYTE_3 src1_sel:DWORD
	v_lshrrev_b32_e32 v35, 20, v37
	v_min_i32_e32 v36, 15, v48
	v_cmp_gt_i32_e32 vcc_lo, 16, v48
	v_lshlrev_b32_e32 v36, 3, v36
	v_cndmask_b32_e32 v35, 7, v35, vcc_lo
	v_and_b32_e32 v36, 0xf8, v36
	v_or_b32_e32 v37, v48, v35
	v_and_b32_e32 v35, 7, v35
	v_cmp_ne_u32_e32 vcc_lo, 0, v37
	v_or3_b32 v32, v32, v36, v35
	v_lshlrev_b32_e32 v32, 8, v32
	v_cndmask_b32_e32 v32, 0, v32, vcc_lo
.LBB6_6681:                             ;   in Loop: Header=BB6_4858 Depth=2
	s_or_b32 exec_lo, exec_lo, s40
.LBB6_6682:                             ;   in Loop: Header=BB6_4858 Depth=2
	s_or_b32 exec_lo, exec_lo, s29
	v_or_b32_e32 v35, v75, v74
	s_mov_b32 s29, 0
	v_cmp_gt_i16_sdwa s12, v35, v101 src0_sel:BYTE_0 src1_sel:DWORD
	s_and_saveexec_b32 s40, s12
	s_xor_b32 s12, exec_lo, s40
	s_cbranch_execz .LBB6_7352
; %bb.6683:                             ;   in Loop: Header=BB6_4858 Depth=2
	v_cmp_eq_u16_sdwa s41, v35, v102 src0_sel:BYTE_0 src1_sel:DWORD
	s_mov_b32 s29, -1
	s_and_saveexec_b32 s40, s41
; %bb.6684:                             ;   in Loop: Header=BB6_4858 Depth=2
	s_xor_b32 s29, exec_lo, -1
; %bb.6685:                             ;   in Loop: Header=BB6_4858 Depth=2
	s_or_b32 exec_lo, exec_lo, s40
	s_and_b32 s29, s29, exec_lo
	s_or_saveexec_b32 s12, s12
	v_mov_b32_e32 v36, 0x7f800001
	s_xor_b32 exec_lo, exec_lo, s12
	s_cbranch_execnz .LBB6_7353
.LBB6_6686:                             ;   in Loop: Header=BB6_4858 Depth=2
	s_or_b32 exec_lo, exec_lo, s12
	v_lshl_or_b32 v35, v35, 16, v33
	s_and_saveexec_b32 s12, s29
	s_cbranch_execz .LBB6_6688
.LBB6_6687:                             ;   in Loop: Header=BB6_4858 Depth=2
	v_bfe_u32 v33, v35, 16, 3
	v_bfe_u32 v36, v35, 19, 4
	v_ffbh_u32_e32 v37, v33
	v_cmp_eq_u32_e32 vcc_lo, 0, v36
	v_min_u32_e32 v37, 32, v37
	v_subrev_nc_u32_e32 v48, 28, v37
	v_sub_nc_u32_e32 v37, 29, v37
	v_lshlrev_b32_sdwa v48, v48, v35 dst_sel:DWORD dst_unused:UNUSED_PAD src0_sel:DWORD src1_sel:WORD_1
	v_cndmask_b32_e32 v36, v36, v37, vcc_lo
	v_lshlrev_b32_e32 v37, 8, v35
	v_and_b32_e32 v48, 7, v48
	v_lshl_add_u32 v36, v36, 23, 0x3b800000
	v_and_b32_e32 v37, 0x80000000, v37
	v_cndmask_b32_e32 v33, v33, v48, vcc_lo
	v_lshlrev_b32_e32 v33, 20, v33
	v_or3_b32 v36, v37, v36, v33
.LBB6_6688:                             ;   in Loop: Header=BB6_4858 Depth=2
	s_or_b32 exec_lo, exec_lo, s12
	v_and_b32_sdwa v37, v17, v113 dst_sel:DWORD dst_unused:UNUSED_PAD src0_sel:WORD_1 src1_sel:DWORD
	s_mov_b32 s29, 0
	s_mov_b32 s12, exec_lo
	v_cmpx_lt_i16_e32 0x7f, v37
	s_xor_b32 s12, exec_lo, s12
	s_cbranch_execz .LBB6_7354
; %bb.6689:                             ;   in Loop: Header=BB6_4858 Depth=2
	s_mov_b32 s29, -1
	s_mov_b32 s40, exec_lo
	v_cmpx_eq_u16_e32 0x80, v37
; %bb.6690:                             ;   in Loop: Header=BB6_4858 Depth=2
	s_xor_b32 s29, exec_lo, -1
; %bb.6691:                             ;   in Loop: Header=BB6_4858 Depth=2
	s_or_b32 exec_lo, exec_lo, s40
	s_and_b32 s29, s29, exec_lo
                                        ; implicit-def: $vgpr37
	s_or_saveexec_b32 s12, s12
	v_mov_b32_e32 v33, 0x7f800001
	s_xor_b32 exec_lo, exec_lo, s12
	s_cbranch_execnz .LBB6_7355
.LBB6_6692:                             ;   in Loop: Header=BB6_4858 Depth=2
	s_or_b32 exec_lo, exec_lo, s12
	s_and_saveexec_b32 s12, s29
	s_cbranch_execz .LBB6_6694
.LBB6_6693:                             ;   in Loop: Header=BB6_4858 Depth=2
	v_bfe_u32 v33, v17, 16, 3
	v_bfe_u32 v37, v17, 19, 4
	v_ffbh_u32_e32 v48, v33
	v_cmp_eq_u32_e32 vcc_lo, 0, v37
	v_min_u32_e32 v48, 32, v48
	v_subrev_nc_u32_e32 v49, 28, v48
	v_sub_nc_u32_e32 v48, 29, v48
	v_lshlrev_b32_sdwa v49, v49, v17 dst_sel:DWORD dst_unused:UNUSED_PAD src0_sel:DWORD src1_sel:WORD_1
	v_cndmask_b32_e32 v37, v37, v48, vcc_lo
	v_lshlrev_b32_e32 v48, 8, v17
	v_and_b32_e32 v49, 7, v49
	v_lshl_add_u32 v37, v37, 23, 0x3b800000
	v_and_b32_e32 v48, 0x80000000, v48
	v_cndmask_b32_e32 v33, v33, v49, vcc_lo
	v_lshlrev_b32_e32 v33, 20, v33
	v_or3_b32 v33, v48, v37, v33
.LBB6_6694:                             ;   in Loop: Header=BB6_4858 Depth=2
	s_or_b32 exec_lo, exec_lo, s12
	v_add_f32_e32 v36, v36, v33
	v_and_b32_e32 v33, 0x7f800000, v36
	v_cmp_ne_u32_e32 vcc_lo, 0x7f800000, v33
	v_mov_b32_e32 v33, 0x80
	s_and_saveexec_b32 s29, vcc_lo
	s_cbranch_execz .LBB6_6702
; %bb.6695:                             ;   in Loop: Header=BB6_4858 Depth=2
	v_mov_b32_e32 v33, 0
	s_mov_b32 s40, exec_lo
	v_cmpx_ne_u32_e32 0, v36
	s_cbranch_execz .LBB6_6701
; %bb.6696:                             ;   in Loop: Header=BB6_4858 Depth=2
	v_bfe_u32 v37, v36, 23, 8
	v_and_b32_e32 v33, 0x7fffff, v36
	v_cmp_gt_u32_e64 s12, 0x79, v37
	v_sub_nc_u32_e32 v48, 0x78, v37
	v_cmp_eq_u32_e32 vcc_lo, 0, v37
	v_or_b32_e32 v49, 0x800000, v33
	v_cndmask_b32_e64 v48, 0, v48, s12
	v_cndmask_b32_e32 v33, v49, v33, vcc_lo
	v_cndmask_b32_e64 v48, v48, 0x77, vcc_lo
	v_lshl_add_u32 v49, 0x100000, v48, -1
	v_lshlrev_b32_e64 v82, v48, 0x80000
	v_and_b32_e32 v49, v49, v33
	v_cmp_eq_u32_e64 s12, v49, v82
	v_lshrrev_b32_e32 v49, v48, v33
	v_add_nc_u32_e32 v33, 0xffffff89, v37
	v_lshrrev_b32_e32 v37, 23, v49
	v_cndmask_b32_e64 v33, v33, 0xffffff8a, vcc_lo
	v_xor_b32_e32 v37, 1, v37
	v_add_nc_u32_e32 v33, v48, v33
	v_bfe_u32 v48, v49, 20, 1
	v_add_nc_u32_e32 v48, -1, v48
	v_cndmask_b32_e64 v48, 0, v48, s12
	s_mov_b32 s12, exec_lo
	v_add_nc_u32_e32 v48, v48, v49
	v_and_b32_e32 v48, 0xfffff, v48
	v_add_nc_u32_e32 v48, v48, v49
                                        ; implicit-def: $vgpr49
	v_cmpx_ne_u32_e64 v33, v37
	s_xor_b32 s12, exec_lo, s12
; %bb.6697:                             ;   in Loop: Header=BB6_4858 Depth=2
	v_cmp_lt_u32_e32 vcc_lo, 0xffffff, v48
	v_sub_nc_u32_e32 v33, v33, v37
	v_cndmask_b32_e64 v37, 0, 1, vcc_lo
	v_add_co_ci_u32_e64 v49, null, 0, v33, vcc_lo
	v_lshrrev_b32_e32 v48, v37, v48
; %bb.6698:                             ;   in Loop: Header=BB6_4858 Depth=2
	s_andn2_saveexec_b32 s12, s12
; %bb.6699:                             ;   in Loop: Header=BB6_4858 Depth=2
	v_bfe_u32 v49, v48, 23, 1
; %bb.6700:                             ;   in Loop: Header=BB6_4858 Depth=2
	s_or_b32 exec_lo, exec_lo, s12
	v_and_b32_sdwa v33, v36, v102 dst_sel:DWORD dst_unused:UNUSED_PAD src0_sel:BYTE_3 src1_sel:DWORD
	v_lshrrev_b32_e32 v36, 20, v48
	v_min_i32_e32 v37, 15, v49
	v_cmp_gt_i32_e32 vcc_lo, 16, v49
	v_lshlrev_b32_e32 v37, 3, v37
	v_cndmask_b32_e32 v36, 7, v36, vcc_lo
	v_and_b32_e32 v37, 0xf8, v37
	v_or_b32_e32 v48, v49, v36
	v_and_b32_e32 v36, 7, v36
	v_cmp_ne_u32_e32 vcc_lo, 0, v48
	v_or3_b32 v33, v37, v33, v36
	v_cndmask_b32_e32 v33, 0, v33, vcc_lo
.LBB6_6701:                             ;   in Loop: Header=BB6_4858 Depth=2
	s_or_b32 exec_lo, exec_lo, s40
.LBB6_6702:                             ;   in Loop: Header=BB6_4858 Depth=2
	s_or_b32 exec_lo, exec_lo, s29
	v_cmp_gt_i16_sdwa s29, v35, v101 src0_sel:BYTE_3 src1_sel:DWORD
	s_mov_b32 s12, 0
	s_and_saveexec_b32 s40, s29
	s_xor_b32 s29, exec_lo, s40
	s_cbranch_execz .LBB6_7356
; %bb.6703:                             ;   in Loop: Header=BB6_4858 Depth=2
	v_cmp_eq_u16_sdwa s41, v35, v102 src0_sel:BYTE_3 src1_sel:DWORD
	s_mov_b32 s12, -1
	s_and_saveexec_b32 s40, s41
; %bb.6704:                             ;   in Loop: Header=BB6_4858 Depth=2
	s_xor_b32 s12, exec_lo, -1
; %bb.6705:                             ;   in Loop: Header=BB6_4858 Depth=2
	s_or_b32 exec_lo, exec_lo, s40
	s_and_b32 s12, s12, exec_lo
	s_or_saveexec_b32 s29, s29
	v_mov_b32_e32 v36, 0x7f800001
	s_xor_b32 exec_lo, exec_lo, s29
	s_cbranch_execnz .LBB6_7357
.LBB6_6706:                             ;   in Loop: Header=BB6_4858 Depth=2
	s_or_b32 exec_lo, exec_lo, s29
	s_and_saveexec_b32 s29, s12
	s_cbranch_execz .LBB6_6708
.LBB6_6707:                             ;   in Loop: Header=BB6_4858 Depth=2
	v_bfe_u32 v36, v35, 24, 3
	v_bfe_u32 v49, v35, 27, 4
	v_ffbh_u32_e32 v37, v36
	v_cmp_eq_u32_e32 vcc_lo, 0, v49
	v_min_u32_e32 v37, 32, v37
	v_subrev_nc_u32_e32 v48, 28, v37
	v_sub_nc_u32_e32 v37, 29, v37
	v_lshlrev_b32_sdwa v48, v48, v35 dst_sel:DWORD dst_unused:UNUSED_PAD src0_sel:DWORD src1_sel:BYTE_3
	v_cndmask_b32_e32 v37, v49, v37, vcc_lo
	v_and_b32_e32 v35, 0x80000000, v35
	v_and_b32_e32 v48, 7, v48
	v_lshl_add_u32 v37, v37, 23, 0x3b800000
	v_cndmask_b32_e32 v36, v36, v48, vcc_lo
	v_lshlrev_b32_e32 v36, 20, v36
	v_or3_b32 v36, v35, v37, v36
.LBB6_6708:                             ;   in Loop: Header=BB6_4858 Depth=2
	s_or_b32 exec_lo, exec_lo, s29
	v_cmp_gt_i16_sdwa s29, v17, v101 src0_sel:BYTE_3 src1_sel:DWORD
	s_mov_b32 s12, 0
	s_and_saveexec_b32 s40, s29
	s_xor_b32 s29, exec_lo, s40
	s_cbranch_execz .LBB6_7358
; %bb.6709:                             ;   in Loop: Header=BB6_4858 Depth=2
	v_cmp_eq_u16_sdwa s41, v17, v102 src0_sel:BYTE_3 src1_sel:DWORD
	s_mov_b32 s12, -1
	s_and_saveexec_b32 s40, s41
; %bb.6710:                             ;   in Loop: Header=BB6_4858 Depth=2
	s_xor_b32 s12, exec_lo, -1
; %bb.6711:                             ;   in Loop: Header=BB6_4858 Depth=2
	s_or_b32 exec_lo, exec_lo, s40
	s_and_b32 s12, s12, exec_lo
	s_or_saveexec_b32 s29, s29
	v_mov_b32_e32 v35, 0x7f800001
	s_xor_b32 exec_lo, exec_lo, s29
	s_cbranch_execnz .LBB6_7359
.LBB6_6712:                             ;   in Loop: Header=BB6_4858 Depth=2
	s_or_b32 exec_lo, exec_lo, s29
	s_and_saveexec_b32 s29, s12
	s_cbranch_execz .LBB6_6714
.LBB6_6713:                             ;   in Loop: Header=BB6_4858 Depth=2
	v_bfe_u32 v35, v17, 24, 3
	v_bfe_u32 v49, v17, 27, 4
	v_ffbh_u32_e32 v37, v35
	v_cmp_eq_u32_e32 vcc_lo, 0, v49
	v_min_u32_e32 v37, 32, v37
	v_subrev_nc_u32_e32 v48, 28, v37
	v_sub_nc_u32_e32 v37, 29, v37
	v_lshlrev_b32_sdwa v48, v48, v17 dst_sel:DWORD dst_unused:UNUSED_PAD src0_sel:DWORD src1_sel:BYTE_3
	v_cndmask_b32_e32 v37, v49, v37, vcc_lo
	v_and_b32_e32 v17, 0x80000000, v17
	v_and_b32_e32 v48, 7, v48
	v_lshl_add_u32 v37, v37, 23, 0x3b800000
	v_cndmask_b32_e32 v35, v35, v48, vcc_lo
	v_lshlrev_b32_e32 v35, 20, v35
	v_or3_b32 v35, v17, v37, v35
.LBB6_6714:                             ;   in Loop: Header=BB6_4858 Depth=2
	s_or_b32 exec_lo, exec_lo, s29
	v_add_f32_e32 v35, v36, v35
	v_and_b32_e32 v17, 0x7f800000, v35
	v_cmp_ne_u32_e32 vcc_lo, 0x7f800000, v17
	v_mov_b32_e32 v17, 0x8000
	s_and_saveexec_b32 s29, vcc_lo
	s_cbranch_execz .LBB6_6722
; %bb.6715:                             ;   in Loop: Header=BB6_4858 Depth=2
	v_mov_b32_e32 v17, 0
	s_mov_b32 s40, exec_lo
	v_cmpx_ne_u32_e32 0, v35
	s_cbranch_execz .LBB6_6721
; %bb.6716:                             ;   in Loop: Header=BB6_4858 Depth=2
	v_bfe_u32 v36, v35, 23, 8
	v_and_b32_e32 v17, 0x7fffff, v35
	v_cmp_gt_u32_e64 s12, 0x79, v36
	v_sub_nc_u32_e32 v37, 0x78, v36
	v_cmp_eq_u32_e32 vcc_lo, 0, v36
	v_or_b32_e32 v48, 0x800000, v17
	v_cndmask_b32_e64 v37, 0, v37, s12
	v_cndmask_b32_e32 v17, v48, v17, vcc_lo
	v_cndmask_b32_e64 v37, v37, 0x77, vcc_lo
	v_lshl_add_u32 v48, 0x100000, v37, -1
	v_lshlrev_b32_e64 v49, v37, 0x80000
	v_and_b32_e32 v48, v48, v17
	v_cmp_eq_u32_e64 s12, v48, v49
	v_lshrrev_b32_e32 v48, v37, v17
	v_add_nc_u32_e32 v17, 0xffffff89, v36
	v_lshrrev_b32_e32 v36, 23, v48
	v_cndmask_b32_e64 v17, v17, 0xffffff8a, vcc_lo
	v_xor_b32_e32 v36, 1, v36
	v_add_nc_u32_e32 v17, v37, v17
	v_bfe_u32 v37, v48, 20, 1
	v_add_nc_u32_e32 v37, -1, v37
	v_cndmask_b32_e64 v37, 0, v37, s12
	s_mov_b32 s12, exec_lo
	v_add_nc_u32_e32 v37, v37, v48
	v_and_b32_e32 v37, 0xfffff, v37
	v_add_nc_u32_e32 v37, v37, v48
                                        ; implicit-def: $vgpr48
	v_cmpx_ne_u32_e64 v17, v36
	s_xor_b32 s12, exec_lo, s12
; %bb.6717:                             ;   in Loop: Header=BB6_4858 Depth=2
	v_cmp_lt_u32_e32 vcc_lo, 0xffffff, v37
	v_sub_nc_u32_e32 v17, v17, v36
	v_cndmask_b32_e64 v36, 0, 1, vcc_lo
	v_add_co_ci_u32_e64 v48, null, 0, v17, vcc_lo
	v_lshrrev_b32_e32 v37, v36, v37
; %bb.6718:                             ;   in Loop: Header=BB6_4858 Depth=2
	s_andn2_saveexec_b32 s12, s12
; %bb.6719:                             ;   in Loop: Header=BB6_4858 Depth=2
	v_bfe_u32 v48, v37, 23, 1
; %bb.6720:                             ;   in Loop: Header=BB6_4858 Depth=2
	s_or_b32 exec_lo, exec_lo, s12
	v_and_b32_sdwa v17, v35, v102 dst_sel:DWORD dst_unused:UNUSED_PAD src0_sel:BYTE_3 src1_sel:DWORD
	v_lshrrev_b32_e32 v35, 20, v37
	v_min_i32_e32 v36, 15, v48
	v_cmp_gt_i32_e32 vcc_lo, 16, v48
	v_lshlrev_b32_e32 v36, 3, v36
	v_cndmask_b32_e32 v35, 7, v35, vcc_lo
	v_and_b32_e32 v36, 0xf8, v36
	v_or_b32_e32 v37, v48, v35
	v_and_b32_e32 v35, 7, v35
	v_cmp_ne_u32_e32 vcc_lo, 0, v37
	v_or3_b32 v17, v17, v36, v35
	v_lshlrev_b32_e32 v17, 8, v17
	v_cndmask_b32_e32 v17, 0, v17, vcc_lo
.LBB6_6721:                             ;   in Loop: Header=BB6_4858 Depth=2
	s_or_b32 exec_lo, exec_lo, s40
.LBB6_6722:                             ;   in Loop: Header=BB6_4858 Depth=2
	s_or_b32 exec_lo, exec_lo, s29
	v_or_b32_e32 v37, v73, v72
	s_mov_b32 s29, 0
	v_cmp_gt_i16_sdwa s12, v37, v101 src0_sel:BYTE_0 src1_sel:DWORD
	s_and_saveexec_b32 s40, s12
	s_xor_b32 s12, exec_lo, s40
	s_cbranch_execz .LBB6_7360
; %bb.6723:                             ;   in Loop: Header=BB6_4858 Depth=2
	v_cmp_eq_u16_sdwa s41, v37, v102 src0_sel:BYTE_0 src1_sel:DWORD
	s_mov_b32 s29, -1
	s_and_saveexec_b32 s40, s41
; %bb.6724:                             ;   in Loop: Header=BB6_4858 Depth=2
	s_xor_b32 s29, exec_lo, -1
; %bb.6725:                             ;   in Loop: Header=BB6_4858 Depth=2
	s_or_b32 exec_lo, exec_lo, s40
	s_and_b32 s29, s29, exec_lo
	s_or_saveexec_b32 s12, s12
	v_mov_b32_e32 v35, 0x7f800001
	s_xor_b32 exec_lo, exec_lo, s12
	s_cbranch_execnz .LBB6_7361
.LBB6_6726:                             ;   in Loop: Header=BB6_4858 Depth=2
	s_or_b32 exec_lo, exec_lo, s12
	s_and_saveexec_b32 s12, s29
	s_cbranch_execz .LBB6_6728
.LBB6_6727:                             ;   in Loop: Header=BB6_4858 Depth=2
	v_and_b32_e32 v35, 7, v37
	v_bfe_u32 v36, v37, 3, 4
	v_ffbh_u32_e32 v48, v35
	v_cmp_eq_u32_e32 vcc_lo, 0, v36
	v_min_u32_e32 v48, 32, v48
	v_subrev_nc_u32_e32 v49, 28, v48
	v_sub_nc_u32_e32 v48, 29, v48
	v_lshlrev_b32_e32 v49, v49, v37
	v_cndmask_b32_e32 v36, v36, v48, vcc_lo
	v_lshlrev_b32_e32 v48, 24, v37
	v_and_b32_e32 v49, 7, v49
	v_lshl_add_u32 v36, v36, 23, 0x3b800000
	v_and_b32_e32 v48, 0x80000000, v48
	v_cndmask_b32_e32 v35, v35, v49, vcc_lo
	v_lshlrev_b32_e32 v35, 20, v35
	v_or3_b32 v35, v48, v36, v35
.LBB6_6728:                             ;   in Loop: Header=BB6_4858 Depth=2
	s_or_b32 exec_lo, exec_lo, s12
	s_waitcnt vmcnt(0)
	v_cmp_gt_i16_sdwa s12, v10, v101 src0_sel:BYTE_0 src1_sel:DWORD
	s_mov_b32 s29, 0
	s_and_saveexec_b32 s40, s12
	s_xor_b32 s12, exec_lo, s40
	s_cbranch_execz .LBB6_7362
; %bb.6729:                             ;   in Loop: Header=BB6_4858 Depth=2
	v_cmp_eq_u16_sdwa s41, v10, v102 src0_sel:BYTE_0 src1_sel:DWORD
	s_mov_b32 s29, -1
	s_and_saveexec_b32 s40, s41
; %bb.6730:                             ;   in Loop: Header=BB6_4858 Depth=2
	s_xor_b32 s29, exec_lo, -1
; %bb.6731:                             ;   in Loop: Header=BB6_4858 Depth=2
	s_or_b32 exec_lo, exec_lo, s40
	s_and_b32 s29, s29, exec_lo
	s_or_saveexec_b32 s12, s12
	v_mov_b32_e32 v36, 0x7f800001
	s_xor_b32 exec_lo, exec_lo, s12
	s_cbranch_execnz .LBB6_7363
.LBB6_6732:                             ;   in Loop: Header=BB6_4858 Depth=2
	s_or_b32 exec_lo, exec_lo, s12
	s_and_saveexec_b32 s12, s29
	s_cbranch_execz .LBB6_6734
.LBB6_6733:                             ;   in Loop: Header=BB6_4858 Depth=2
	v_and_b32_e32 v36, 7, v10
	v_bfe_u32 v48, v10, 3, 4
	v_ffbh_u32_e32 v49, v36
	v_cmp_eq_u32_e32 vcc_lo, 0, v48
	v_min_u32_e32 v49, 32, v49
	v_subrev_nc_u32_e32 v82, 28, v49
	v_sub_nc_u32_e32 v49, 29, v49
	v_lshlrev_b32_e32 v82, v82, v10
	v_cndmask_b32_e32 v48, v48, v49, vcc_lo
	v_lshlrev_b32_e32 v49, 24, v10
	v_and_b32_e32 v82, 7, v82
	v_lshl_add_u32 v48, v48, 23, 0x3b800000
	v_and_b32_e32 v49, 0x80000000, v49
	v_cndmask_b32_e32 v36, v36, v82, vcc_lo
	v_lshlrev_b32_e32 v36, 20, v36
	v_or3_b32 v36, v49, v48, v36
.LBB6_6734:                             ;   in Loop: Header=BB6_4858 Depth=2
	s_or_b32 exec_lo, exec_lo, s12
	v_add_f32_e32 v36, v35, v36
	v_and_b32_e32 v35, 0x7f800000, v36
	v_cmp_ne_u32_e32 vcc_lo, 0x7f800000, v35
	v_mov_b32_e32 v35, 0x80
	s_and_saveexec_b32 s29, vcc_lo
	s_cbranch_execz .LBB6_6742
; %bb.6735:                             ;   in Loop: Header=BB6_4858 Depth=2
	v_mov_b32_e32 v35, 0
	s_mov_b32 s40, exec_lo
	v_cmpx_ne_u32_e32 0, v36
	s_cbranch_execz .LBB6_6741
; %bb.6736:                             ;   in Loop: Header=BB6_4858 Depth=2
	v_bfe_u32 v48, v36, 23, 8
	v_and_b32_e32 v35, 0x7fffff, v36
	v_cmp_gt_u32_e64 s12, 0x79, v48
	v_sub_nc_u32_e32 v49, 0x78, v48
	v_cmp_eq_u32_e32 vcc_lo, 0, v48
	v_or_b32_e32 v82, 0x800000, v35
	v_cndmask_b32_e64 v49, 0, v49, s12
	v_cndmask_b32_e32 v35, v82, v35, vcc_lo
	v_cndmask_b32_e64 v49, v49, 0x77, vcc_lo
	v_lshl_add_u32 v82, 0x100000, v49, -1
	v_lshlrev_b32_e64 v83, v49, 0x80000
	v_and_b32_e32 v82, v82, v35
	v_cmp_eq_u32_e64 s12, v82, v83
	v_lshrrev_b32_e32 v82, v49, v35
	v_add_nc_u32_e32 v35, 0xffffff89, v48
	v_lshrrev_b32_e32 v48, 23, v82
	v_cndmask_b32_e64 v35, v35, 0xffffff8a, vcc_lo
	v_xor_b32_e32 v48, 1, v48
	v_add_nc_u32_e32 v35, v49, v35
	v_bfe_u32 v49, v82, 20, 1
	v_add_nc_u32_e32 v49, -1, v49
	v_cndmask_b32_e64 v49, 0, v49, s12
	s_mov_b32 s12, exec_lo
	v_add_nc_u32_e32 v49, v49, v82
	v_and_b32_e32 v49, 0xfffff, v49
	v_add_nc_u32_e32 v49, v49, v82
                                        ; implicit-def: $vgpr82
	v_cmpx_ne_u32_e64 v35, v48
	s_xor_b32 s12, exec_lo, s12
; %bb.6737:                             ;   in Loop: Header=BB6_4858 Depth=2
	v_cmp_lt_u32_e32 vcc_lo, 0xffffff, v49
	v_sub_nc_u32_e32 v35, v35, v48
	v_cndmask_b32_e64 v48, 0, 1, vcc_lo
	v_add_co_ci_u32_e64 v82, null, 0, v35, vcc_lo
	v_lshrrev_b32_e32 v49, v48, v49
; %bb.6738:                             ;   in Loop: Header=BB6_4858 Depth=2
	s_andn2_saveexec_b32 s12, s12
; %bb.6739:                             ;   in Loop: Header=BB6_4858 Depth=2
	v_bfe_u32 v82, v49, 23, 1
; %bb.6740:                             ;   in Loop: Header=BB6_4858 Depth=2
	s_or_b32 exec_lo, exec_lo, s12
	v_and_b32_sdwa v35, v36, v102 dst_sel:DWORD dst_unused:UNUSED_PAD src0_sel:BYTE_3 src1_sel:DWORD
	v_lshrrev_b32_e32 v36, 20, v49
	v_min_i32_e32 v48, 15, v82
	v_cmp_gt_i32_e32 vcc_lo, 16, v82
	v_lshlrev_b32_e32 v48, 3, v48
	v_cndmask_b32_e32 v36, 7, v36, vcc_lo
	v_and_b32_e32 v48, 0xf8, v48
	v_or_b32_e32 v49, v82, v36
	v_and_b32_e32 v36, 7, v36
	v_cmp_ne_u32_e32 vcc_lo, 0, v49
	v_or3_b32 v35, v48, v35, v36
	v_cndmask_b32_e32 v35, 0, v35, vcc_lo
.LBB6_6741:                             ;   in Loop: Header=BB6_4858 Depth=2
	s_or_b32 exec_lo, exec_lo, s40
.LBB6_6742:                             ;   in Loop: Header=BB6_4858 Depth=2
	s_or_b32 exec_lo, exec_lo, s29
	v_cmp_gt_i16_sdwa s29, v37, v101 src0_sel:BYTE_1 src1_sel:DWORD
	s_mov_b32 s12, 0
	s_and_saveexec_b32 s40, s29
	s_xor_b32 s29, exec_lo, s40
	s_cbranch_execz .LBB6_7364
; %bb.6743:                             ;   in Loop: Header=BB6_4858 Depth=2
	v_cmp_eq_u16_sdwa s41, v37, v102 src0_sel:BYTE_1 src1_sel:DWORD
	s_mov_b32 s12, -1
	s_and_saveexec_b32 s40, s41
; %bb.6744:                             ;   in Loop: Header=BB6_4858 Depth=2
	s_xor_b32 s12, exec_lo, -1
; %bb.6745:                             ;   in Loop: Header=BB6_4858 Depth=2
	s_or_b32 exec_lo, exec_lo, s40
	s_and_b32 s12, s12, exec_lo
	s_or_saveexec_b32 s29, s29
	v_mov_b32_e32 v36, 0x7f800001
	s_xor_b32 exec_lo, exec_lo, s29
	s_cbranch_execnz .LBB6_7365
.LBB6_6746:                             ;   in Loop: Header=BB6_4858 Depth=2
	s_or_b32 exec_lo, exec_lo, s29
	s_and_saveexec_b32 s29, s12
	s_cbranch_execz .LBB6_6748
.LBB6_6747:                             ;   in Loop: Header=BB6_4858 Depth=2
	v_and_b32_sdwa v36, v103, v37 dst_sel:DWORD dst_unused:UNUSED_PAD src0_sel:DWORD src1_sel:BYTE_1
	v_and_b32_e32 v48, 7, v36
	v_bfe_u32 v83, v36, 3, 4
	v_ffbh_u32_e32 v49, v48
	v_cmp_eq_u32_e32 vcc_lo, 0, v83
	v_min_u32_e32 v49, 32, v49
	v_subrev_nc_u32_e32 v82, 28, v49
	v_sub_nc_u32_e32 v49, 29, v49
	v_lshlrev_b32_e32 v36, v82, v36
	v_lshlrev_b32_sdwa v82, v112, v37 dst_sel:DWORD dst_unused:UNUSED_PAD src0_sel:DWORD src1_sel:BYTE_1
	v_cndmask_b32_e32 v49, v83, v49, vcc_lo
	v_and_b32_e32 v36, 7, v36
	v_lshl_add_u32 v49, v49, 23, 0x3b800000
	v_cndmask_b32_e32 v36, v48, v36, vcc_lo
	v_and_b32_e32 v48, 0x80000000, v82
	v_lshlrev_b32_e32 v36, 20, v36
	v_or3_b32 v36, v48, v49, v36
.LBB6_6748:                             ;   in Loop: Header=BB6_4858 Depth=2
	s_or_b32 exec_lo, exec_lo, s29
	v_cmp_gt_i16_sdwa s29, v10, v101 src0_sel:BYTE_1 src1_sel:DWORD
	s_mov_b32 s12, 0
	s_and_saveexec_b32 s40, s29
	s_xor_b32 s29, exec_lo, s40
	s_cbranch_execz .LBB6_7366
; %bb.6749:                             ;   in Loop: Header=BB6_4858 Depth=2
	v_cmp_eq_u16_sdwa s41, v10, v102 src0_sel:BYTE_1 src1_sel:DWORD
	s_mov_b32 s12, -1
	s_and_saveexec_b32 s40, s41
; %bb.6750:                             ;   in Loop: Header=BB6_4858 Depth=2
	s_xor_b32 s12, exec_lo, -1
; %bb.6751:                             ;   in Loop: Header=BB6_4858 Depth=2
	s_or_b32 exec_lo, exec_lo, s40
	s_and_b32 s12, s12, exec_lo
	s_or_saveexec_b32 s29, s29
	v_mov_b32_e32 v48, 0x7f800001
	s_xor_b32 exec_lo, exec_lo, s29
	s_cbranch_execnz .LBB6_7367
.LBB6_6752:                             ;   in Loop: Header=BB6_4858 Depth=2
	s_or_b32 exec_lo, exec_lo, s29
	s_and_saveexec_b32 s29, s12
	s_cbranch_execz .LBB6_6754
.LBB6_6753:                             ;   in Loop: Header=BB6_4858 Depth=2
	v_and_b32_sdwa v48, v103, v10 dst_sel:DWORD dst_unused:UNUSED_PAD src0_sel:DWORD src1_sel:BYTE_1
	v_and_b32_e32 v49, 7, v48
	v_bfe_u32 v84, v48, 3, 4
	v_ffbh_u32_e32 v82, v49
	v_cmp_eq_u32_e32 vcc_lo, 0, v84
	v_min_u32_e32 v82, 32, v82
	v_subrev_nc_u32_e32 v83, 28, v82
	v_sub_nc_u32_e32 v82, 29, v82
	v_lshlrev_b32_e32 v48, v83, v48
	v_lshlrev_b32_sdwa v83, v112, v10 dst_sel:DWORD dst_unused:UNUSED_PAD src0_sel:DWORD src1_sel:BYTE_1
	v_cndmask_b32_e32 v82, v84, v82, vcc_lo
	v_and_b32_e32 v48, 7, v48
	v_lshl_add_u32 v82, v82, 23, 0x3b800000
	v_cndmask_b32_e32 v48, v49, v48, vcc_lo
	v_and_b32_e32 v49, 0x80000000, v83
	v_lshlrev_b32_e32 v48, 20, v48
	v_or3_b32 v48, v49, v82, v48
.LBB6_6754:                             ;   in Loop: Header=BB6_4858 Depth=2
	s_or_b32 exec_lo, exec_lo, s29
	v_add_f32_e32 v48, v36, v48
	v_and_b32_e32 v36, 0x7f800000, v48
	v_cmp_ne_u32_e32 vcc_lo, 0x7f800000, v36
	v_mov_b32_e32 v36, 0x8000
	s_and_saveexec_b32 s29, vcc_lo
	s_cbranch_execz .LBB6_6762
; %bb.6755:                             ;   in Loop: Header=BB6_4858 Depth=2
	v_mov_b32_e32 v36, 0
	s_mov_b32 s40, exec_lo
	v_cmpx_ne_u32_e32 0, v48
	s_cbranch_execz .LBB6_6761
; %bb.6756:                             ;   in Loop: Header=BB6_4858 Depth=2
	v_bfe_u32 v49, v48, 23, 8
	v_and_b32_e32 v36, 0x7fffff, v48
	v_cmp_gt_u32_e64 s12, 0x79, v49
	v_sub_nc_u32_e32 v82, 0x78, v49
	v_cmp_eq_u32_e32 vcc_lo, 0, v49
	v_or_b32_e32 v83, 0x800000, v36
	v_cndmask_b32_e64 v82, 0, v82, s12
	v_cndmask_b32_e32 v36, v83, v36, vcc_lo
	v_cndmask_b32_e64 v82, v82, 0x77, vcc_lo
	v_lshl_add_u32 v83, 0x100000, v82, -1
	v_lshlrev_b32_e64 v84, v82, 0x80000
	v_and_b32_e32 v83, v83, v36
	v_cmp_eq_u32_e64 s12, v83, v84
	v_lshrrev_b32_e32 v83, v82, v36
	v_add_nc_u32_e32 v36, 0xffffff89, v49
	v_lshrrev_b32_e32 v49, 23, v83
	v_cndmask_b32_e64 v36, v36, 0xffffff8a, vcc_lo
	v_xor_b32_e32 v49, 1, v49
	v_add_nc_u32_e32 v36, v82, v36
	v_bfe_u32 v82, v83, 20, 1
	v_add_nc_u32_e32 v82, -1, v82
	v_cndmask_b32_e64 v82, 0, v82, s12
	s_mov_b32 s12, exec_lo
	v_add_nc_u32_e32 v82, v82, v83
	v_and_b32_e32 v82, 0xfffff, v82
	v_add_nc_u32_e32 v82, v82, v83
                                        ; implicit-def: $vgpr83
	v_cmpx_ne_u32_e64 v36, v49
	s_xor_b32 s12, exec_lo, s12
; %bb.6757:                             ;   in Loop: Header=BB6_4858 Depth=2
	v_cmp_lt_u32_e32 vcc_lo, 0xffffff, v82
	v_sub_nc_u32_e32 v36, v36, v49
	v_cndmask_b32_e64 v49, 0, 1, vcc_lo
	v_add_co_ci_u32_e64 v83, null, 0, v36, vcc_lo
	v_lshrrev_b32_e32 v82, v49, v82
; %bb.6758:                             ;   in Loop: Header=BB6_4858 Depth=2
	s_andn2_saveexec_b32 s12, s12
; %bb.6759:                             ;   in Loop: Header=BB6_4858 Depth=2
	v_bfe_u32 v83, v82, 23, 1
; %bb.6760:                             ;   in Loop: Header=BB6_4858 Depth=2
	s_or_b32 exec_lo, exec_lo, s12
	v_and_b32_sdwa v36, v48, v102 dst_sel:DWORD dst_unused:UNUSED_PAD src0_sel:BYTE_3 src1_sel:DWORD
	v_lshrrev_b32_e32 v48, 20, v82
	v_min_i32_e32 v49, 15, v83
	v_cmp_gt_i32_e32 vcc_lo, 16, v83
	v_lshlrev_b32_e32 v49, 3, v49
	v_cndmask_b32_e32 v48, 7, v48, vcc_lo
	v_and_b32_e32 v49, 0xf8, v49
	v_or_b32_e32 v82, v83, v48
	v_and_b32_e32 v48, 7, v48
	v_cmp_ne_u32_e32 vcc_lo, 0, v82
	v_or3_b32 v36, v36, v49, v48
	v_lshlrev_b32_e32 v36, 8, v36
	v_cndmask_b32_e32 v36, 0, v36, vcc_lo
.LBB6_6761:                             ;   in Loop: Header=BB6_4858 Depth=2
	s_or_b32 exec_lo, exec_lo, s40
.LBB6_6762:                             ;   in Loop: Header=BB6_4858 Depth=2
	s_or_b32 exec_lo, exec_lo, s29
	v_or_b32_e32 v48, v62, v61
	s_mov_b32 s29, 0
	v_cmp_gt_i16_sdwa s12, v48, v101 src0_sel:BYTE_0 src1_sel:DWORD
	s_and_saveexec_b32 s40, s12
	s_xor_b32 s12, exec_lo, s40
	s_cbranch_execz .LBB6_7368
; %bb.6763:                             ;   in Loop: Header=BB6_4858 Depth=2
	v_cmp_eq_u16_sdwa s41, v48, v102 src0_sel:BYTE_0 src1_sel:DWORD
	s_mov_b32 s29, -1
	s_and_saveexec_b32 s40, s41
; %bb.6764:                             ;   in Loop: Header=BB6_4858 Depth=2
	s_xor_b32 s29, exec_lo, -1
; %bb.6765:                             ;   in Loop: Header=BB6_4858 Depth=2
	s_or_b32 exec_lo, exec_lo, s40
	s_and_b32 s29, s29, exec_lo
	s_or_saveexec_b32 s12, s12
	v_mov_b32_e32 v49, 0x7f800001
	s_xor_b32 exec_lo, exec_lo, s12
	s_cbranch_execnz .LBB6_7369
.LBB6_6766:                             ;   in Loop: Header=BB6_4858 Depth=2
	s_or_b32 exec_lo, exec_lo, s12
	v_lshl_or_b32 v48, v48, 16, v37
	s_and_saveexec_b32 s12, s29
	s_cbranch_execz .LBB6_6768
.LBB6_6767:                             ;   in Loop: Header=BB6_4858 Depth=2
	v_bfe_u32 v37, v48, 16, 3
	v_bfe_u32 v49, v48, 19, 4
	v_ffbh_u32_e32 v82, v37
	v_cmp_eq_u32_e32 vcc_lo, 0, v49
	v_min_u32_e32 v82, 32, v82
	v_subrev_nc_u32_e32 v83, 28, v82
	v_sub_nc_u32_e32 v82, 29, v82
	v_lshlrev_b32_sdwa v83, v83, v48 dst_sel:DWORD dst_unused:UNUSED_PAD src0_sel:DWORD src1_sel:WORD_1
	v_cndmask_b32_e32 v49, v49, v82, vcc_lo
	v_lshlrev_b32_e32 v82, 8, v48
	v_and_b32_e32 v83, 7, v83
	v_lshl_add_u32 v49, v49, 23, 0x3b800000
	v_and_b32_e32 v82, 0x80000000, v82
	v_cndmask_b32_e32 v37, v37, v83, vcc_lo
	v_lshlrev_b32_e32 v37, 20, v37
	v_or3_b32 v49, v82, v49, v37
.LBB6_6768:                             ;   in Loop: Header=BB6_4858 Depth=2
	s_or_b32 exec_lo, exec_lo, s12
	v_and_b32_sdwa v82, v10, v113 dst_sel:DWORD dst_unused:UNUSED_PAD src0_sel:WORD_1 src1_sel:DWORD
	s_mov_b32 s29, 0
	s_mov_b32 s12, exec_lo
	v_cmpx_lt_i16_e32 0x7f, v82
	s_xor_b32 s12, exec_lo, s12
	s_cbranch_execz .LBB6_7370
; %bb.6769:                             ;   in Loop: Header=BB6_4858 Depth=2
	s_mov_b32 s29, -1
	s_mov_b32 s40, exec_lo
	v_cmpx_eq_u16_e32 0x80, v82
; %bb.6770:                             ;   in Loop: Header=BB6_4858 Depth=2
	s_xor_b32 s29, exec_lo, -1
; %bb.6771:                             ;   in Loop: Header=BB6_4858 Depth=2
	s_or_b32 exec_lo, exec_lo, s40
	s_and_b32 s29, s29, exec_lo
                                        ; implicit-def: $vgpr82
	s_or_saveexec_b32 s12, s12
	v_mov_b32_e32 v37, 0x7f800001
	s_xor_b32 exec_lo, exec_lo, s12
	s_cbranch_execnz .LBB6_7371
.LBB6_6772:                             ;   in Loop: Header=BB6_4858 Depth=2
	s_or_b32 exec_lo, exec_lo, s12
	s_and_saveexec_b32 s12, s29
	s_cbranch_execz .LBB6_6774
.LBB6_6773:                             ;   in Loop: Header=BB6_4858 Depth=2
	v_bfe_u32 v37, v10, 16, 3
	v_bfe_u32 v82, v10, 19, 4
	v_ffbh_u32_e32 v83, v37
	v_cmp_eq_u32_e32 vcc_lo, 0, v82
	v_min_u32_e32 v83, 32, v83
	v_subrev_nc_u32_e32 v84, 28, v83
	v_sub_nc_u32_e32 v83, 29, v83
	v_lshlrev_b32_sdwa v84, v84, v10 dst_sel:DWORD dst_unused:UNUSED_PAD src0_sel:DWORD src1_sel:WORD_1
	v_cndmask_b32_e32 v82, v82, v83, vcc_lo
	v_lshlrev_b32_e32 v83, 8, v10
	v_and_b32_e32 v84, 7, v84
	v_lshl_add_u32 v82, v82, 23, 0x3b800000
	v_and_b32_e32 v83, 0x80000000, v83
	v_cndmask_b32_e32 v37, v37, v84, vcc_lo
	v_lshlrev_b32_e32 v37, 20, v37
	v_or3_b32 v37, v83, v82, v37
.LBB6_6774:                             ;   in Loop: Header=BB6_4858 Depth=2
	s_or_b32 exec_lo, exec_lo, s12
	v_add_f32_e32 v49, v49, v37
	v_and_b32_e32 v37, 0x7f800000, v49
	v_cmp_ne_u32_e32 vcc_lo, 0x7f800000, v37
	v_mov_b32_e32 v37, 0x80
	s_and_saveexec_b32 s29, vcc_lo
	s_cbranch_execz .LBB6_6782
; %bb.6775:                             ;   in Loop: Header=BB6_4858 Depth=2
	v_mov_b32_e32 v37, 0
	s_mov_b32 s40, exec_lo
	v_cmpx_ne_u32_e32 0, v49
	s_cbranch_execz .LBB6_6781
; %bb.6776:                             ;   in Loop: Header=BB6_4858 Depth=2
	v_bfe_u32 v82, v49, 23, 8
	v_and_b32_e32 v37, 0x7fffff, v49
	v_cmp_gt_u32_e64 s12, 0x79, v82
	v_sub_nc_u32_e32 v83, 0x78, v82
	v_cmp_eq_u32_e32 vcc_lo, 0, v82
	v_or_b32_e32 v84, 0x800000, v37
	v_cndmask_b32_e64 v83, 0, v83, s12
	v_cndmask_b32_e32 v37, v84, v37, vcc_lo
	v_cndmask_b32_e64 v83, v83, 0x77, vcc_lo
	v_lshl_add_u32 v84, 0x100000, v83, -1
	v_lshlrev_b32_e64 v61, v83, 0x80000
	v_and_b32_e32 v84, v84, v37
	v_cmp_eq_u32_e64 s12, v84, v61
	v_lshrrev_b32_e32 v84, v83, v37
	v_add_nc_u32_e32 v37, 0xffffff89, v82
	v_lshrrev_b32_e32 v82, 23, v84
	v_cndmask_b32_e64 v37, v37, 0xffffff8a, vcc_lo
	v_xor_b32_e32 v82, 1, v82
	v_add_nc_u32_e32 v37, v83, v37
	v_bfe_u32 v83, v84, 20, 1
	v_add_nc_u32_e32 v83, -1, v83
	v_cndmask_b32_e64 v83, 0, v83, s12
	s_mov_b32 s12, exec_lo
	v_add_nc_u32_e32 v83, v83, v84
	v_and_b32_e32 v83, 0xfffff, v83
	v_add_nc_u32_e32 v83, v83, v84
                                        ; implicit-def: $vgpr84
	v_cmpx_ne_u32_e64 v37, v82
	s_xor_b32 s12, exec_lo, s12
; %bb.6777:                             ;   in Loop: Header=BB6_4858 Depth=2
	v_cmp_lt_u32_e32 vcc_lo, 0xffffff, v83
	v_sub_nc_u32_e32 v37, v37, v82
	v_cndmask_b32_e64 v82, 0, 1, vcc_lo
	v_add_co_ci_u32_e64 v84, null, 0, v37, vcc_lo
	v_lshrrev_b32_e32 v83, v82, v83
; %bb.6778:                             ;   in Loop: Header=BB6_4858 Depth=2
	s_andn2_saveexec_b32 s12, s12
; %bb.6779:                             ;   in Loop: Header=BB6_4858 Depth=2
	v_bfe_u32 v84, v83, 23, 1
; %bb.6780:                             ;   in Loop: Header=BB6_4858 Depth=2
	s_or_b32 exec_lo, exec_lo, s12
	v_and_b32_sdwa v37, v49, v102 dst_sel:DWORD dst_unused:UNUSED_PAD src0_sel:BYTE_3 src1_sel:DWORD
	v_lshrrev_b32_e32 v49, 20, v83
	v_min_i32_e32 v82, 15, v84
	v_cmp_gt_i32_e32 vcc_lo, 16, v84
	v_lshlrev_b32_e32 v82, 3, v82
	v_cndmask_b32_e32 v49, 7, v49, vcc_lo
	v_and_b32_e32 v82, 0xf8, v82
	v_or_b32_e32 v83, v84, v49
	v_and_b32_e32 v49, 7, v49
	v_cmp_ne_u32_e32 vcc_lo, 0, v83
	v_or3_b32 v37, v82, v37, v49
	v_cndmask_b32_e32 v37, 0, v37, vcc_lo
.LBB6_6781:                             ;   in Loop: Header=BB6_4858 Depth=2
	s_or_b32 exec_lo, exec_lo, s40
.LBB6_6782:                             ;   in Loop: Header=BB6_4858 Depth=2
	s_or_b32 exec_lo, exec_lo, s29
	v_cmp_gt_i16_sdwa s29, v48, v101 src0_sel:BYTE_3 src1_sel:DWORD
	s_mov_b32 s12, 0
	s_and_saveexec_b32 s40, s29
	s_xor_b32 s29, exec_lo, s40
	s_cbranch_execz .LBB6_7372
; %bb.6783:                             ;   in Loop: Header=BB6_4858 Depth=2
	v_cmp_eq_u16_sdwa s41, v48, v102 src0_sel:BYTE_3 src1_sel:DWORD
	s_mov_b32 s12, -1
	s_and_saveexec_b32 s40, s41
; %bb.6784:                             ;   in Loop: Header=BB6_4858 Depth=2
	s_xor_b32 s12, exec_lo, -1
; %bb.6785:                             ;   in Loop: Header=BB6_4858 Depth=2
	s_or_b32 exec_lo, exec_lo, s40
	s_and_b32 s12, s12, exec_lo
	s_or_saveexec_b32 s29, s29
	v_mov_b32_e32 v49, 0x7f800001
	s_xor_b32 exec_lo, exec_lo, s29
	s_cbranch_execnz .LBB6_7373
.LBB6_6786:                             ;   in Loop: Header=BB6_4858 Depth=2
	s_or_b32 exec_lo, exec_lo, s29
	s_and_saveexec_b32 s29, s12
	s_cbranch_execz .LBB6_6788
.LBB6_6787:                             ;   in Loop: Header=BB6_4858 Depth=2
	v_bfe_u32 v49, v48, 24, 3
	v_bfe_u32 v84, v48, 27, 4
	v_ffbh_u32_e32 v82, v49
	v_cmp_eq_u32_e32 vcc_lo, 0, v84
	v_min_u32_e32 v82, 32, v82
	v_subrev_nc_u32_e32 v83, 28, v82
	v_sub_nc_u32_e32 v82, 29, v82
	v_lshlrev_b32_sdwa v83, v83, v48 dst_sel:DWORD dst_unused:UNUSED_PAD src0_sel:DWORD src1_sel:BYTE_3
	v_cndmask_b32_e32 v82, v84, v82, vcc_lo
	v_and_b32_e32 v48, 0x80000000, v48
	v_and_b32_e32 v83, 7, v83
	v_lshl_add_u32 v82, v82, 23, 0x3b800000
	v_cndmask_b32_e32 v49, v49, v83, vcc_lo
	v_lshlrev_b32_e32 v49, 20, v49
	v_or3_b32 v49, v48, v82, v49
.LBB6_6788:                             ;   in Loop: Header=BB6_4858 Depth=2
	s_or_b32 exec_lo, exec_lo, s29
	v_cmp_gt_i16_sdwa s29, v10, v101 src0_sel:BYTE_3 src1_sel:DWORD
	s_mov_b32 s12, 0
	s_and_saveexec_b32 s40, s29
	s_xor_b32 s29, exec_lo, s40
	s_cbranch_execz .LBB6_7374
; %bb.6789:                             ;   in Loop: Header=BB6_4858 Depth=2
	v_cmp_eq_u16_sdwa s41, v10, v102 src0_sel:BYTE_3 src1_sel:DWORD
	s_mov_b32 s12, -1
	s_and_saveexec_b32 s40, s41
; %bb.6790:                             ;   in Loop: Header=BB6_4858 Depth=2
	s_xor_b32 s12, exec_lo, -1
; %bb.6791:                             ;   in Loop: Header=BB6_4858 Depth=2
	s_or_b32 exec_lo, exec_lo, s40
	s_and_b32 s12, s12, exec_lo
	s_or_saveexec_b32 s29, s29
	v_mov_b32_e32 v48, 0x7f800001
	s_xor_b32 exec_lo, exec_lo, s29
	s_cbranch_execnz .LBB6_7375
.LBB6_6792:                             ;   in Loop: Header=BB6_4858 Depth=2
	s_or_b32 exec_lo, exec_lo, s29
	s_and_saveexec_b32 s29, s12
	s_cbranch_execz .LBB6_6794
.LBB6_6793:                             ;   in Loop: Header=BB6_4858 Depth=2
	v_bfe_u32 v48, v10, 24, 3
	v_bfe_u32 v84, v10, 27, 4
	v_ffbh_u32_e32 v82, v48
	v_cmp_eq_u32_e32 vcc_lo, 0, v84
	v_min_u32_e32 v82, 32, v82
	v_subrev_nc_u32_e32 v83, 28, v82
	v_sub_nc_u32_e32 v82, 29, v82
	v_lshlrev_b32_sdwa v83, v83, v10 dst_sel:DWORD dst_unused:UNUSED_PAD src0_sel:DWORD src1_sel:BYTE_3
	v_cndmask_b32_e32 v82, v84, v82, vcc_lo
	v_and_b32_e32 v10, 0x80000000, v10
	v_and_b32_e32 v83, 7, v83
	v_lshl_add_u32 v82, v82, 23, 0x3b800000
	v_cndmask_b32_e32 v48, v48, v83, vcc_lo
	v_lshlrev_b32_e32 v48, 20, v48
	v_or3_b32 v48, v10, v82, v48
.LBB6_6794:                             ;   in Loop: Header=BB6_4858 Depth=2
	s_or_b32 exec_lo, exec_lo, s29
	v_add_f32_e32 v48, v49, v48
	v_and_b32_e32 v10, 0x7f800000, v48
	v_cmp_ne_u32_e32 vcc_lo, 0x7f800000, v10
	v_mov_b32_e32 v10, 0x8000
	s_and_saveexec_b32 s29, vcc_lo
	s_cbranch_execz .LBB6_6802
; %bb.6795:                             ;   in Loop: Header=BB6_4858 Depth=2
	v_mov_b32_e32 v10, 0
	s_mov_b32 s40, exec_lo
	v_cmpx_ne_u32_e32 0, v48
	s_cbranch_execz .LBB6_6801
; %bb.6796:                             ;   in Loop: Header=BB6_4858 Depth=2
	v_bfe_u32 v49, v48, 23, 8
	v_and_b32_e32 v10, 0x7fffff, v48
	v_cmp_gt_u32_e64 s12, 0x79, v49
	v_sub_nc_u32_e32 v82, 0x78, v49
	v_cmp_eq_u32_e32 vcc_lo, 0, v49
	v_or_b32_e32 v83, 0x800000, v10
	v_cndmask_b32_e64 v82, 0, v82, s12
	v_cndmask_b32_e32 v10, v83, v10, vcc_lo
	v_cndmask_b32_e64 v82, v82, 0x77, vcc_lo
	v_lshl_add_u32 v83, 0x100000, v82, -1
	v_lshlrev_b32_e64 v84, v82, 0x80000
	v_and_b32_e32 v83, v83, v10
	v_cmp_eq_u32_e64 s12, v83, v84
	v_lshrrev_b32_e32 v83, v82, v10
	v_add_nc_u32_e32 v10, 0xffffff89, v49
	v_lshrrev_b32_e32 v49, 23, v83
	v_cndmask_b32_e64 v10, v10, 0xffffff8a, vcc_lo
	v_xor_b32_e32 v49, 1, v49
	v_add_nc_u32_e32 v10, v82, v10
	v_bfe_u32 v82, v83, 20, 1
	v_add_nc_u32_e32 v82, -1, v82
	v_cndmask_b32_e64 v82, 0, v82, s12
	s_mov_b32 s12, exec_lo
	v_add_nc_u32_e32 v82, v82, v83
	v_and_b32_e32 v82, 0xfffff, v82
	v_add_nc_u32_e32 v82, v82, v83
                                        ; implicit-def: $vgpr83
	v_cmpx_ne_u32_e64 v10, v49
	s_xor_b32 s12, exec_lo, s12
; %bb.6797:                             ;   in Loop: Header=BB6_4858 Depth=2
	v_cmp_lt_u32_e32 vcc_lo, 0xffffff, v82
	v_sub_nc_u32_e32 v10, v10, v49
	v_cndmask_b32_e64 v49, 0, 1, vcc_lo
	v_add_co_ci_u32_e64 v83, null, 0, v10, vcc_lo
	v_lshrrev_b32_e32 v82, v49, v82
; %bb.6798:                             ;   in Loop: Header=BB6_4858 Depth=2
	s_andn2_saveexec_b32 s12, s12
; %bb.6799:                             ;   in Loop: Header=BB6_4858 Depth=2
	v_bfe_u32 v83, v82, 23, 1
; %bb.6800:                             ;   in Loop: Header=BB6_4858 Depth=2
	s_or_b32 exec_lo, exec_lo, s12
	v_and_b32_sdwa v10, v48, v102 dst_sel:DWORD dst_unused:UNUSED_PAD src0_sel:BYTE_3 src1_sel:DWORD
	v_lshrrev_b32_e32 v48, 20, v82
	v_min_i32_e32 v49, 15, v83
	v_cmp_gt_i32_e32 vcc_lo, 16, v83
	v_lshlrev_b32_e32 v49, 3, v49
	v_cndmask_b32_e32 v48, 7, v48, vcc_lo
	v_and_b32_e32 v49, 0xf8, v49
	v_or_b32_e32 v82, v83, v48
	v_and_b32_e32 v48, 7, v48
	v_cmp_ne_u32_e32 vcc_lo, 0, v82
	v_or3_b32 v10, v10, v49, v48
	v_lshlrev_b32_e32 v10, 8, v10
	v_cndmask_b32_e32 v10, 0, v10, vcc_lo
.LBB6_6801:                             ;   in Loop: Header=BB6_4858 Depth=2
	s_or_b32 exec_lo, exec_lo, s40
.LBB6_6802:                             ;   in Loop: Header=BB6_4858 Depth=2
	s_or_b32 exec_lo, exec_lo, s29
	v_or_b32_e32 v82, v59, v58
	s_mov_b32 s29, 0
	v_cmp_gt_i16_sdwa s12, v82, v101 src0_sel:BYTE_0 src1_sel:DWORD
	s_and_saveexec_b32 s40, s12
	s_xor_b32 s12, exec_lo, s40
	s_cbranch_execz .LBB6_7376
; %bb.6803:                             ;   in Loop: Header=BB6_4858 Depth=2
	v_cmp_eq_u16_sdwa s41, v82, v102 src0_sel:BYTE_0 src1_sel:DWORD
	s_mov_b32 s29, -1
	s_and_saveexec_b32 s40, s41
; %bb.6804:                             ;   in Loop: Header=BB6_4858 Depth=2
	s_xor_b32 s29, exec_lo, -1
; %bb.6805:                             ;   in Loop: Header=BB6_4858 Depth=2
	s_or_b32 exec_lo, exec_lo, s40
	s_and_b32 s29, s29, exec_lo
	s_or_saveexec_b32 s12, s12
	v_mov_b32_e32 v48, 0x7f800001
	s_xor_b32 exec_lo, exec_lo, s12
	s_cbranch_execnz .LBB6_7377
.LBB6_6806:                             ;   in Loop: Header=BB6_4858 Depth=2
	s_or_b32 exec_lo, exec_lo, s12
	s_and_saveexec_b32 s12, s29
	s_cbranch_execz .LBB6_6808
.LBB6_6807:                             ;   in Loop: Header=BB6_4858 Depth=2
	v_and_b32_e32 v48, 7, v82
	v_bfe_u32 v49, v82, 3, 4
	v_ffbh_u32_e32 v83, v48
	v_cmp_eq_u32_e32 vcc_lo, 0, v49
	v_min_u32_e32 v83, 32, v83
	v_subrev_nc_u32_e32 v84, 28, v83
	v_sub_nc_u32_e32 v83, 29, v83
	v_lshlrev_b32_e32 v84, v84, v82
	v_cndmask_b32_e32 v49, v49, v83, vcc_lo
	v_lshlrev_b32_e32 v83, 24, v82
	v_and_b32_e32 v84, 7, v84
	v_lshl_add_u32 v49, v49, 23, 0x3b800000
	v_and_b32_e32 v83, 0x80000000, v83
	v_cndmask_b32_e32 v48, v48, v84, vcc_lo
	v_lshlrev_b32_e32 v48, 20, v48
	v_or3_b32 v48, v83, v49, v48
.LBB6_6808:                             ;   in Loop: Header=BB6_4858 Depth=2
	s_or_b32 exec_lo, exec_lo, s12
	v_cmp_gt_i16_sdwa s12, v11, v101 src0_sel:BYTE_0 src1_sel:DWORD
	s_mov_b32 s29, 0
	s_and_saveexec_b32 s40, s12
	s_xor_b32 s12, exec_lo, s40
	s_cbranch_execz .LBB6_7378
; %bb.6809:                             ;   in Loop: Header=BB6_4858 Depth=2
	v_cmp_eq_u16_sdwa s41, v11, v102 src0_sel:BYTE_0 src1_sel:DWORD
	s_mov_b32 s29, -1
	s_and_saveexec_b32 s40, s41
; %bb.6810:                             ;   in Loop: Header=BB6_4858 Depth=2
	s_xor_b32 s29, exec_lo, -1
; %bb.6811:                             ;   in Loop: Header=BB6_4858 Depth=2
	s_or_b32 exec_lo, exec_lo, s40
	s_and_b32 s29, s29, exec_lo
	s_or_saveexec_b32 s12, s12
	v_mov_b32_e32 v49, 0x7f800001
	s_xor_b32 exec_lo, exec_lo, s12
	s_cbranch_execnz .LBB6_7379
.LBB6_6812:                             ;   in Loop: Header=BB6_4858 Depth=2
	s_or_b32 exec_lo, exec_lo, s12
	s_and_saveexec_b32 s12, s29
	s_cbranch_execz .LBB6_6814
.LBB6_6813:                             ;   in Loop: Header=BB6_4858 Depth=2
	v_and_b32_e32 v49, 7, v11
	v_bfe_u32 v83, v11, 3, 4
	v_ffbh_u32_e32 v84, v49
	v_cmp_eq_u32_e32 vcc_lo, 0, v83
	v_min_u32_e32 v84, 32, v84
	v_subrev_nc_u32_e32 v58, 28, v84
	v_sub_nc_u32_e32 v84, 29, v84
	v_lshlrev_b32_e32 v58, v58, v11
	v_cndmask_b32_e32 v83, v83, v84, vcc_lo
	v_lshlrev_b32_e32 v84, 24, v11
	v_and_b32_e32 v58, 7, v58
	v_lshl_add_u32 v83, v83, 23, 0x3b800000
	v_and_b32_e32 v84, 0x80000000, v84
	v_cndmask_b32_e32 v49, v49, v58, vcc_lo
	v_lshlrev_b32_e32 v49, 20, v49
	v_or3_b32 v49, v84, v83, v49
.LBB6_6814:                             ;   in Loop: Header=BB6_4858 Depth=2
	s_or_b32 exec_lo, exec_lo, s12
	v_add_f32_e32 v49, v48, v49
	v_and_b32_e32 v48, 0x7f800000, v49
	v_cmp_ne_u32_e32 vcc_lo, 0x7f800000, v48
	v_mov_b32_e32 v48, 0x80
	s_and_saveexec_b32 s29, vcc_lo
	s_cbranch_execz .LBB6_6822
; %bb.6815:                             ;   in Loop: Header=BB6_4858 Depth=2
	v_mov_b32_e32 v48, 0
	s_mov_b32 s40, exec_lo
	v_cmpx_ne_u32_e32 0, v49
	s_cbranch_execz .LBB6_6821
; %bb.6816:                             ;   in Loop: Header=BB6_4858 Depth=2
	v_bfe_u32 v83, v49, 23, 8
	v_and_b32_e32 v48, 0x7fffff, v49
	v_cmp_gt_u32_e64 s12, 0x79, v83
	v_sub_nc_u32_e32 v84, 0x78, v83
	v_cmp_eq_u32_e32 vcc_lo, 0, v83
	v_or_b32_e32 v58, 0x800000, v48
	v_cndmask_b32_e64 v84, 0, v84, s12
	v_cndmask_b32_e32 v48, v58, v48, vcc_lo
	v_cndmask_b32_e64 v84, v84, 0x77, vcc_lo
	v_lshl_add_u32 v58, 0x100000, v84, -1
	v_lshlrev_b32_e64 v59, v84, 0x80000
	v_and_b32_e32 v58, v58, v48
	v_cmp_eq_u32_e64 s12, v58, v59
	v_lshrrev_b32_e32 v58, v84, v48
	v_add_nc_u32_e32 v48, 0xffffff89, v83
	v_lshrrev_b32_e32 v83, 23, v58
	v_cndmask_b32_e64 v48, v48, 0xffffff8a, vcc_lo
	v_xor_b32_e32 v83, 1, v83
	v_add_nc_u32_e32 v48, v84, v48
	v_bfe_u32 v84, v58, 20, 1
	v_add_nc_u32_e32 v84, -1, v84
	v_cndmask_b32_e64 v84, 0, v84, s12
	s_mov_b32 s12, exec_lo
	v_add_nc_u32_e32 v84, v84, v58
	v_and_b32_e32 v84, 0xfffff, v84
	v_add_nc_u32_e32 v84, v84, v58
                                        ; implicit-def: $vgpr58
	v_cmpx_ne_u32_e64 v48, v83
	s_xor_b32 s12, exec_lo, s12
; %bb.6817:                             ;   in Loop: Header=BB6_4858 Depth=2
	v_cmp_lt_u32_e32 vcc_lo, 0xffffff, v84
	v_sub_nc_u32_e32 v48, v48, v83
	v_cndmask_b32_e64 v83, 0, 1, vcc_lo
	v_add_co_ci_u32_e64 v58, null, 0, v48, vcc_lo
	v_lshrrev_b32_e32 v84, v83, v84
; %bb.6818:                             ;   in Loop: Header=BB6_4858 Depth=2
	s_andn2_saveexec_b32 s12, s12
; %bb.6819:                             ;   in Loop: Header=BB6_4858 Depth=2
	v_bfe_u32 v58, v84, 23, 1
; %bb.6820:                             ;   in Loop: Header=BB6_4858 Depth=2
	s_or_b32 exec_lo, exec_lo, s12
	v_and_b32_sdwa v48, v49, v102 dst_sel:DWORD dst_unused:UNUSED_PAD src0_sel:BYTE_3 src1_sel:DWORD
	v_lshrrev_b32_e32 v49, 20, v84
	v_min_i32_e32 v83, 15, v58
	v_cmp_gt_i32_e32 vcc_lo, 16, v58
	v_lshlrev_b32_e32 v83, 3, v83
	v_cndmask_b32_e32 v49, 7, v49, vcc_lo
	v_and_b32_e32 v83, 0xf8, v83
	v_or_b32_e32 v84, v58, v49
	v_and_b32_e32 v49, 7, v49
	v_cmp_ne_u32_e32 vcc_lo, 0, v84
	v_or3_b32 v48, v83, v48, v49
	v_cndmask_b32_e32 v48, 0, v48, vcc_lo
.LBB6_6821:                             ;   in Loop: Header=BB6_4858 Depth=2
	s_or_b32 exec_lo, exec_lo, s40
.LBB6_6822:                             ;   in Loop: Header=BB6_4858 Depth=2
	s_or_b32 exec_lo, exec_lo, s29
	v_cmp_gt_i16_sdwa s29, v82, v101 src0_sel:BYTE_1 src1_sel:DWORD
	s_mov_b32 s12, 0
	s_and_saveexec_b32 s40, s29
	s_xor_b32 s29, exec_lo, s40
	s_cbranch_execz .LBB6_7380
; %bb.6823:                             ;   in Loop: Header=BB6_4858 Depth=2
	v_cmp_eq_u16_sdwa s41, v82, v102 src0_sel:BYTE_1 src1_sel:DWORD
	s_mov_b32 s12, -1
	s_and_saveexec_b32 s40, s41
; %bb.6824:                             ;   in Loop: Header=BB6_4858 Depth=2
	s_xor_b32 s12, exec_lo, -1
; %bb.6825:                             ;   in Loop: Header=BB6_4858 Depth=2
	s_or_b32 exec_lo, exec_lo, s40
	s_and_b32 s12, s12, exec_lo
	s_or_saveexec_b32 s29, s29
	v_mov_b32_e32 v49, 0x7f800001
	s_xor_b32 exec_lo, exec_lo, s29
	s_cbranch_execnz .LBB6_7381
.LBB6_6826:                             ;   in Loop: Header=BB6_4858 Depth=2
	s_or_b32 exec_lo, exec_lo, s29
	s_and_saveexec_b32 s29, s12
	s_cbranch_execz .LBB6_6828
.LBB6_6827:                             ;   in Loop: Header=BB6_4858 Depth=2
	v_and_b32_sdwa v49, v103, v82 dst_sel:DWORD dst_unused:UNUSED_PAD src0_sel:DWORD src1_sel:BYTE_1
	v_and_b32_e32 v83, 7, v49
	v_bfe_u32 v59, v49, 3, 4
	v_ffbh_u32_e32 v84, v83
	v_cmp_eq_u32_e32 vcc_lo, 0, v59
	v_min_u32_e32 v84, 32, v84
	v_subrev_nc_u32_e32 v58, 28, v84
	v_sub_nc_u32_e32 v84, 29, v84
	v_lshlrev_b32_e32 v49, v58, v49
	v_lshlrev_b32_sdwa v58, v112, v82 dst_sel:DWORD dst_unused:UNUSED_PAD src0_sel:DWORD src1_sel:BYTE_1
	v_cndmask_b32_e32 v84, v59, v84, vcc_lo
	v_and_b32_e32 v49, 7, v49
	v_lshl_add_u32 v84, v84, 23, 0x3b800000
	v_cndmask_b32_e32 v49, v83, v49, vcc_lo
	v_and_b32_e32 v83, 0x80000000, v58
	v_lshlrev_b32_e32 v49, 20, v49
	v_or3_b32 v49, v83, v84, v49
.LBB6_6828:                             ;   in Loop: Header=BB6_4858 Depth=2
	s_or_b32 exec_lo, exec_lo, s29
	v_cmp_gt_i16_sdwa s29, v11, v101 src0_sel:BYTE_1 src1_sel:DWORD
	s_mov_b32 s12, 0
	s_and_saveexec_b32 s40, s29
	s_xor_b32 s29, exec_lo, s40
	s_cbranch_execz .LBB6_7382
; %bb.6829:                             ;   in Loop: Header=BB6_4858 Depth=2
	v_cmp_eq_u16_sdwa s41, v11, v102 src0_sel:BYTE_1 src1_sel:DWORD
	s_mov_b32 s12, -1
	s_and_saveexec_b32 s40, s41
; %bb.6830:                             ;   in Loop: Header=BB6_4858 Depth=2
	s_xor_b32 s12, exec_lo, -1
; %bb.6831:                             ;   in Loop: Header=BB6_4858 Depth=2
	s_or_b32 exec_lo, exec_lo, s40
	s_and_b32 s12, s12, exec_lo
	s_or_saveexec_b32 s29, s29
	v_mov_b32_e32 v83, 0x7f800001
	s_xor_b32 exec_lo, exec_lo, s29
	s_cbranch_execnz .LBB6_7383
.LBB6_6832:                             ;   in Loop: Header=BB6_4858 Depth=2
	s_or_b32 exec_lo, exec_lo, s29
	s_and_saveexec_b32 s29, s12
	s_cbranch_execz .LBB6_6834
.LBB6_6833:                             ;   in Loop: Header=BB6_4858 Depth=2
	v_and_b32_sdwa v83, v103, v11 dst_sel:DWORD dst_unused:UNUSED_PAD src0_sel:DWORD src1_sel:BYTE_1
	v_and_b32_e32 v84, 7, v83
	v_bfe_u32 v61, v83, 3, 4
	v_ffbh_u32_e32 v58, v84
	v_cmp_eq_u32_e32 vcc_lo, 0, v61
	v_min_u32_e32 v58, 32, v58
	v_subrev_nc_u32_e32 v59, 28, v58
	v_sub_nc_u32_e32 v58, 29, v58
	v_lshlrev_b32_e32 v83, v59, v83
	v_lshlrev_b32_sdwa v59, v112, v11 dst_sel:DWORD dst_unused:UNUSED_PAD src0_sel:DWORD src1_sel:BYTE_1
	v_cndmask_b32_e32 v58, v61, v58, vcc_lo
	v_and_b32_e32 v83, 7, v83
	v_lshl_add_u32 v58, v58, 23, 0x3b800000
	v_cndmask_b32_e32 v83, v84, v83, vcc_lo
	v_and_b32_e32 v84, 0x80000000, v59
	v_lshlrev_b32_e32 v83, 20, v83
	v_or3_b32 v83, v84, v58, v83
.LBB6_6834:                             ;   in Loop: Header=BB6_4858 Depth=2
	s_or_b32 exec_lo, exec_lo, s29
	v_add_f32_e32 v83, v49, v83
	v_and_b32_e32 v49, 0x7f800000, v83
	v_cmp_ne_u32_e32 vcc_lo, 0x7f800000, v49
	v_mov_b32_e32 v49, 0x8000
	s_and_saveexec_b32 s29, vcc_lo
	s_cbranch_execz .LBB6_6842
; %bb.6835:                             ;   in Loop: Header=BB6_4858 Depth=2
	v_mov_b32_e32 v49, 0
	s_mov_b32 s40, exec_lo
	v_cmpx_ne_u32_e32 0, v83
	s_cbranch_execz .LBB6_6841
; %bb.6836:                             ;   in Loop: Header=BB6_4858 Depth=2
	v_bfe_u32 v84, v83, 23, 8
	v_and_b32_e32 v49, 0x7fffff, v83
	v_cmp_gt_u32_e64 s12, 0x79, v84
	v_sub_nc_u32_e32 v58, 0x78, v84
	v_cmp_eq_u32_e32 vcc_lo, 0, v84
	v_or_b32_e32 v59, 0x800000, v49
	v_cndmask_b32_e64 v58, 0, v58, s12
	v_cndmask_b32_e32 v49, v59, v49, vcc_lo
	v_cndmask_b32_e64 v58, v58, 0x77, vcc_lo
	v_lshl_add_u32 v59, 0x100000, v58, -1
	v_lshlrev_b32_e64 v61, v58, 0x80000
	v_and_b32_e32 v59, v59, v49
	v_cmp_eq_u32_e64 s12, v59, v61
	v_lshrrev_b32_e32 v59, v58, v49
	v_add_nc_u32_e32 v49, 0xffffff89, v84
	v_lshrrev_b32_e32 v84, 23, v59
	v_cndmask_b32_e64 v49, v49, 0xffffff8a, vcc_lo
	v_xor_b32_e32 v84, 1, v84
	v_add_nc_u32_e32 v49, v58, v49
	v_bfe_u32 v58, v59, 20, 1
	v_add_nc_u32_e32 v58, -1, v58
	v_cndmask_b32_e64 v58, 0, v58, s12
	s_mov_b32 s12, exec_lo
	v_add_nc_u32_e32 v58, v58, v59
	v_and_b32_e32 v58, 0xfffff, v58
	v_add_nc_u32_e32 v58, v58, v59
                                        ; implicit-def: $vgpr59
	v_cmpx_ne_u32_e64 v49, v84
	s_xor_b32 s12, exec_lo, s12
; %bb.6837:                             ;   in Loop: Header=BB6_4858 Depth=2
	v_cmp_lt_u32_e32 vcc_lo, 0xffffff, v58
	v_sub_nc_u32_e32 v49, v49, v84
	v_cndmask_b32_e64 v84, 0, 1, vcc_lo
	v_add_co_ci_u32_e64 v59, null, 0, v49, vcc_lo
	v_lshrrev_b32_e32 v58, v84, v58
; %bb.6838:                             ;   in Loop: Header=BB6_4858 Depth=2
	s_andn2_saveexec_b32 s12, s12
; %bb.6839:                             ;   in Loop: Header=BB6_4858 Depth=2
	v_bfe_u32 v59, v58, 23, 1
; %bb.6840:                             ;   in Loop: Header=BB6_4858 Depth=2
	s_or_b32 exec_lo, exec_lo, s12
	v_and_b32_sdwa v49, v83, v102 dst_sel:DWORD dst_unused:UNUSED_PAD src0_sel:BYTE_3 src1_sel:DWORD
	v_lshrrev_b32_e32 v83, 20, v58
	v_min_i32_e32 v84, 15, v59
	v_cmp_gt_i32_e32 vcc_lo, 16, v59
	v_lshlrev_b32_e32 v84, 3, v84
	v_cndmask_b32_e32 v83, 7, v83, vcc_lo
	v_and_b32_e32 v84, 0xf8, v84
	v_or_b32_e32 v58, v59, v83
	v_and_b32_e32 v83, 7, v83
	v_cmp_ne_u32_e32 vcc_lo, 0, v58
	v_or3_b32 v49, v49, v84, v83
	v_lshlrev_b32_e32 v49, 8, v49
	v_cndmask_b32_e32 v49, 0, v49, vcc_lo
.LBB6_6841:                             ;   in Loop: Header=BB6_4858 Depth=2
	s_or_b32 exec_lo, exec_lo, s40
.LBB6_6842:                             ;   in Loop: Header=BB6_4858 Depth=2
	s_or_b32 exec_lo, exec_lo, s29
	v_or_b32_e32 v83, v56, v47
	s_mov_b32 s29, 0
	v_cmp_gt_i16_sdwa s12, v83, v101 src0_sel:BYTE_0 src1_sel:DWORD
	s_and_saveexec_b32 s40, s12
	s_xor_b32 s12, exec_lo, s40
	s_cbranch_execz .LBB6_7384
; %bb.6843:                             ;   in Loop: Header=BB6_4858 Depth=2
	v_cmp_eq_u16_sdwa s41, v83, v102 src0_sel:BYTE_0 src1_sel:DWORD
	s_mov_b32 s29, -1
	s_and_saveexec_b32 s40, s41
; %bb.6844:                             ;   in Loop: Header=BB6_4858 Depth=2
	s_xor_b32 s29, exec_lo, -1
; %bb.6845:                             ;   in Loop: Header=BB6_4858 Depth=2
	s_or_b32 exec_lo, exec_lo, s40
	s_and_b32 s29, s29, exec_lo
	s_or_saveexec_b32 s12, s12
	v_mov_b32_e32 v84, 0x7f800001
	s_xor_b32 exec_lo, exec_lo, s12
	s_cbranch_execnz .LBB6_7385
.LBB6_6846:                             ;   in Loop: Header=BB6_4858 Depth=2
	s_or_b32 exec_lo, exec_lo, s12
	v_lshl_or_b32 v83, v83, 16, v82
	s_and_saveexec_b32 s12, s29
	s_cbranch_execz .LBB6_6848
.LBB6_6847:                             ;   in Loop: Header=BB6_4858 Depth=2
	v_bfe_u32 v82, v83, 16, 3
	v_bfe_u32 v84, v83, 19, 4
	v_ffbh_u32_e32 v47, v82
	v_cmp_eq_u32_e32 vcc_lo, 0, v84
	v_min_u32_e32 v47, 32, v47
	v_subrev_nc_u32_e32 v56, 28, v47
	v_sub_nc_u32_e32 v47, 29, v47
	v_lshlrev_b32_sdwa v56, v56, v83 dst_sel:DWORD dst_unused:UNUSED_PAD src0_sel:DWORD src1_sel:WORD_1
	v_cndmask_b32_e32 v84, v84, v47, vcc_lo
	v_lshlrev_b32_e32 v47, 8, v83
	v_and_b32_e32 v56, 7, v56
	v_lshl_add_u32 v84, v84, 23, 0x3b800000
	v_and_b32_e32 v47, 0x80000000, v47
	v_cndmask_b32_e32 v82, v82, v56, vcc_lo
	v_lshlrev_b32_e32 v82, 20, v82
	v_or3_b32 v84, v47, v84, v82
.LBB6_6848:                             ;   in Loop: Header=BB6_4858 Depth=2
	s_or_b32 exec_lo, exec_lo, s12
	v_and_b32_sdwa v47, v11, v113 dst_sel:DWORD dst_unused:UNUSED_PAD src0_sel:WORD_1 src1_sel:DWORD
	s_mov_b32 s29, 0
	s_mov_b32 s12, exec_lo
	v_cmpx_lt_i16_e32 0x7f, v47
	s_xor_b32 s12, exec_lo, s12
	s_cbranch_execz .LBB6_7386
; %bb.6849:                             ;   in Loop: Header=BB6_4858 Depth=2
	s_mov_b32 s29, -1
	s_mov_b32 s40, exec_lo
	v_cmpx_eq_u16_e32 0x80, v47
; %bb.6850:                             ;   in Loop: Header=BB6_4858 Depth=2
	s_xor_b32 s29, exec_lo, -1
; %bb.6851:                             ;   in Loop: Header=BB6_4858 Depth=2
	s_or_b32 exec_lo, exec_lo, s40
	s_and_b32 s29, s29, exec_lo
                                        ; implicit-def: $vgpr47
	s_or_saveexec_b32 s12, s12
	v_mov_b32_e32 v82, 0x7f800001
	s_xor_b32 exec_lo, exec_lo, s12
	s_cbranch_execnz .LBB6_7387
.LBB6_6852:                             ;   in Loop: Header=BB6_4858 Depth=2
	s_or_b32 exec_lo, exec_lo, s12
	s_and_saveexec_b32 s12, s29
	s_cbranch_execz .LBB6_6854
.LBB6_6853:                             ;   in Loop: Header=BB6_4858 Depth=2
	v_bfe_u32 v82, v11, 16, 3
	v_bfe_u32 v47, v11, 19, 4
	v_ffbh_u32_e32 v56, v82
	v_cmp_eq_u32_e32 vcc_lo, 0, v47
	v_min_u32_e32 v56, 32, v56
	v_subrev_nc_u32_e32 v58, 28, v56
	v_sub_nc_u32_e32 v56, 29, v56
	v_lshlrev_b32_sdwa v58, v58, v11 dst_sel:DWORD dst_unused:UNUSED_PAD src0_sel:DWORD src1_sel:WORD_1
	v_cndmask_b32_e32 v47, v47, v56, vcc_lo
	v_lshlrev_b32_e32 v56, 8, v11
	v_and_b32_e32 v58, 7, v58
	v_lshl_add_u32 v47, v47, 23, 0x3b800000
	v_and_b32_e32 v56, 0x80000000, v56
	v_cndmask_b32_e32 v82, v82, v58, vcc_lo
	v_lshlrev_b32_e32 v82, 20, v82
	v_or3_b32 v82, v56, v47, v82
.LBB6_6854:                             ;   in Loop: Header=BB6_4858 Depth=2
	s_or_b32 exec_lo, exec_lo, s12
	v_add_f32_e32 v84, v84, v82
	v_and_b32_e32 v82, 0x7f800000, v84
	v_cmp_ne_u32_e32 vcc_lo, 0x7f800000, v82
	v_mov_b32_e32 v82, 0x80
	s_and_saveexec_b32 s29, vcc_lo
	s_cbranch_execz .LBB6_6862
; %bb.6855:                             ;   in Loop: Header=BB6_4858 Depth=2
	v_mov_b32_e32 v82, 0
	s_mov_b32 s40, exec_lo
	v_cmpx_ne_u32_e32 0, v84
	s_cbranch_execz .LBB6_6861
; %bb.6856:                             ;   in Loop: Header=BB6_4858 Depth=2
	v_bfe_u32 v47, v84, 23, 8
	v_and_b32_e32 v82, 0x7fffff, v84
	v_cmp_gt_u32_e64 s12, 0x79, v47
	v_sub_nc_u32_e32 v56, 0x78, v47
	v_cmp_eq_u32_e32 vcc_lo, 0, v47
	v_or_b32_e32 v58, 0x800000, v82
	v_cndmask_b32_e64 v56, 0, v56, s12
	v_cndmask_b32_e32 v82, v58, v82, vcc_lo
	v_cndmask_b32_e64 v56, v56, 0x77, vcc_lo
	v_lshl_add_u32 v58, 0x100000, v56, -1
	v_lshlrev_b32_e64 v59, v56, 0x80000
	v_and_b32_e32 v58, v58, v82
	v_cmp_eq_u32_e64 s12, v58, v59
	v_lshrrev_b32_e32 v58, v56, v82
	v_add_nc_u32_e32 v82, 0xffffff89, v47
	v_lshrrev_b32_e32 v47, 23, v58
	v_cndmask_b32_e64 v82, v82, 0xffffff8a, vcc_lo
	v_xor_b32_e32 v47, 1, v47
	v_add_nc_u32_e32 v82, v56, v82
	v_bfe_u32 v56, v58, 20, 1
	v_add_nc_u32_e32 v56, -1, v56
	v_cndmask_b32_e64 v56, 0, v56, s12
	s_mov_b32 s12, exec_lo
	v_add_nc_u32_e32 v56, v56, v58
	v_and_b32_e32 v56, 0xfffff, v56
	v_add_nc_u32_e32 v56, v56, v58
                                        ; implicit-def: $vgpr58
	v_cmpx_ne_u32_e64 v82, v47
	s_xor_b32 s12, exec_lo, s12
; %bb.6857:                             ;   in Loop: Header=BB6_4858 Depth=2
	v_cmp_lt_u32_e32 vcc_lo, 0xffffff, v56
	v_sub_nc_u32_e32 v82, v82, v47
	v_cndmask_b32_e64 v47, 0, 1, vcc_lo
	v_add_co_ci_u32_e64 v58, null, 0, v82, vcc_lo
	v_lshrrev_b32_e32 v56, v47, v56
; %bb.6858:                             ;   in Loop: Header=BB6_4858 Depth=2
	s_andn2_saveexec_b32 s12, s12
; %bb.6859:                             ;   in Loop: Header=BB6_4858 Depth=2
	v_bfe_u32 v58, v56, 23, 1
; %bb.6860:                             ;   in Loop: Header=BB6_4858 Depth=2
	s_or_b32 exec_lo, exec_lo, s12
	v_and_b32_sdwa v82, v84, v102 dst_sel:DWORD dst_unused:UNUSED_PAD src0_sel:BYTE_3 src1_sel:DWORD
	v_lshrrev_b32_e32 v84, 20, v56
	v_min_i32_e32 v47, 15, v58
	v_cmp_gt_i32_e32 vcc_lo, 16, v58
	v_lshlrev_b32_e32 v47, 3, v47
	v_cndmask_b32_e32 v84, 7, v84, vcc_lo
	v_and_b32_e32 v47, 0xf8, v47
	v_or_b32_e32 v56, v58, v84
	v_and_b32_e32 v84, 7, v84
	v_cmp_ne_u32_e32 vcc_lo, 0, v56
	v_or3_b32 v82, v47, v82, v84
	v_cndmask_b32_e32 v82, 0, v82, vcc_lo
.LBB6_6861:                             ;   in Loop: Header=BB6_4858 Depth=2
	s_or_b32 exec_lo, exec_lo, s40
.LBB6_6862:                             ;   in Loop: Header=BB6_4858 Depth=2
	s_or_b32 exec_lo, exec_lo, s29
	v_cmp_gt_i16_sdwa s29, v83, v101 src0_sel:BYTE_3 src1_sel:DWORD
	s_mov_b32 s12, 0
	s_and_saveexec_b32 s40, s29
	s_xor_b32 s29, exec_lo, s40
	s_cbranch_execz .LBB6_7388
; %bb.6863:                             ;   in Loop: Header=BB6_4858 Depth=2
	v_cmp_eq_u16_sdwa s41, v83, v102 src0_sel:BYTE_3 src1_sel:DWORD
	s_mov_b32 s12, -1
	s_and_saveexec_b32 s40, s41
; %bb.6864:                             ;   in Loop: Header=BB6_4858 Depth=2
	s_xor_b32 s12, exec_lo, -1
; %bb.6865:                             ;   in Loop: Header=BB6_4858 Depth=2
	s_or_b32 exec_lo, exec_lo, s40
	s_and_b32 s12, s12, exec_lo
	s_or_saveexec_b32 s29, s29
	v_mov_b32_e32 v84, 0x7f800001
	s_xor_b32 exec_lo, exec_lo, s29
	s_cbranch_execnz .LBB6_7389
.LBB6_6866:                             ;   in Loop: Header=BB6_4858 Depth=2
	s_or_b32 exec_lo, exec_lo, s29
	s_and_saveexec_b32 s29, s12
	s_cbranch_execz .LBB6_6868
.LBB6_6867:                             ;   in Loop: Header=BB6_4858 Depth=2
	v_bfe_u32 v84, v83, 24, 3
	v_bfe_u32 v58, v83, 27, 4
	v_ffbh_u32_e32 v47, v84
	v_cmp_eq_u32_e32 vcc_lo, 0, v58
	v_min_u32_e32 v47, 32, v47
	v_subrev_nc_u32_e32 v56, 28, v47
	v_sub_nc_u32_e32 v47, 29, v47
	v_lshlrev_b32_sdwa v56, v56, v83 dst_sel:DWORD dst_unused:UNUSED_PAD src0_sel:DWORD src1_sel:BYTE_3
	v_cndmask_b32_e32 v47, v58, v47, vcc_lo
	v_and_b32_e32 v83, 0x80000000, v83
	v_and_b32_e32 v56, 7, v56
	v_lshl_add_u32 v47, v47, 23, 0x3b800000
	v_cndmask_b32_e32 v84, v84, v56, vcc_lo
	v_lshlrev_b32_e32 v84, 20, v84
	v_or3_b32 v84, v83, v47, v84
.LBB6_6868:                             ;   in Loop: Header=BB6_4858 Depth=2
	s_or_b32 exec_lo, exec_lo, s29
	v_cmp_gt_i16_sdwa s29, v11, v101 src0_sel:BYTE_3 src1_sel:DWORD
	s_mov_b32 s12, 0
	s_and_saveexec_b32 s40, s29
	s_xor_b32 s29, exec_lo, s40
	s_cbranch_execz .LBB6_7390
; %bb.6869:                             ;   in Loop: Header=BB6_4858 Depth=2
	v_cmp_eq_u16_sdwa s41, v11, v102 src0_sel:BYTE_3 src1_sel:DWORD
	s_mov_b32 s12, -1
	s_and_saveexec_b32 s40, s41
; %bb.6870:                             ;   in Loop: Header=BB6_4858 Depth=2
	s_xor_b32 s12, exec_lo, -1
; %bb.6871:                             ;   in Loop: Header=BB6_4858 Depth=2
	s_or_b32 exec_lo, exec_lo, s40
	s_and_b32 s12, s12, exec_lo
	s_or_saveexec_b32 s29, s29
	v_mov_b32_e32 v83, 0x7f800001
	s_xor_b32 exec_lo, exec_lo, s29
	s_cbranch_execnz .LBB6_7391
.LBB6_6872:                             ;   in Loop: Header=BB6_4858 Depth=2
	s_or_b32 exec_lo, exec_lo, s29
	s_and_saveexec_b32 s29, s12
	s_cbranch_execz .LBB6_6874
.LBB6_6873:                             ;   in Loop: Header=BB6_4858 Depth=2
	v_bfe_u32 v83, v11, 24, 3
	v_bfe_u32 v58, v11, 27, 4
	v_ffbh_u32_e32 v47, v83
	v_cmp_eq_u32_e32 vcc_lo, 0, v58
	v_min_u32_e32 v47, 32, v47
	v_subrev_nc_u32_e32 v56, 28, v47
	v_sub_nc_u32_e32 v47, 29, v47
	v_lshlrev_b32_sdwa v56, v56, v11 dst_sel:DWORD dst_unused:UNUSED_PAD src0_sel:DWORD src1_sel:BYTE_3
	v_cndmask_b32_e32 v47, v58, v47, vcc_lo
	v_and_b32_e32 v11, 0x80000000, v11
	v_and_b32_e32 v56, 7, v56
	v_lshl_add_u32 v47, v47, 23, 0x3b800000
	v_cndmask_b32_e32 v83, v83, v56, vcc_lo
	v_lshlrev_b32_e32 v83, 20, v83
	v_or3_b32 v83, v11, v47, v83
.LBB6_6874:                             ;   in Loop: Header=BB6_4858 Depth=2
	s_or_b32 exec_lo, exec_lo, s29
	v_add_f32_e32 v83, v84, v83
	v_and_b32_e32 v11, 0x7f800000, v83
	v_cmp_ne_u32_e32 vcc_lo, 0x7f800000, v11
	v_mov_b32_e32 v11, 0x8000
	s_and_saveexec_b32 s29, vcc_lo
	s_cbranch_execz .LBB6_6882
; %bb.6875:                             ;   in Loop: Header=BB6_4858 Depth=2
	v_mov_b32_e32 v11, 0
	s_mov_b32 s40, exec_lo
	v_cmpx_ne_u32_e32 0, v83
	s_cbranch_execz .LBB6_6881
; %bb.6876:                             ;   in Loop: Header=BB6_4858 Depth=2
	v_bfe_u32 v84, v83, 23, 8
	v_and_b32_e32 v11, 0x7fffff, v83
	v_cmp_gt_u32_e64 s12, 0x79, v84
	v_sub_nc_u32_e32 v47, 0x78, v84
	v_cmp_eq_u32_e32 vcc_lo, 0, v84
	v_or_b32_e32 v56, 0x800000, v11
	v_cndmask_b32_e64 v47, 0, v47, s12
	v_cndmask_b32_e32 v11, v56, v11, vcc_lo
	v_cndmask_b32_e64 v47, v47, 0x77, vcc_lo
	v_lshl_add_u32 v56, 0x100000, v47, -1
	v_lshlrev_b32_e64 v58, v47, 0x80000
	v_and_b32_e32 v56, v56, v11
	v_cmp_eq_u32_e64 s12, v56, v58
	v_lshrrev_b32_e32 v56, v47, v11
	v_add_nc_u32_e32 v11, 0xffffff89, v84
	v_lshrrev_b32_e32 v84, 23, v56
	v_cndmask_b32_e64 v11, v11, 0xffffff8a, vcc_lo
	v_xor_b32_e32 v84, 1, v84
	v_add_nc_u32_e32 v11, v47, v11
	v_bfe_u32 v47, v56, 20, 1
	v_add_nc_u32_e32 v47, -1, v47
	v_cndmask_b32_e64 v47, 0, v47, s12
	s_mov_b32 s12, exec_lo
	v_add_nc_u32_e32 v47, v47, v56
	v_and_b32_e32 v47, 0xfffff, v47
	v_add_nc_u32_e32 v47, v47, v56
                                        ; implicit-def: $vgpr56
	v_cmpx_ne_u32_e64 v11, v84
	s_xor_b32 s12, exec_lo, s12
; %bb.6877:                             ;   in Loop: Header=BB6_4858 Depth=2
	v_cmp_lt_u32_e32 vcc_lo, 0xffffff, v47
	v_sub_nc_u32_e32 v11, v11, v84
	v_cndmask_b32_e64 v84, 0, 1, vcc_lo
	v_add_co_ci_u32_e64 v56, null, 0, v11, vcc_lo
	v_lshrrev_b32_e32 v47, v84, v47
; %bb.6878:                             ;   in Loop: Header=BB6_4858 Depth=2
	s_andn2_saveexec_b32 s12, s12
; %bb.6879:                             ;   in Loop: Header=BB6_4858 Depth=2
	v_bfe_u32 v56, v47, 23, 1
; %bb.6880:                             ;   in Loop: Header=BB6_4858 Depth=2
	s_or_b32 exec_lo, exec_lo, s12
	v_and_b32_sdwa v11, v83, v102 dst_sel:DWORD dst_unused:UNUSED_PAD src0_sel:BYTE_3 src1_sel:DWORD
	v_lshrrev_b32_e32 v83, 20, v47
	v_min_i32_e32 v84, 15, v56
	v_cmp_gt_i32_e32 vcc_lo, 16, v56
	v_lshlrev_b32_e32 v84, 3, v84
	v_cndmask_b32_e32 v83, 7, v83, vcc_lo
	v_and_b32_e32 v84, 0xf8, v84
	v_or_b32_e32 v47, v56, v83
	v_and_b32_e32 v83, 7, v83
	v_cmp_ne_u32_e32 vcc_lo, 0, v47
	v_or3_b32 v11, v11, v84, v83
	v_lshlrev_b32_e32 v11, 8, v11
	v_cndmask_b32_e32 v11, 0, v11, vcc_lo
.LBB6_6881:                             ;   in Loop: Header=BB6_4858 Depth=2
	s_or_b32 exec_lo, exec_lo, s40
.LBB6_6882:                             ;   in Loop: Header=BB6_4858 Depth=2
	s_or_b32 exec_lo, exec_lo, s29
	v_or_b32_e32 v45, v46, v45
	s_mov_b32 s29, 0
	v_cmp_gt_i16_sdwa s12, v45, v101 src0_sel:BYTE_0 src1_sel:DWORD
	s_and_saveexec_b32 s40, s12
	s_xor_b32 s12, exec_lo, s40
	s_cbranch_execz .LBB6_7392
; %bb.6883:                             ;   in Loop: Header=BB6_4858 Depth=2
	v_cmp_eq_u16_sdwa s41, v45, v102 src0_sel:BYTE_0 src1_sel:DWORD
	s_mov_b32 s29, -1
	s_and_saveexec_b32 s40, s41
; %bb.6884:                             ;   in Loop: Header=BB6_4858 Depth=2
	s_xor_b32 s29, exec_lo, -1
; %bb.6885:                             ;   in Loop: Header=BB6_4858 Depth=2
	s_or_b32 exec_lo, exec_lo, s40
	s_and_b32 s29, s29, exec_lo
	s_or_saveexec_b32 s12, s12
	v_mov_b32_e32 v83, 0x7f800001
	s_xor_b32 exec_lo, exec_lo, s12
	s_cbranch_execnz .LBB6_7393
.LBB6_6886:                             ;   in Loop: Header=BB6_4858 Depth=2
	s_or_b32 exec_lo, exec_lo, s12
	s_and_saveexec_b32 s12, s29
	s_cbranch_execz .LBB6_6888
.LBB6_6887:                             ;   in Loop: Header=BB6_4858 Depth=2
	v_and_b32_e32 v83, 7, v45
	v_bfe_u32 v84, v45, 3, 4
	v_ffbh_u32_e32 v46, v83
	v_cmp_eq_u32_e32 vcc_lo, 0, v84
	v_min_u32_e32 v46, 32, v46
	v_subrev_nc_u32_e32 v47, 28, v46
	v_sub_nc_u32_e32 v46, 29, v46
	v_lshlrev_b32_e32 v47, v47, v45
	v_cndmask_b32_e32 v84, v84, v46, vcc_lo
	v_lshlrev_b32_e32 v46, 24, v45
	v_and_b32_e32 v47, 7, v47
	v_lshl_add_u32 v84, v84, 23, 0x3b800000
	v_and_b32_e32 v46, 0x80000000, v46
	v_cndmask_b32_e32 v83, v83, v47, vcc_lo
	v_lshlrev_b32_e32 v83, 20, v83
	v_or3_b32 v83, v46, v84, v83
.LBB6_6888:                             ;   in Loop: Header=BB6_4858 Depth=2
	s_or_b32 exec_lo, exec_lo, s12
	v_cmp_gt_i16_sdwa s12, v12, v101 src0_sel:BYTE_0 src1_sel:DWORD
	s_mov_b32 s29, 0
	s_and_saveexec_b32 s40, s12
	s_xor_b32 s12, exec_lo, s40
	s_cbranch_execz .LBB6_7394
; %bb.6889:                             ;   in Loop: Header=BB6_4858 Depth=2
	v_cmp_eq_u16_sdwa s41, v12, v102 src0_sel:BYTE_0 src1_sel:DWORD
	s_mov_b32 s29, -1
	s_and_saveexec_b32 s40, s41
; %bb.6890:                             ;   in Loop: Header=BB6_4858 Depth=2
	s_xor_b32 s29, exec_lo, -1
; %bb.6891:                             ;   in Loop: Header=BB6_4858 Depth=2
	s_or_b32 exec_lo, exec_lo, s40
	s_and_b32 s29, s29, exec_lo
	s_or_saveexec_b32 s12, s12
	v_mov_b32_e32 v84, 0x7f800001
	s_xor_b32 exec_lo, exec_lo, s12
	s_cbranch_execnz .LBB6_7395
.LBB6_6892:                             ;   in Loop: Header=BB6_4858 Depth=2
	s_or_b32 exec_lo, exec_lo, s12
	s_and_saveexec_b32 s12, s29
	s_cbranch_execz .LBB6_6894
.LBB6_6893:                             ;   in Loop: Header=BB6_4858 Depth=2
	v_and_b32_e32 v84, 7, v12
	v_bfe_u32 v46, v12, 3, 4
	v_ffbh_u32_e32 v47, v84
	v_cmp_eq_u32_e32 vcc_lo, 0, v46
	v_min_u32_e32 v47, 32, v47
	v_subrev_nc_u32_e32 v56, 28, v47
	v_sub_nc_u32_e32 v47, 29, v47
	v_lshlrev_b32_e32 v56, v56, v12
	v_cndmask_b32_e32 v46, v46, v47, vcc_lo
	v_lshlrev_b32_e32 v47, 24, v12
	v_and_b32_e32 v56, 7, v56
	v_lshl_add_u32 v46, v46, 23, 0x3b800000
	v_and_b32_e32 v47, 0x80000000, v47
	v_cndmask_b32_e32 v84, v84, v56, vcc_lo
	v_lshlrev_b32_e32 v84, 20, v84
	v_or3_b32 v84, v47, v46, v84
.LBB6_6894:                             ;   in Loop: Header=BB6_4858 Depth=2
	s_or_b32 exec_lo, exec_lo, s12
	v_add_f32_e32 v84, v83, v84
	v_and_b32_e32 v83, 0x7f800000, v84
	v_cmp_ne_u32_e32 vcc_lo, 0x7f800000, v83
	v_mov_b32_e32 v83, 0x80
	s_and_saveexec_b32 s29, vcc_lo
	s_cbranch_execz .LBB6_6902
; %bb.6895:                             ;   in Loop: Header=BB6_4858 Depth=2
	v_mov_b32_e32 v83, 0
	s_mov_b32 s40, exec_lo
	v_cmpx_ne_u32_e32 0, v84
	s_cbranch_execz .LBB6_6901
; %bb.6896:                             ;   in Loop: Header=BB6_4858 Depth=2
	v_bfe_u32 v46, v84, 23, 8
	v_and_b32_e32 v83, 0x7fffff, v84
	v_cmp_gt_u32_e64 s12, 0x79, v46
	v_sub_nc_u32_e32 v47, 0x78, v46
	v_cmp_eq_u32_e32 vcc_lo, 0, v46
	v_or_b32_e32 v56, 0x800000, v83
	v_cndmask_b32_e64 v47, 0, v47, s12
	v_cndmask_b32_e32 v83, v56, v83, vcc_lo
	v_cndmask_b32_e64 v47, v47, 0x77, vcc_lo
	v_lshl_add_u32 v56, 0x100000, v47, -1
	v_lshlrev_b32_e64 v58, v47, 0x80000
	v_and_b32_e32 v56, v56, v83
	v_cmp_eq_u32_e64 s12, v56, v58
	v_lshrrev_b32_e32 v56, v47, v83
	v_add_nc_u32_e32 v83, 0xffffff89, v46
	v_lshrrev_b32_e32 v46, 23, v56
	v_cndmask_b32_e64 v83, v83, 0xffffff8a, vcc_lo
	v_xor_b32_e32 v46, 1, v46
	v_add_nc_u32_e32 v83, v47, v83
	v_bfe_u32 v47, v56, 20, 1
	v_add_nc_u32_e32 v47, -1, v47
	v_cndmask_b32_e64 v47, 0, v47, s12
	s_mov_b32 s12, exec_lo
	v_add_nc_u32_e32 v47, v47, v56
	v_and_b32_e32 v47, 0xfffff, v47
	v_add_nc_u32_e32 v47, v47, v56
                                        ; implicit-def: $vgpr56
	v_cmpx_ne_u32_e64 v83, v46
	s_xor_b32 s12, exec_lo, s12
; %bb.6897:                             ;   in Loop: Header=BB6_4858 Depth=2
	v_cmp_lt_u32_e32 vcc_lo, 0xffffff, v47
	v_sub_nc_u32_e32 v83, v83, v46
	v_cndmask_b32_e64 v46, 0, 1, vcc_lo
	v_add_co_ci_u32_e64 v56, null, 0, v83, vcc_lo
	v_lshrrev_b32_e32 v47, v46, v47
; %bb.6898:                             ;   in Loop: Header=BB6_4858 Depth=2
	s_andn2_saveexec_b32 s12, s12
; %bb.6899:                             ;   in Loop: Header=BB6_4858 Depth=2
	v_bfe_u32 v56, v47, 23, 1
; %bb.6900:                             ;   in Loop: Header=BB6_4858 Depth=2
	s_or_b32 exec_lo, exec_lo, s12
	v_and_b32_sdwa v83, v84, v102 dst_sel:DWORD dst_unused:UNUSED_PAD src0_sel:BYTE_3 src1_sel:DWORD
	v_lshrrev_b32_e32 v84, 20, v47
	v_min_i32_e32 v46, 15, v56
	v_cmp_gt_i32_e32 vcc_lo, 16, v56
	v_lshlrev_b32_e32 v46, 3, v46
	v_cndmask_b32_e32 v84, 7, v84, vcc_lo
	v_and_b32_e32 v46, 0xf8, v46
	v_or_b32_e32 v47, v56, v84
	v_and_b32_e32 v84, 7, v84
	v_cmp_ne_u32_e32 vcc_lo, 0, v47
	v_or3_b32 v83, v46, v83, v84
	v_cndmask_b32_e32 v83, 0, v83, vcc_lo
.LBB6_6901:                             ;   in Loop: Header=BB6_4858 Depth=2
	s_or_b32 exec_lo, exec_lo, s40
.LBB6_6902:                             ;   in Loop: Header=BB6_4858 Depth=2
	s_or_b32 exec_lo, exec_lo, s29
	v_cmp_gt_i16_sdwa s29, v45, v101 src0_sel:BYTE_1 src1_sel:DWORD
	s_mov_b32 s12, 0
	s_and_saveexec_b32 s40, s29
	s_xor_b32 s29, exec_lo, s40
	s_cbranch_execz .LBB6_7396
; %bb.6903:                             ;   in Loop: Header=BB6_4858 Depth=2
	v_cmp_eq_u16_sdwa s41, v45, v102 src0_sel:BYTE_1 src1_sel:DWORD
	s_mov_b32 s12, -1
	s_and_saveexec_b32 s40, s41
; %bb.6904:                             ;   in Loop: Header=BB6_4858 Depth=2
	s_xor_b32 s12, exec_lo, -1
; %bb.6905:                             ;   in Loop: Header=BB6_4858 Depth=2
	s_or_b32 exec_lo, exec_lo, s40
	s_and_b32 s12, s12, exec_lo
	s_or_saveexec_b32 s29, s29
	v_mov_b32_e32 v84, 0x7f800001
	s_xor_b32 exec_lo, exec_lo, s29
	s_cbranch_execnz .LBB6_7397
.LBB6_6906:                             ;   in Loop: Header=BB6_4858 Depth=2
	s_or_b32 exec_lo, exec_lo, s29
	s_and_saveexec_b32 s29, s12
	s_cbranch_execz .LBB6_6908
.LBB6_6907:                             ;   in Loop: Header=BB6_4858 Depth=2
	v_and_b32_sdwa v84, v103, v45 dst_sel:DWORD dst_unused:UNUSED_PAD src0_sel:DWORD src1_sel:BYTE_1
	v_and_b32_e32 v46, 7, v84
	v_bfe_u32 v58, v84, 3, 4
	v_ffbh_u32_e32 v47, v46
	v_cmp_eq_u32_e32 vcc_lo, 0, v58
	v_min_u32_e32 v47, 32, v47
	v_subrev_nc_u32_e32 v56, 28, v47
	v_sub_nc_u32_e32 v47, 29, v47
	v_lshlrev_b32_e32 v84, v56, v84
	v_lshlrev_b32_sdwa v56, v112, v45 dst_sel:DWORD dst_unused:UNUSED_PAD src0_sel:DWORD src1_sel:BYTE_1
	v_cndmask_b32_e32 v47, v58, v47, vcc_lo
	v_and_b32_e32 v84, 7, v84
	v_lshl_add_u32 v47, v47, 23, 0x3b800000
	v_cndmask_b32_e32 v84, v46, v84, vcc_lo
	v_and_b32_e32 v46, 0x80000000, v56
	v_lshlrev_b32_e32 v84, 20, v84
	v_or3_b32 v84, v46, v47, v84
.LBB6_6908:                             ;   in Loop: Header=BB6_4858 Depth=2
	s_or_b32 exec_lo, exec_lo, s29
	v_cmp_gt_i16_sdwa s29, v12, v101 src0_sel:BYTE_1 src1_sel:DWORD
	s_mov_b32 s12, 0
	s_and_saveexec_b32 s40, s29
	s_xor_b32 s29, exec_lo, s40
	s_cbranch_execz .LBB6_7398
; %bb.6909:                             ;   in Loop: Header=BB6_4858 Depth=2
	v_cmp_eq_u16_sdwa s41, v12, v102 src0_sel:BYTE_1 src1_sel:DWORD
	s_mov_b32 s12, -1
	s_and_saveexec_b32 s40, s41
; %bb.6910:                             ;   in Loop: Header=BB6_4858 Depth=2
	s_xor_b32 s12, exec_lo, -1
; %bb.6911:                             ;   in Loop: Header=BB6_4858 Depth=2
	s_or_b32 exec_lo, exec_lo, s40
	s_and_b32 s12, s12, exec_lo
	s_or_saveexec_b32 s29, s29
	v_mov_b32_e32 v46, 0x7f800001
	s_xor_b32 exec_lo, exec_lo, s29
	s_cbranch_execnz .LBB6_7399
.LBB6_6912:                             ;   in Loop: Header=BB6_4858 Depth=2
	s_or_b32 exec_lo, exec_lo, s29
	s_and_saveexec_b32 s29, s12
	s_cbranch_execz .LBB6_6914
.LBB6_6913:                             ;   in Loop: Header=BB6_4858 Depth=2
	v_and_b32_sdwa v46, v103, v12 dst_sel:DWORD dst_unused:UNUSED_PAD src0_sel:DWORD src1_sel:BYTE_1
	v_and_b32_e32 v47, 7, v46
	v_bfe_u32 v59, v46, 3, 4
	v_ffbh_u32_e32 v56, v47
	v_cmp_eq_u32_e32 vcc_lo, 0, v59
	v_min_u32_e32 v56, 32, v56
	v_subrev_nc_u32_e32 v58, 28, v56
	v_sub_nc_u32_e32 v56, 29, v56
	v_lshlrev_b32_e32 v46, v58, v46
	v_lshlrev_b32_sdwa v58, v112, v12 dst_sel:DWORD dst_unused:UNUSED_PAD src0_sel:DWORD src1_sel:BYTE_1
	v_cndmask_b32_e32 v56, v59, v56, vcc_lo
	v_and_b32_e32 v46, 7, v46
	v_lshl_add_u32 v56, v56, 23, 0x3b800000
	v_cndmask_b32_e32 v46, v47, v46, vcc_lo
	v_and_b32_e32 v47, 0x80000000, v58
	v_lshlrev_b32_e32 v46, 20, v46
	v_or3_b32 v46, v47, v56, v46
.LBB6_6914:                             ;   in Loop: Header=BB6_4858 Depth=2
	s_or_b32 exec_lo, exec_lo, s29
	v_add_f32_e32 v46, v84, v46
	v_and_b32_e32 v84, 0x7f800000, v46
	v_cmp_ne_u32_e32 vcc_lo, 0x7f800000, v84
	v_mov_b32_e32 v84, 0x8000
	s_and_saveexec_b32 s29, vcc_lo
	s_cbranch_execz .LBB6_6922
; %bb.6915:                             ;   in Loop: Header=BB6_4858 Depth=2
	v_mov_b32_e32 v84, 0
	s_mov_b32 s40, exec_lo
	v_cmpx_ne_u32_e32 0, v46
	s_cbranch_execz .LBB6_6921
; %bb.6916:                             ;   in Loop: Header=BB6_4858 Depth=2
	v_bfe_u32 v47, v46, 23, 8
	v_and_b32_e32 v84, 0x7fffff, v46
	v_cmp_gt_u32_e64 s12, 0x79, v47
	v_sub_nc_u32_e32 v56, 0x78, v47
	v_cmp_eq_u32_e32 vcc_lo, 0, v47
	v_or_b32_e32 v58, 0x800000, v84
	v_cndmask_b32_e64 v56, 0, v56, s12
	v_cndmask_b32_e32 v84, v58, v84, vcc_lo
	v_cndmask_b32_e64 v56, v56, 0x77, vcc_lo
	v_lshl_add_u32 v58, 0x100000, v56, -1
	v_lshlrev_b32_e64 v59, v56, 0x80000
	v_and_b32_e32 v58, v58, v84
	v_cmp_eq_u32_e64 s12, v58, v59
	v_lshrrev_b32_e32 v58, v56, v84
	v_add_nc_u32_e32 v84, 0xffffff89, v47
	v_lshrrev_b32_e32 v47, 23, v58
	v_cndmask_b32_e64 v84, v84, 0xffffff8a, vcc_lo
	v_xor_b32_e32 v47, 1, v47
	v_add_nc_u32_e32 v84, v56, v84
	v_bfe_u32 v56, v58, 20, 1
	v_add_nc_u32_e32 v56, -1, v56
	v_cndmask_b32_e64 v56, 0, v56, s12
	s_mov_b32 s12, exec_lo
	v_add_nc_u32_e32 v56, v56, v58
	v_and_b32_e32 v56, 0xfffff, v56
	v_add_nc_u32_e32 v56, v56, v58
                                        ; implicit-def: $vgpr58
	v_cmpx_ne_u32_e64 v84, v47
	s_xor_b32 s12, exec_lo, s12
; %bb.6917:                             ;   in Loop: Header=BB6_4858 Depth=2
	v_cmp_lt_u32_e32 vcc_lo, 0xffffff, v56
	v_sub_nc_u32_e32 v84, v84, v47
	v_cndmask_b32_e64 v47, 0, 1, vcc_lo
	v_add_co_ci_u32_e64 v58, null, 0, v84, vcc_lo
	v_lshrrev_b32_e32 v56, v47, v56
; %bb.6918:                             ;   in Loop: Header=BB6_4858 Depth=2
	s_andn2_saveexec_b32 s12, s12
; %bb.6919:                             ;   in Loop: Header=BB6_4858 Depth=2
	v_bfe_u32 v58, v56, 23, 1
; %bb.6920:                             ;   in Loop: Header=BB6_4858 Depth=2
	s_or_b32 exec_lo, exec_lo, s12
	v_and_b32_sdwa v84, v46, v102 dst_sel:DWORD dst_unused:UNUSED_PAD src0_sel:BYTE_3 src1_sel:DWORD
	v_lshrrev_b32_e32 v46, 20, v56
	v_min_i32_e32 v47, 15, v58
	v_cmp_gt_i32_e32 vcc_lo, 16, v58
	v_lshlrev_b32_e32 v47, 3, v47
	v_cndmask_b32_e32 v46, 7, v46, vcc_lo
	v_and_b32_e32 v47, 0xf8, v47
	v_or_b32_e32 v56, v58, v46
	v_and_b32_e32 v46, 7, v46
	v_cmp_ne_u32_e32 vcc_lo, 0, v56
	v_or3_b32 v84, v84, v47, v46
	v_lshlrev_b32_e32 v84, 8, v84
	v_cndmask_b32_e32 v84, 0, v84, vcc_lo
.LBB6_6921:                             ;   in Loop: Header=BB6_4858 Depth=2
	s_or_b32 exec_lo, exec_lo, s40
.LBB6_6922:                             ;   in Loop: Header=BB6_4858 Depth=2
	s_or_b32 exec_lo, exec_lo, s29
	v_or_b32_e32 v44, v44, v42
	s_mov_b32 s29, 0
	v_cmp_gt_i16_sdwa s12, v44, v101 src0_sel:BYTE_0 src1_sel:DWORD
	s_and_saveexec_b32 s40, s12
	s_xor_b32 s12, exec_lo, s40
	s_cbranch_execz .LBB6_7400
; %bb.6923:                             ;   in Loop: Header=BB6_4858 Depth=2
	v_cmp_eq_u16_sdwa s41, v44, v102 src0_sel:BYTE_0 src1_sel:DWORD
	s_mov_b32 s29, -1
	s_and_saveexec_b32 s40, s41
; %bb.6924:                             ;   in Loop: Header=BB6_4858 Depth=2
	s_xor_b32 s29, exec_lo, -1
; %bb.6925:                             ;   in Loop: Header=BB6_4858 Depth=2
	s_or_b32 exec_lo, exec_lo, s40
	s_and_b32 s29, s29, exec_lo
	s_or_saveexec_b32 s12, s12
	v_mov_b32_e32 v42, 0x7f800001
	s_xor_b32 exec_lo, exec_lo, s12
	s_cbranch_execnz .LBB6_7401
.LBB6_6926:                             ;   in Loop: Header=BB6_4858 Depth=2
	s_or_b32 exec_lo, exec_lo, s12
	v_lshl_or_b32 v44, v44, 16, v45
	s_and_saveexec_b32 s12, s29
	s_cbranch_execz .LBB6_6928
.LBB6_6927:                             ;   in Loop: Header=BB6_4858 Depth=2
	v_bfe_u32 v42, v44, 16, 3
	v_bfe_u32 v45, v44, 19, 4
	v_ffbh_u32_e32 v46, v42
	v_cmp_eq_u32_e32 vcc_lo, 0, v45
	v_min_u32_e32 v46, 32, v46
	v_subrev_nc_u32_e32 v47, 28, v46
	v_sub_nc_u32_e32 v46, 29, v46
	v_lshlrev_b32_sdwa v47, v47, v44 dst_sel:DWORD dst_unused:UNUSED_PAD src0_sel:DWORD src1_sel:WORD_1
	v_cndmask_b32_e32 v45, v45, v46, vcc_lo
	v_lshlrev_b32_e32 v46, 8, v44
	v_and_b32_e32 v47, 7, v47
	v_lshl_add_u32 v45, v45, 23, 0x3b800000
	v_and_b32_e32 v46, 0x80000000, v46
	v_cndmask_b32_e32 v42, v42, v47, vcc_lo
	v_lshlrev_b32_e32 v42, 20, v42
	v_or3_b32 v42, v46, v45, v42
.LBB6_6928:                             ;   in Loop: Header=BB6_4858 Depth=2
	s_or_b32 exec_lo, exec_lo, s12
	v_and_b32_sdwa v46, v12, v113 dst_sel:DWORD dst_unused:UNUSED_PAD src0_sel:WORD_1 src1_sel:DWORD
	s_mov_b32 s29, 0
	s_mov_b32 s12, exec_lo
	v_cmpx_lt_i16_e32 0x7f, v46
	s_xor_b32 s12, exec_lo, s12
	s_cbranch_execz .LBB6_7402
; %bb.6929:                             ;   in Loop: Header=BB6_4858 Depth=2
	s_mov_b32 s29, -1
	s_mov_b32 s40, exec_lo
	v_cmpx_eq_u16_e32 0x80, v46
; %bb.6930:                             ;   in Loop: Header=BB6_4858 Depth=2
	s_xor_b32 s29, exec_lo, -1
; %bb.6931:                             ;   in Loop: Header=BB6_4858 Depth=2
	s_or_b32 exec_lo, exec_lo, s40
	s_and_b32 s29, s29, exec_lo
                                        ; implicit-def: $vgpr46
	s_or_saveexec_b32 s12, s12
	v_mov_b32_e32 v45, 0x7f800001
	s_xor_b32 exec_lo, exec_lo, s12
	s_cbranch_execnz .LBB6_7403
.LBB6_6932:                             ;   in Loop: Header=BB6_4858 Depth=2
	s_or_b32 exec_lo, exec_lo, s12
	s_and_saveexec_b32 s12, s29
	s_cbranch_execz .LBB6_6934
.LBB6_6933:                             ;   in Loop: Header=BB6_4858 Depth=2
	v_bfe_u32 v45, v12, 16, 3
	v_bfe_u32 v46, v12, 19, 4
	v_ffbh_u32_e32 v47, v45
	v_cmp_eq_u32_e32 vcc_lo, 0, v46
	v_min_u32_e32 v47, 32, v47
	v_subrev_nc_u32_e32 v56, 28, v47
	v_sub_nc_u32_e32 v47, 29, v47
	v_lshlrev_b32_sdwa v56, v56, v12 dst_sel:DWORD dst_unused:UNUSED_PAD src0_sel:DWORD src1_sel:WORD_1
	v_cndmask_b32_e32 v46, v46, v47, vcc_lo
	v_lshlrev_b32_e32 v47, 8, v12
	v_and_b32_e32 v56, 7, v56
	v_lshl_add_u32 v46, v46, 23, 0x3b800000
	v_and_b32_e32 v47, 0x80000000, v47
	v_cndmask_b32_e32 v45, v45, v56, vcc_lo
	v_lshlrev_b32_e32 v45, 20, v45
	v_or3_b32 v45, v47, v46, v45
.LBB6_6934:                             ;   in Loop: Header=BB6_4858 Depth=2
	s_or_b32 exec_lo, exec_lo, s12
	v_add_f32_e32 v45, v42, v45
	v_and_b32_e32 v42, 0x7f800000, v45
	v_cmp_ne_u32_e32 vcc_lo, 0x7f800000, v42
	v_mov_b32_e32 v42, 0x80
	s_and_saveexec_b32 s29, vcc_lo
	s_cbranch_execz .LBB6_6942
; %bb.6935:                             ;   in Loop: Header=BB6_4858 Depth=2
	v_mov_b32_e32 v42, 0
	s_mov_b32 s40, exec_lo
	v_cmpx_ne_u32_e32 0, v45
	s_cbranch_execz .LBB6_6941
; %bb.6936:                             ;   in Loop: Header=BB6_4858 Depth=2
	v_bfe_u32 v46, v45, 23, 8
	v_and_b32_e32 v42, 0x7fffff, v45
	v_cmp_gt_u32_e64 s12, 0x79, v46
	v_sub_nc_u32_e32 v47, 0x78, v46
	v_cmp_eq_u32_e32 vcc_lo, 0, v46
	v_or_b32_e32 v56, 0x800000, v42
	v_cndmask_b32_e64 v47, 0, v47, s12
	v_cndmask_b32_e32 v42, v56, v42, vcc_lo
	v_cndmask_b32_e64 v47, v47, 0x77, vcc_lo
	v_lshl_add_u32 v56, 0x100000, v47, -1
	v_lshlrev_b32_e64 v58, v47, 0x80000
	v_and_b32_e32 v56, v56, v42
	v_cmp_eq_u32_e64 s12, v56, v58
	v_lshrrev_b32_e32 v56, v47, v42
	v_add_nc_u32_e32 v42, 0xffffff89, v46
	v_lshrrev_b32_e32 v46, 23, v56
	v_cndmask_b32_e64 v42, v42, 0xffffff8a, vcc_lo
	v_xor_b32_e32 v46, 1, v46
	v_add_nc_u32_e32 v42, v47, v42
	v_bfe_u32 v47, v56, 20, 1
	v_add_nc_u32_e32 v47, -1, v47
	v_cndmask_b32_e64 v47, 0, v47, s12
	s_mov_b32 s12, exec_lo
	v_add_nc_u32_e32 v47, v47, v56
	v_and_b32_e32 v47, 0xfffff, v47
	v_add_nc_u32_e32 v47, v47, v56
                                        ; implicit-def: $vgpr56
	v_cmpx_ne_u32_e64 v42, v46
	s_xor_b32 s12, exec_lo, s12
; %bb.6937:                             ;   in Loop: Header=BB6_4858 Depth=2
	v_cmp_lt_u32_e32 vcc_lo, 0xffffff, v47
	v_sub_nc_u32_e32 v42, v42, v46
	v_cndmask_b32_e64 v46, 0, 1, vcc_lo
	v_add_co_ci_u32_e64 v56, null, 0, v42, vcc_lo
	v_lshrrev_b32_e32 v47, v46, v47
; %bb.6938:                             ;   in Loop: Header=BB6_4858 Depth=2
	s_andn2_saveexec_b32 s12, s12
; %bb.6939:                             ;   in Loop: Header=BB6_4858 Depth=2
	v_bfe_u32 v56, v47, 23, 1
; %bb.6940:                             ;   in Loop: Header=BB6_4858 Depth=2
	s_or_b32 exec_lo, exec_lo, s12
	v_and_b32_sdwa v42, v45, v102 dst_sel:DWORD dst_unused:UNUSED_PAD src0_sel:BYTE_3 src1_sel:DWORD
	v_lshrrev_b32_e32 v45, 20, v47
	v_min_i32_e32 v46, 15, v56
	v_cmp_gt_i32_e32 vcc_lo, 16, v56
	v_lshlrev_b32_e32 v46, 3, v46
	v_cndmask_b32_e32 v45, 7, v45, vcc_lo
	v_and_b32_e32 v46, 0xf8, v46
	v_or_b32_e32 v47, v56, v45
	v_and_b32_e32 v45, 7, v45
	v_cmp_ne_u32_e32 vcc_lo, 0, v47
	v_or3_b32 v42, v46, v42, v45
	v_cndmask_b32_e32 v42, 0, v42, vcc_lo
.LBB6_6941:                             ;   in Loop: Header=BB6_4858 Depth=2
	s_or_b32 exec_lo, exec_lo, s40
.LBB6_6942:                             ;   in Loop: Header=BB6_4858 Depth=2
	s_or_b32 exec_lo, exec_lo, s29
	v_cmp_gt_i16_sdwa s29, v44, v101 src0_sel:BYTE_3 src1_sel:DWORD
	s_mov_b32 s12, 0
	s_and_saveexec_b32 s40, s29
	s_xor_b32 s29, exec_lo, s40
	s_cbranch_execz .LBB6_7404
; %bb.6943:                             ;   in Loop: Header=BB6_4858 Depth=2
	v_cmp_eq_u16_sdwa s41, v44, v102 src0_sel:BYTE_3 src1_sel:DWORD
	s_mov_b32 s12, -1
	s_and_saveexec_b32 s40, s41
; %bb.6944:                             ;   in Loop: Header=BB6_4858 Depth=2
	s_xor_b32 s12, exec_lo, -1
; %bb.6945:                             ;   in Loop: Header=BB6_4858 Depth=2
	s_or_b32 exec_lo, exec_lo, s40
	s_and_b32 s12, s12, exec_lo
	s_or_saveexec_b32 s29, s29
	v_mov_b32_e32 v45, 0x7f800001
	s_xor_b32 exec_lo, exec_lo, s29
	s_cbranch_execnz .LBB6_7405
.LBB6_6946:                             ;   in Loop: Header=BB6_4858 Depth=2
	s_or_b32 exec_lo, exec_lo, s29
	s_and_saveexec_b32 s29, s12
	s_cbranch_execz .LBB6_6948
.LBB6_6947:                             ;   in Loop: Header=BB6_4858 Depth=2
	v_bfe_u32 v45, v44, 24, 3
	v_bfe_u32 v56, v44, 27, 4
	v_ffbh_u32_e32 v46, v45
	v_cmp_eq_u32_e32 vcc_lo, 0, v56
	v_min_u32_e32 v46, 32, v46
	v_subrev_nc_u32_e32 v47, 28, v46
	v_sub_nc_u32_e32 v46, 29, v46
	v_lshlrev_b32_sdwa v47, v47, v44 dst_sel:DWORD dst_unused:UNUSED_PAD src0_sel:DWORD src1_sel:BYTE_3
	v_cndmask_b32_e32 v46, v56, v46, vcc_lo
	v_and_b32_e32 v44, 0x80000000, v44
	v_and_b32_e32 v47, 7, v47
	v_lshl_add_u32 v46, v46, 23, 0x3b800000
	v_cndmask_b32_e32 v45, v45, v47, vcc_lo
	v_lshlrev_b32_e32 v45, 20, v45
	v_or3_b32 v45, v44, v46, v45
.LBB6_6948:                             ;   in Loop: Header=BB6_4858 Depth=2
	s_or_b32 exec_lo, exec_lo, s29
	v_cmp_gt_i16_sdwa s29, v12, v101 src0_sel:BYTE_3 src1_sel:DWORD
	s_mov_b32 s12, 0
	s_and_saveexec_b32 s40, s29
	s_xor_b32 s29, exec_lo, s40
	s_cbranch_execz .LBB6_7406
; %bb.6949:                             ;   in Loop: Header=BB6_4858 Depth=2
	v_cmp_eq_u16_sdwa s41, v12, v102 src0_sel:BYTE_3 src1_sel:DWORD
	s_mov_b32 s12, -1
	s_and_saveexec_b32 s40, s41
; %bb.6950:                             ;   in Loop: Header=BB6_4858 Depth=2
	s_xor_b32 s12, exec_lo, -1
; %bb.6951:                             ;   in Loop: Header=BB6_4858 Depth=2
	s_or_b32 exec_lo, exec_lo, s40
	s_and_b32 s12, s12, exec_lo
	s_or_saveexec_b32 s29, s29
	v_mov_b32_e32 v44, 0x7f800001
	s_xor_b32 exec_lo, exec_lo, s29
	s_cbranch_execnz .LBB6_7407
.LBB6_6952:                             ;   in Loop: Header=BB6_4858 Depth=2
	s_or_b32 exec_lo, exec_lo, s29
	s_and_saveexec_b32 s29, s12
	s_cbranch_execz .LBB6_6954
.LBB6_6953:                             ;   in Loop: Header=BB6_4858 Depth=2
	v_bfe_u32 v44, v12, 24, 3
	v_bfe_u32 v56, v12, 27, 4
	v_ffbh_u32_e32 v46, v44
	v_cmp_eq_u32_e32 vcc_lo, 0, v56
	v_min_u32_e32 v46, 32, v46
	v_subrev_nc_u32_e32 v47, 28, v46
	v_sub_nc_u32_e32 v46, 29, v46
	v_lshlrev_b32_sdwa v47, v47, v12 dst_sel:DWORD dst_unused:UNUSED_PAD src0_sel:DWORD src1_sel:BYTE_3
	v_cndmask_b32_e32 v46, v56, v46, vcc_lo
	v_and_b32_e32 v12, 0x80000000, v12
	v_and_b32_e32 v47, 7, v47
	v_lshl_add_u32 v46, v46, 23, 0x3b800000
	v_cndmask_b32_e32 v44, v44, v47, vcc_lo
	v_lshlrev_b32_e32 v44, 20, v44
	v_or3_b32 v44, v12, v46, v44
.LBB6_6954:                             ;   in Loop: Header=BB6_4858 Depth=2
	s_or_b32 exec_lo, exec_lo, s29
	v_add_f32_e32 v44, v45, v44
	v_and_b32_e32 v12, 0x7f800000, v44
	v_cmp_ne_u32_e32 vcc_lo, 0x7f800000, v12
	v_mov_b32_e32 v12, 0x8000
	s_and_saveexec_b32 s29, vcc_lo
	s_cbranch_execz .LBB6_6962
; %bb.6955:                             ;   in Loop: Header=BB6_4858 Depth=2
	v_mov_b32_e32 v12, 0
	s_mov_b32 s40, exec_lo
	v_cmpx_ne_u32_e32 0, v44
	s_cbranch_execz .LBB6_6961
; %bb.6956:                             ;   in Loop: Header=BB6_4858 Depth=2
	v_bfe_u32 v45, v44, 23, 8
	v_and_b32_e32 v12, 0x7fffff, v44
	v_cmp_gt_u32_e64 s12, 0x79, v45
	v_sub_nc_u32_e32 v46, 0x78, v45
	v_cmp_eq_u32_e32 vcc_lo, 0, v45
	v_or_b32_e32 v47, 0x800000, v12
	v_cndmask_b32_e64 v46, 0, v46, s12
	v_cndmask_b32_e32 v12, v47, v12, vcc_lo
	v_cndmask_b32_e64 v46, v46, 0x77, vcc_lo
	v_lshl_add_u32 v47, 0x100000, v46, -1
	v_lshlrev_b32_e64 v56, v46, 0x80000
	v_and_b32_e32 v47, v47, v12
	v_cmp_eq_u32_e64 s12, v47, v56
	v_lshrrev_b32_e32 v47, v46, v12
	v_add_nc_u32_e32 v12, 0xffffff89, v45
	v_lshrrev_b32_e32 v45, 23, v47
	v_cndmask_b32_e64 v12, v12, 0xffffff8a, vcc_lo
	v_xor_b32_e32 v45, 1, v45
	v_add_nc_u32_e32 v12, v46, v12
	v_bfe_u32 v46, v47, 20, 1
	v_add_nc_u32_e32 v46, -1, v46
	v_cndmask_b32_e64 v46, 0, v46, s12
	s_mov_b32 s12, exec_lo
	v_add_nc_u32_e32 v46, v46, v47
	v_and_b32_e32 v46, 0xfffff, v46
	v_add_nc_u32_e32 v46, v46, v47
                                        ; implicit-def: $vgpr47
	v_cmpx_ne_u32_e64 v12, v45
	s_xor_b32 s12, exec_lo, s12
; %bb.6957:                             ;   in Loop: Header=BB6_4858 Depth=2
	v_cmp_lt_u32_e32 vcc_lo, 0xffffff, v46
	v_sub_nc_u32_e32 v12, v12, v45
	v_cndmask_b32_e64 v45, 0, 1, vcc_lo
	v_add_co_ci_u32_e64 v47, null, 0, v12, vcc_lo
	v_lshrrev_b32_e32 v46, v45, v46
; %bb.6958:                             ;   in Loop: Header=BB6_4858 Depth=2
	s_andn2_saveexec_b32 s12, s12
; %bb.6959:                             ;   in Loop: Header=BB6_4858 Depth=2
	v_bfe_u32 v47, v46, 23, 1
; %bb.6960:                             ;   in Loop: Header=BB6_4858 Depth=2
	s_or_b32 exec_lo, exec_lo, s12
	v_and_b32_sdwa v12, v44, v102 dst_sel:DWORD dst_unused:UNUSED_PAD src0_sel:BYTE_3 src1_sel:DWORD
	v_lshrrev_b32_e32 v44, 20, v46
	v_min_i32_e32 v45, 15, v47
	v_cmp_gt_i32_e32 vcc_lo, 16, v47
	v_lshlrev_b32_e32 v45, 3, v45
	v_cndmask_b32_e32 v44, 7, v44, vcc_lo
	v_and_b32_e32 v45, 0xf8, v45
	v_or_b32_e32 v46, v47, v44
	v_and_b32_e32 v44, 7, v44
	v_cmp_ne_u32_e32 vcc_lo, 0, v46
	v_or3_b32 v12, v12, v45, v44
	v_lshlrev_b32_e32 v12, 8, v12
	v_cndmask_b32_e32 v12, 0, v12, vcc_lo
.LBB6_6961:                             ;   in Loop: Header=BB6_4858 Depth=2
	s_or_b32 exec_lo, exec_lo, s40
.LBB6_6962:                             ;   in Loop: Header=BB6_4858 Depth=2
	s_or_b32 exec_lo, exec_lo, s29
	v_or_b32_e32 v44, v41, v118
	s_mov_b32 s29, 0
	v_cmp_gt_i16_sdwa s12, v44, v101 src0_sel:BYTE_0 src1_sel:DWORD
	s_and_saveexec_b32 s40, s12
	s_xor_b32 s12, exec_lo, s40
	s_cbranch_execz .LBB6_7408
; %bb.6963:                             ;   in Loop: Header=BB6_4858 Depth=2
	v_cmp_eq_u16_sdwa s41, v44, v102 src0_sel:BYTE_0 src1_sel:DWORD
	s_mov_b32 s29, -1
	s_and_saveexec_b32 s40, s41
; %bb.6964:                             ;   in Loop: Header=BB6_4858 Depth=2
	s_xor_b32 s29, exec_lo, -1
; %bb.6965:                             ;   in Loop: Header=BB6_4858 Depth=2
	s_or_b32 exec_lo, exec_lo, s40
	s_and_b32 s29, s29, exec_lo
	s_or_saveexec_b32 s12, s12
	v_mov_b32_e32 v118, 0x7f800001
	s_xor_b32 exec_lo, exec_lo, s12
	s_cbranch_execnz .LBB6_7409
.LBB6_6966:                             ;   in Loop: Header=BB6_4858 Depth=2
	s_or_b32 exec_lo, exec_lo, s12
	s_and_saveexec_b32 s12, s29
	s_cbranch_execz .LBB6_6968
.LBB6_6967:                             ;   in Loop: Header=BB6_4858 Depth=2
	v_and_b32_e32 v118, 7, v44
	v_bfe_u32 v41, v44, 3, 4
	v_ffbh_u32_e32 v45, v118
	v_cmp_eq_u32_e32 vcc_lo, 0, v41
	v_min_u32_e32 v45, 32, v45
	v_subrev_nc_u32_e32 v46, 28, v45
	v_sub_nc_u32_e32 v45, 29, v45
	v_lshlrev_b32_e32 v46, v46, v44
	v_cndmask_b32_e32 v41, v41, v45, vcc_lo
	v_lshlrev_b32_e32 v45, 24, v44
	v_and_b32_e32 v46, 7, v46
	v_lshl_add_u32 v41, v41, 23, 0x3b800000
	v_and_b32_e32 v45, 0x80000000, v45
	v_cndmask_b32_e32 v118, v118, v46, vcc_lo
	v_lshlrev_b32_e32 v118, 20, v118
	v_or3_b32 v118, v45, v41, v118
.LBB6_6968:                             ;   in Loop: Header=BB6_4858 Depth=2
	s_or_b32 exec_lo, exec_lo, s12
	v_cmp_gt_i16_sdwa s12, v13, v101 src0_sel:BYTE_0 src1_sel:DWORD
	s_mov_b32 s29, 0
	s_and_saveexec_b32 s40, s12
	s_xor_b32 s12, exec_lo, s40
	s_cbranch_execz .LBB6_7410
; %bb.6969:                             ;   in Loop: Header=BB6_4858 Depth=2
	v_cmp_eq_u16_sdwa s41, v13, v102 src0_sel:BYTE_0 src1_sel:DWORD
	s_mov_b32 s29, -1
	s_and_saveexec_b32 s40, s41
; %bb.6970:                             ;   in Loop: Header=BB6_4858 Depth=2
	s_xor_b32 s29, exec_lo, -1
; %bb.6971:                             ;   in Loop: Header=BB6_4858 Depth=2
	s_or_b32 exec_lo, exec_lo, s40
	s_and_b32 s29, s29, exec_lo
	s_or_saveexec_b32 s12, s12
	v_mov_b32_e32 v41, 0x7f800001
	s_xor_b32 exec_lo, exec_lo, s12
	s_cbranch_execnz .LBB6_7411
.LBB6_6972:                             ;   in Loop: Header=BB6_4858 Depth=2
	s_or_b32 exec_lo, exec_lo, s12
	s_and_saveexec_b32 s12, s29
	s_cbranch_execz .LBB6_6974
.LBB6_6973:                             ;   in Loop: Header=BB6_4858 Depth=2
	v_and_b32_e32 v41, 7, v13
	v_bfe_u32 v45, v13, 3, 4
	v_ffbh_u32_e32 v46, v41
	v_cmp_eq_u32_e32 vcc_lo, 0, v45
	v_min_u32_e32 v46, 32, v46
	v_subrev_nc_u32_e32 v47, 28, v46
	v_sub_nc_u32_e32 v46, 29, v46
	v_lshlrev_b32_e32 v47, v47, v13
	v_cndmask_b32_e32 v45, v45, v46, vcc_lo
	v_lshlrev_b32_e32 v46, 24, v13
	v_and_b32_e32 v47, 7, v47
	v_lshl_add_u32 v45, v45, 23, 0x3b800000
	v_and_b32_e32 v46, 0x80000000, v46
	v_cndmask_b32_e32 v41, v41, v47, vcc_lo
	v_lshlrev_b32_e32 v41, 20, v41
	v_or3_b32 v41, v46, v45, v41
.LBB6_6974:                             ;   in Loop: Header=BB6_4858 Depth=2
	s_or_b32 exec_lo, exec_lo, s12
	v_add_f32_e32 v41, v118, v41
	v_and_b32_e32 v118, 0x7f800000, v41
	v_cmp_ne_u32_e32 vcc_lo, 0x7f800000, v118
	v_mov_b32_e32 v118, 0x80
	s_and_saveexec_b32 s29, vcc_lo
	s_cbranch_execz .LBB6_6982
; %bb.6975:                             ;   in Loop: Header=BB6_4858 Depth=2
	v_mov_b32_e32 v118, 0
	s_mov_b32 s40, exec_lo
	v_cmpx_ne_u32_e32 0, v41
	s_cbranch_execz .LBB6_6981
; %bb.6976:                             ;   in Loop: Header=BB6_4858 Depth=2
	v_bfe_u32 v45, v41, 23, 8
	v_and_b32_e32 v118, 0x7fffff, v41
	v_cmp_gt_u32_e64 s12, 0x79, v45
	v_sub_nc_u32_e32 v46, 0x78, v45
	v_cmp_eq_u32_e32 vcc_lo, 0, v45
	v_or_b32_e32 v47, 0x800000, v118
	v_cndmask_b32_e64 v46, 0, v46, s12
	v_cndmask_b32_e32 v118, v47, v118, vcc_lo
	v_cndmask_b32_e64 v46, v46, 0x77, vcc_lo
	v_lshl_add_u32 v47, 0x100000, v46, -1
	v_lshlrev_b32_e64 v56, v46, 0x80000
	v_and_b32_e32 v47, v47, v118
	v_cmp_eq_u32_e64 s12, v47, v56
	v_lshrrev_b32_e32 v47, v46, v118
	v_add_nc_u32_e32 v118, 0xffffff89, v45
	v_lshrrev_b32_e32 v45, 23, v47
	v_cndmask_b32_e64 v118, v118, 0xffffff8a, vcc_lo
	v_xor_b32_e32 v45, 1, v45
	v_add_nc_u32_e32 v118, v46, v118
	v_bfe_u32 v46, v47, 20, 1
	v_add_nc_u32_e32 v46, -1, v46
	v_cndmask_b32_e64 v46, 0, v46, s12
	s_mov_b32 s12, exec_lo
	v_add_nc_u32_e32 v46, v46, v47
	v_and_b32_e32 v46, 0xfffff, v46
	v_add_nc_u32_e32 v46, v46, v47
                                        ; implicit-def: $vgpr47
	v_cmpx_ne_u32_e64 v118, v45
	s_xor_b32 s12, exec_lo, s12
; %bb.6977:                             ;   in Loop: Header=BB6_4858 Depth=2
	v_cmp_lt_u32_e32 vcc_lo, 0xffffff, v46
	v_sub_nc_u32_e32 v118, v118, v45
	v_cndmask_b32_e64 v45, 0, 1, vcc_lo
	v_add_co_ci_u32_e64 v47, null, 0, v118, vcc_lo
	v_lshrrev_b32_e32 v46, v45, v46
; %bb.6978:                             ;   in Loop: Header=BB6_4858 Depth=2
	s_andn2_saveexec_b32 s12, s12
; %bb.6979:                             ;   in Loop: Header=BB6_4858 Depth=2
	v_bfe_u32 v47, v46, 23, 1
; %bb.6980:                             ;   in Loop: Header=BB6_4858 Depth=2
	s_or_b32 exec_lo, exec_lo, s12
	v_and_b32_sdwa v118, v41, v102 dst_sel:DWORD dst_unused:UNUSED_PAD src0_sel:BYTE_3 src1_sel:DWORD
	v_lshrrev_b32_e32 v41, 20, v46
	v_min_i32_e32 v45, 15, v47
	v_cmp_gt_i32_e32 vcc_lo, 16, v47
	v_lshlrev_b32_e32 v45, 3, v45
	v_cndmask_b32_e32 v41, 7, v41, vcc_lo
	v_and_b32_e32 v45, 0xf8, v45
	v_or_b32_e32 v46, v47, v41
	v_and_b32_e32 v41, 7, v41
	v_cmp_ne_u32_e32 vcc_lo, 0, v46
	v_or3_b32 v118, v45, v118, v41
	v_cndmask_b32_e32 v118, 0, v118, vcc_lo
.LBB6_6981:                             ;   in Loop: Header=BB6_4858 Depth=2
	s_or_b32 exec_lo, exec_lo, s40
.LBB6_6982:                             ;   in Loop: Header=BB6_4858 Depth=2
	s_or_b32 exec_lo, exec_lo, s29
	v_cmp_gt_i16_sdwa s29, v44, v101 src0_sel:BYTE_1 src1_sel:DWORD
	s_mov_b32 s12, 0
	s_and_saveexec_b32 s40, s29
	s_xor_b32 s29, exec_lo, s40
	s_cbranch_execz .LBB6_7412
; %bb.6983:                             ;   in Loop: Header=BB6_4858 Depth=2
	v_cmp_eq_u16_sdwa s41, v44, v102 src0_sel:BYTE_1 src1_sel:DWORD
	s_mov_b32 s12, -1
	s_and_saveexec_b32 s40, s41
; %bb.6984:                             ;   in Loop: Header=BB6_4858 Depth=2
	s_xor_b32 s12, exec_lo, -1
; %bb.6985:                             ;   in Loop: Header=BB6_4858 Depth=2
	s_or_b32 exec_lo, exec_lo, s40
	s_and_b32 s12, s12, exec_lo
	s_or_saveexec_b32 s29, s29
	v_mov_b32_e32 v41, 0x7f800001
	s_xor_b32 exec_lo, exec_lo, s29
	s_cbranch_execnz .LBB6_7413
.LBB6_6986:                             ;   in Loop: Header=BB6_4858 Depth=2
	s_or_b32 exec_lo, exec_lo, s29
	s_and_saveexec_b32 s29, s12
	s_cbranch_execz .LBB6_6988
.LBB6_6987:                             ;   in Loop: Header=BB6_4858 Depth=2
	v_and_b32_sdwa v41, v103, v44 dst_sel:DWORD dst_unused:UNUSED_PAD src0_sel:DWORD src1_sel:BYTE_1
	v_and_b32_e32 v45, 7, v41
	v_bfe_u32 v56, v41, 3, 4
	v_ffbh_u32_e32 v46, v45
	v_cmp_eq_u32_e32 vcc_lo, 0, v56
	v_min_u32_e32 v46, 32, v46
	v_subrev_nc_u32_e32 v47, 28, v46
	v_sub_nc_u32_e32 v46, 29, v46
	v_lshlrev_b32_e32 v41, v47, v41
	v_lshlrev_b32_sdwa v47, v112, v44 dst_sel:DWORD dst_unused:UNUSED_PAD src0_sel:DWORD src1_sel:BYTE_1
	v_cndmask_b32_e32 v46, v56, v46, vcc_lo
	v_and_b32_e32 v41, 7, v41
	v_lshl_add_u32 v46, v46, 23, 0x3b800000
	v_cndmask_b32_e32 v41, v45, v41, vcc_lo
	v_and_b32_e32 v45, 0x80000000, v47
	v_lshlrev_b32_e32 v41, 20, v41
	v_or3_b32 v41, v45, v46, v41
.LBB6_6988:                             ;   in Loop: Header=BB6_4858 Depth=2
	s_or_b32 exec_lo, exec_lo, s29
	v_cmp_gt_i16_sdwa s29, v13, v101 src0_sel:BYTE_1 src1_sel:DWORD
	s_mov_b32 s12, 0
	s_and_saveexec_b32 s40, s29
	s_xor_b32 s29, exec_lo, s40
	s_cbranch_execz .LBB6_7414
; %bb.6989:                             ;   in Loop: Header=BB6_4858 Depth=2
	v_cmp_eq_u16_sdwa s41, v13, v102 src0_sel:BYTE_1 src1_sel:DWORD
	s_mov_b32 s12, -1
	s_and_saveexec_b32 s40, s41
; %bb.6990:                             ;   in Loop: Header=BB6_4858 Depth=2
	s_xor_b32 s12, exec_lo, -1
; %bb.6991:                             ;   in Loop: Header=BB6_4858 Depth=2
	s_or_b32 exec_lo, exec_lo, s40
	s_and_b32 s12, s12, exec_lo
	s_or_saveexec_b32 s29, s29
	v_mov_b32_e32 v45, 0x7f800001
	s_xor_b32 exec_lo, exec_lo, s29
	s_cbranch_execnz .LBB6_7415
.LBB6_6992:                             ;   in Loop: Header=BB6_4858 Depth=2
	s_or_b32 exec_lo, exec_lo, s29
	s_and_saveexec_b32 s29, s12
	s_cbranch_execz .LBB6_6994
.LBB6_6993:                             ;   in Loop: Header=BB6_4858 Depth=2
	v_and_b32_sdwa v45, v103, v13 dst_sel:DWORD dst_unused:UNUSED_PAD src0_sel:DWORD src1_sel:BYTE_1
	v_and_b32_e32 v46, 7, v45
	v_bfe_u32 v58, v45, 3, 4
	v_ffbh_u32_e32 v47, v46
	v_cmp_eq_u32_e32 vcc_lo, 0, v58
	v_min_u32_e32 v47, 32, v47
	v_subrev_nc_u32_e32 v56, 28, v47
	v_sub_nc_u32_e32 v47, 29, v47
	v_lshlrev_b32_e32 v45, v56, v45
	v_lshlrev_b32_sdwa v56, v112, v13 dst_sel:DWORD dst_unused:UNUSED_PAD src0_sel:DWORD src1_sel:BYTE_1
	v_cndmask_b32_e32 v47, v58, v47, vcc_lo
	v_and_b32_e32 v45, 7, v45
	v_lshl_add_u32 v47, v47, 23, 0x3b800000
	v_cndmask_b32_e32 v45, v46, v45, vcc_lo
	v_and_b32_e32 v46, 0x80000000, v56
	v_lshlrev_b32_e32 v45, 20, v45
	v_or3_b32 v45, v46, v47, v45
.LBB6_6994:                             ;   in Loop: Header=BB6_4858 Depth=2
	s_or_b32 exec_lo, exec_lo, s29
	v_add_f32_e32 v45, v41, v45
	v_and_b32_e32 v41, 0x7f800000, v45
	v_cmp_ne_u32_e32 vcc_lo, 0x7f800000, v41
	v_mov_b32_e32 v41, 0x8000
	s_and_saveexec_b32 s29, vcc_lo
	s_cbranch_execz .LBB6_7002
; %bb.6995:                             ;   in Loop: Header=BB6_4858 Depth=2
	v_mov_b32_e32 v41, 0
	s_mov_b32 s40, exec_lo
	v_cmpx_ne_u32_e32 0, v45
	s_cbranch_execz .LBB6_7001
; %bb.6996:                             ;   in Loop: Header=BB6_4858 Depth=2
	v_bfe_u32 v46, v45, 23, 8
	v_and_b32_e32 v41, 0x7fffff, v45
	v_cmp_gt_u32_e64 s12, 0x79, v46
	v_sub_nc_u32_e32 v47, 0x78, v46
	v_cmp_eq_u32_e32 vcc_lo, 0, v46
	v_or_b32_e32 v56, 0x800000, v41
	v_cndmask_b32_e64 v47, 0, v47, s12
	v_cndmask_b32_e32 v41, v56, v41, vcc_lo
	v_cndmask_b32_e64 v47, v47, 0x77, vcc_lo
	v_lshl_add_u32 v56, 0x100000, v47, -1
	v_lshlrev_b32_e64 v58, v47, 0x80000
	v_and_b32_e32 v56, v56, v41
	v_cmp_eq_u32_e64 s12, v56, v58
	v_lshrrev_b32_e32 v56, v47, v41
	v_add_nc_u32_e32 v41, 0xffffff89, v46
	v_lshrrev_b32_e32 v46, 23, v56
	v_cndmask_b32_e64 v41, v41, 0xffffff8a, vcc_lo
	v_xor_b32_e32 v46, 1, v46
	v_add_nc_u32_e32 v41, v47, v41
	v_bfe_u32 v47, v56, 20, 1
	v_add_nc_u32_e32 v47, -1, v47
	v_cndmask_b32_e64 v47, 0, v47, s12
	s_mov_b32 s12, exec_lo
	v_add_nc_u32_e32 v47, v47, v56
	v_and_b32_e32 v47, 0xfffff, v47
	v_add_nc_u32_e32 v47, v47, v56
                                        ; implicit-def: $vgpr56
	v_cmpx_ne_u32_e64 v41, v46
	s_xor_b32 s12, exec_lo, s12
; %bb.6997:                             ;   in Loop: Header=BB6_4858 Depth=2
	v_cmp_lt_u32_e32 vcc_lo, 0xffffff, v47
	v_sub_nc_u32_e32 v41, v41, v46
	v_cndmask_b32_e64 v46, 0, 1, vcc_lo
	v_add_co_ci_u32_e64 v56, null, 0, v41, vcc_lo
	v_lshrrev_b32_e32 v47, v46, v47
; %bb.6998:                             ;   in Loop: Header=BB6_4858 Depth=2
	s_andn2_saveexec_b32 s12, s12
; %bb.6999:                             ;   in Loop: Header=BB6_4858 Depth=2
	v_bfe_u32 v56, v47, 23, 1
; %bb.7000:                             ;   in Loop: Header=BB6_4858 Depth=2
	s_or_b32 exec_lo, exec_lo, s12
	v_and_b32_sdwa v41, v45, v102 dst_sel:DWORD dst_unused:UNUSED_PAD src0_sel:BYTE_3 src1_sel:DWORD
	v_lshrrev_b32_e32 v45, 20, v47
	v_min_i32_e32 v46, 15, v56
	v_cmp_gt_i32_e32 vcc_lo, 16, v56
	v_lshlrev_b32_e32 v46, 3, v46
	v_cndmask_b32_e32 v45, 7, v45, vcc_lo
	v_and_b32_e32 v46, 0xf8, v46
	v_or_b32_e32 v47, v56, v45
	v_and_b32_e32 v45, 7, v45
	v_cmp_ne_u32_e32 vcc_lo, 0, v47
	v_or3_b32 v41, v41, v46, v45
	v_lshlrev_b32_e32 v41, 8, v41
	v_cndmask_b32_e32 v41, 0, v41, vcc_lo
.LBB6_7001:                             ;   in Loop: Header=BB6_4858 Depth=2
	s_or_b32 exec_lo, exec_lo, s40
.LBB6_7002:                             ;   in Loop: Header=BB6_4858 Depth=2
	s_or_b32 exec_lo, exec_lo, s29
	v_or_b32_e32 v117, v40, v117
	s_mov_b32 s29, 0
	v_cmp_gt_i16_sdwa s12, v117, v101 src0_sel:BYTE_0 src1_sel:DWORD
	s_and_saveexec_b32 s40, s12
	s_xor_b32 s12, exec_lo, s40
	s_cbranch_execz .LBB6_7416
; %bb.7003:                             ;   in Loop: Header=BB6_4858 Depth=2
	v_cmp_eq_u16_sdwa s41, v117, v102 src0_sel:BYTE_0 src1_sel:DWORD
	s_mov_b32 s29, -1
	s_and_saveexec_b32 s40, s41
; %bb.7004:                             ;   in Loop: Header=BB6_4858 Depth=2
	s_xor_b32 s29, exec_lo, -1
; %bb.7005:                             ;   in Loop: Header=BB6_4858 Depth=2
	s_or_b32 exec_lo, exec_lo, s40
	s_and_b32 s29, s29, exec_lo
	s_or_saveexec_b32 s12, s12
	v_mov_b32_e32 v40, 0x7f800001
	s_xor_b32 exec_lo, exec_lo, s12
	s_cbranch_execnz .LBB6_7417
.LBB6_7006:                             ;   in Loop: Header=BB6_4858 Depth=2
	s_or_b32 exec_lo, exec_lo, s12
	v_lshl_or_b32 v117, v117, 16, v44
	s_and_saveexec_b32 s12, s29
	s_cbranch_execz .LBB6_7008
.LBB6_7007:                             ;   in Loop: Header=BB6_4858 Depth=2
	v_bfe_u32 v40, v117, 16, 3
	v_bfe_u32 v44, v117, 19, 4
	v_ffbh_u32_e32 v45, v40
	v_cmp_eq_u32_e32 vcc_lo, 0, v44
	v_min_u32_e32 v45, 32, v45
	v_subrev_nc_u32_e32 v46, 28, v45
	v_sub_nc_u32_e32 v45, 29, v45
	v_lshlrev_b32_sdwa v46, v46, v117 dst_sel:DWORD dst_unused:UNUSED_PAD src0_sel:DWORD src1_sel:WORD_1
	v_cndmask_b32_e32 v44, v44, v45, vcc_lo
	v_lshlrev_b32_e32 v45, 8, v117
	v_and_b32_e32 v46, 7, v46
	v_lshl_add_u32 v44, v44, 23, 0x3b800000
	v_and_b32_e32 v45, 0x80000000, v45
	v_cndmask_b32_e32 v40, v40, v46, vcc_lo
	v_lshlrev_b32_e32 v40, 20, v40
	v_or3_b32 v40, v45, v44, v40
.LBB6_7008:                             ;   in Loop: Header=BB6_4858 Depth=2
	s_or_b32 exec_lo, exec_lo, s12
	v_and_b32_sdwa v45, v13, v113 dst_sel:DWORD dst_unused:UNUSED_PAD src0_sel:WORD_1 src1_sel:DWORD
	s_mov_b32 s29, 0
	s_mov_b32 s12, exec_lo
	v_cmpx_lt_i16_e32 0x7f, v45
	s_xor_b32 s12, exec_lo, s12
	s_cbranch_execz .LBB6_7418
; %bb.7009:                             ;   in Loop: Header=BB6_4858 Depth=2
	s_mov_b32 s29, -1
	s_mov_b32 s40, exec_lo
	v_cmpx_eq_u16_e32 0x80, v45
; %bb.7010:                             ;   in Loop: Header=BB6_4858 Depth=2
	s_xor_b32 s29, exec_lo, -1
; %bb.7011:                             ;   in Loop: Header=BB6_4858 Depth=2
	s_or_b32 exec_lo, exec_lo, s40
	s_and_b32 s29, s29, exec_lo
                                        ; implicit-def: $vgpr45
	s_or_saveexec_b32 s12, s12
	v_mov_b32_e32 v44, 0x7f800001
	s_xor_b32 exec_lo, exec_lo, s12
	s_cbranch_execnz .LBB6_7419
.LBB6_7012:                             ;   in Loop: Header=BB6_4858 Depth=2
	s_or_b32 exec_lo, exec_lo, s12
	s_and_saveexec_b32 s12, s29
	s_cbranch_execz .LBB6_7014
.LBB6_7013:                             ;   in Loop: Header=BB6_4858 Depth=2
	v_bfe_u32 v44, v13, 16, 3
	v_bfe_u32 v45, v13, 19, 4
	v_ffbh_u32_e32 v46, v44
	v_cmp_eq_u32_e32 vcc_lo, 0, v45
	v_min_u32_e32 v46, 32, v46
	v_subrev_nc_u32_e32 v47, 28, v46
	v_sub_nc_u32_e32 v46, 29, v46
	v_lshlrev_b32_sdwa v47, v47, v13 dst_sel:DWORD dst_unused:UNUSED_PAD src0_sel:DWORD src1_sel:WORD_1
	v_cndmask_b32_e32 v45, v45, v46, vcc_lo
	v_lshlrev_b32_e32 v46, 8, v13
	v_and_b32_e32 v47, 7, v47
	v_lshl_add_u32 v45, v45, 23, 0x3b800000
	v_and_b32_e32 v46, 0x80000000, v46
	v_cndmask_b32_e32 v44, v44, v47, vcc_lo
	v_lshlrev_b32_e32 v44, 20, v44
	v_or3_b32 v44, v46, v45, v44
.LBB6_7014:                             ;   in Loop: Header=BB6_4858 Depth=2
	s_or_b32 exec_lo, exec_lo, s12
	v_add_f32_e32 v44, v40, v44
	v_and_b32_e32 v40, 0x7f800000, v44
	v_cmp_ne_u32_e32 vcc_lo, 0x7f800000, v40
	v_mov_b32_e32 v40, 0x80
	s_and_saveexec_b32 s29, vcc_lo
	s_cbranch_execz .LBB6_7022
; %bb.7015:                             ;   in Loop: Header=BB6_4858 Depth=2
	v_mov_b32_e32 v40, 0
	s_mov_b32 s40, exec_lo
	v_cmpx_ne_u32_e32 0, v44
	s_cbranch_execz .LBB6_7021
; %bb.7016:                             ;   in Loop: Header=BB6_4858 Depth=2
	v_bfe_u32 v45, v44, 23, 8
	v_and_b32_e32 v40, 0x7fffff, v44
	v_cmp_gt_u32_e64 s12, 0x79, v45
	v_sub_nc_u32_e32 v46, 0x78, v45
	v_cmp_eq_u32_e32 vcc_lo, 0, v45
	v_or_b32_e32 v47, 0x800000, v40
	v_cndmask_b32_e64 v46, 0, v46, s12
	v_cndmask_b32_e32 v40, v47, v40, vcc_lo
	v_cndmask_b32_e64 v46, v46, 0x77, vcc_lo
	v_lshl_add_u32 v47, 0x100000, v46, -1
	v_lshlrev_b32_e64 v56, v46, 0x80000
	v_and_b32_e32 v47, v47, v40
	v_cmp_eq_u32_e64 s12, v47, v56
	v_lshrrev_b32_e32 v47, v46, v40
	v_add_nc_u32_e32 v40, 0xffffff89, v45
	v_lshrrev_b32_e32 v45, 23, v47
	v_cndmask_b32_e64 v40, v40, 0xffffff8a, vcc_lo
	v_xor_b32_e32 v45, 1, v45
	v_add_nc_u32_e32 v40, v46, v40
	v_bfe_u32 v46, v47, 20, 1
	v_add_nc_u32_e32 v46, -1, v46
	v_cndmask_b32_e64 v46, 0, v46, s12
	s_mov_b32 s12, exec_lo
	v_add_nc_u32_e32 v46, v46, v47
	v_and_b32_e32 v46, 0xfffff, v46
	v_add_nc_u32_e32 v46, v46, v47
                                        ; implicit-def: $vgpr47
	v_cmpx_ne_u32_e64 v40, v45
	s_xor_b32 s12, exec_lo, s12
; %bb.7017:                             ;   in Loop: Header=BB6_4858 Depth=2
	v_cmp_lt_u32_e32 vcc_lo, 0xffffff, v46
	v_sub_nc_u32_e32 v40, v40, v45
	v_cndmask_b32_e64 v45, 0, 1, vcc_lo
	v_add_co_ci_u32_e64 v47, null, 0, v40, vcc_lo
	v_lshrrev_b32_e32 v46, v45, v46
; %bb.7018:                             ;   in Loop: Header=BB6_4858 Depth=2
	s_andn2_saveexec_b32 s12, s12
; %bb.7019:                             ;   in Loop: Header=BB6_4858 Depth=2
	v_bfe_u32 v47, v46, 23, 1
; %bb.7020:                             ;   in Loop: Header=BB6_4858 Depth=2
	s_or_b32 exec_lo, exec_lo, s12
	v_and_b32_sdwa v40, v44, v102 dst_sel:DWORD dst_unused:UNUSED_PAD src0_sel:BYTE_3 src1_sel:DWORD
	v_lshrrev_b32_e32 v44, 20, v46
	v_min_i32_e32 v45, 15, v47
	v_cmp_gt_i32_e32 vcc_lo, 16, v47
	v_lshlrev_b32_e32 v45, 3, v45
	v_cndmask_b32_e32 v44, 7, v44, vcc_lo
	v_and_b32_e32 v45, 0xf8, v45
	v_or_b32_e32 v46, v47, v44
	v_and_b32_e32 v44, 7, v44
	v_cmp_ne_u32_e32 vcc_lo, 0, v46
	v_or3_b32 v40, v45, v40, v44
	v_cndmask_b32_e32 v40, 0, v40, vcc_lo
.LBB6_7021:                             ;   in Loop: Header=BB6_4858 Depth=2
	s_or_b32 exec_lo, exec_lo, s40
.LBB6_7022:                             ;   in Loop: Header=BB6_4858 Depth=2
	s_or_b32 exec_lo, exec_lo, s29
	v_cmp_gt_i16_sdwa s29, v117, v101 src0_sel:BYTE_3 src1_sel:DWORD
	s_mov_b32 s12, 0
	s_and_saveexec_b32 s40, s29
	s_xor_b32 s29, exec_lo, s40
	s_cbranch_execz .LBB6_7420
; %bb.7023:                             ;   in Loop: Header=BB6_4858 Depth=2
	v_cmp_eq_u16_sdwa s41, v117, v102 src0_sel:BYTE_3 src1_sel:DWORD
	s_mov_b32 s12, -1
	s_and_saveexec_b32 s40, s41
; %bb.7024:                             ;   in Loop: Header=BB6_4858 Depth=2
	s_xor_b32 s12, exec_lo, -1
; %bb.7025:                             ;   in Loop: Header=BB6_4858 Depth=2
	s_or_b32 exec_lo, exec_lo, s40
	s_and_b32 s12, s12, exec_lo
	s_or_saveexec_b32 s29, s29
	v_mov_b32_e32 v44, 0x7f800001
	s_xor_b32 exec_lo, exec_lo, s29
	s_cbranch_execnz .LBB6_7421
.LBB6_7026:                             ;   in Loop: Header=BB6_4858 Depth=2
	s_or_b32 exec_lo, exec_lo, s29
	s_and_saveexec_b32 s29, s12
	s_cbranch_execz .LBB6_7028
.LBB6_7027:                             ;   in Loop: Header=BB6_4858 Depth=2
	v_bfe_u32 v44, v117, 24, 3
	v_bfe_u32 v47, v117, 27, 4
	v_ffbh_u32_e32 v45, v44
	v_cmp_eq_u32_e32 vcc_lo, 0, v47
	v_min_u32_e32 v45, 32, v45
	v_subrev_nc_u32_e32 v46, 28, v45
	v_sub_nc_u32_e32 v45, 29, v45
	v_lshlrev_b32_sdwa v46, v46, v117 dst_sel:DWORD dst_unused:UNUSED_PAD src0_sel:DWORD src1_sel:BYTE_3
	v_cndmask_b32_e32 v45, v47, v45, vcc_lo
	v_and_b32_e32 v117, 0x80000000, v117
	v_and_b32_e32 v46, 7, v46
	v_lshl_add_u32 v45, v45, 23, 0x3b800000
	v_cndmask_b32_e32 v44, v44, v46, vcc_lo
	v_lshlrev_b32_e32 v44, 20, v44
	v_or3_b32 v44, v117, v45, v44
.LBB6_7028:                             ;   in Loop: Header=BB6_4858 Depth=2
	s_or_b32 exec_lo, exec_lo, s29
	v_cmp_gt_i16_sdwa s29, v13, v101 src0_sel:BYTE_3 src1_sel:DWORD
	s_mov_b32 s12, 0
	s_and_saveexec_b32 s40, s29
	s_xor_b32 s29, exec_lo, s40
	s_cbranch_execz .LBB6_7422
; %bb.7029:                             ;   in Loop: Header=BB6_4858 Depth=2
	v_cmp_eq_u16_sdwa s41, v13, v102 src0_sel:BYTE_3 src1_sel:DWORD
	s_mov_b32 s12, -1
	s_and_saveexec_b32 s40, s41
; %bb.7030:                             ;   in Loop: Header=BB6_4858 Depth=2
	s_xor_b32 s12, exec_lo, -1
; %bb.7031:                             ;   in Loop: Header=BB6_4858 Depth=2
	s_or_b32 exec_lo, exec_lo, s40
	s_and_b32 s12, s12, exec_lo
	s_or_saveexec_b32 s29, s29
	v_mov_b32_e32 v117, 0x7f800001
	s_xor_b32 exec_lo, exec_lo, s29
	s_cbranch_execnz .LBB6_7423
.LBB6_7032:                             ;   in Loop: Header=BB6_4858 Depth=2
	s_or_b32 exec_lo, exec_lo, s29
	s_and_saveexec_b32 s29, s12
	s_cbranch_execz .LBB6_7034
.LBB6_7033:                             ;   in Loop: Header=BB6_4858 Depth=2
	v_bfe_u32 v117, v13, 24, 3
	v_bfe_u32 v47, v13, 27, 4
	v_ffbh_u32_e32 v45, v117
	v_cmp_eq_u32_e32 vcc_lo, 0, v47
	v_min_u32_e32 v45, 32, v45
	v_subrev_nc_u32_e32 v46, 28, v45
	v_sub_nc_u32_e32 v45, 29, v45
	v_lshlrev_b32_sdwa v46, v46, v13 dst_sel:DWORD dst_unused:UNUSED_PAD src0_sel:DWORD src1_sel:BYTE_3
	v_cndmask_b32_e32 v45, v47, v45, vcc_lo
	v_and_b32_e32 v13, 0x80000000, v13
	v_and_b32_e32 v46, 7, v46
	v_lshl_add_u32 v45, v45, 23, 0x3b800000
	v_cndmask_b32_e32 v117, v117, v46, vcc_lo
	v_lshlrev_b32_e32 v117, 20, v117
	v_or3_b32 v117, v13, v45, v117
.LBB6_7034:                             ;   in Loop: Header=BB6_4858 Depth=2
	s_or_b32 exec_lo, exec_lo, s29
	v_add_f32_e32 v13, v44, v117
	v_and_b32_e32 v117, 0x7f800000, v13
	v_cmp_ne_u32_e32 vcc_lo, 0x7f800000, v117
	v_mov_b32_e32 v117, 0x8000
	s_and_saveexec_b32 s29, vcc_lo
	s_cbranch_execz .LBB6_4857
; %bb.7035:                             ;   in Loop: Header=BB6_4858 Depth=2
	v_mov_b32_e32 v117, 0
	s_mov_b32 s40, exec_lo
	v_cmpx_ne_u32_e32 0, v13
	s_cbranch_execz .LBB6_4856
; %bb.7036:                             ;   in Loop: Header=BB6_4858 Depth=2
	v_bfe_u32 v44, v13, 23, 8
	v_and_b32_e32 v117, 0x7fffff, v13
	v_cmp_gt_u32_e64 s12, 0x79, v44
	v_sub_nc_u32_e32 v45, 0x78, v44
	v_cmp_eq_u32_e32 vcc_lo, 0, v44
	v_or_b32_e32 v46, 0x800000, v117
	v_cndmask_b32_e64 v45, 0, v45, s12
	v_cndmask_b32_e32 v117, v46, v117, vcc_lo
	v_cndmask_b32_e64 v45, v45, 0x77, vcc_lo
	v_lshl_add_u32 v46, 0x100000, v45, -1
	v_lshlrev_b32_e64 v47, v45, 0x80000
	v_and_b32_e32 v46, v46, v117
	v_cmp_eq_u32_e64 s12, v46, v47
	v_lshrrev_b32_e32 v46, v45, v117
	v_add_nc_u32_e32 v117, 0xffffff89, v44
	v_lshrrev_b32_e32 v44, 23, v46
	v_cndmask_b32_e64 v117, v117, 0xffffff8a, vcc_lo
	v_xor_b32_e32 v44, 1, v44
	v_add_nc_u32_e32 v117, v45, v117
	v_bfe_u32 v45, v46, 20, 1
	v_add_nc_u32_e32 v45, -1, v45
	v_cndmask_b32_e64 v45, 0, v45, s12
	s_mov_b32 s12, exec_lo
	v_add_nc_u32_e32 v45, v45, v46
	v_and_b32_e32 v45, 0xfffff, v45
	v_add_nc_u32_e32 v45, v45, v46
                                        ; implicit-def: $vgpr46
	v_cmpx_ne_u32_e64 v117, v44
	s_xor_b32 s12, exec_lo, s12
; %bb.7037:                             ;   in Loop: Header=BB6_4858 Depth=2
	v_cmp_lt_u32_e32 vcc_lo, 0xffffff, v45
	v_sub_nc_u32_e32 v117, v117, v44
	v_cndmask_b32_e64 v44, 0, 1, vcc_lo
	v_add_co_ci_u32_e64 v46, null, 0, v117, vcc_lo
	v_lshrrev_b32_e32 v45, v44, v45
; %bb.7038:                             ;   in Loop: Header=BB6_4858 Depth=2
	s_andn2_saveexec_b32 s12, s12
	s_cbranch_execz .LBB6_4855
; %bb.7039:                             ;   in Loop: Header=BB6_4858 Depth=2
	v_bfe_u32 v46, v45, 23, 1
	s_branch .LBB6_4855
.LBB6_7040:                             ;   in Loop: Header=BB6_4858 Depth=2
	s_or_saveexec_b32 s40, s40
	v_mov_b32_e32 v0, 0x7f800001
	s_xor_b32 exec_lo, exec_lo, s40
	s_cbranch_execz .LBB6_4870
.LBB6_7041:                             ;   in Loop: Header=BB6_4858 Depth=2
	v_cmp_ne_u16_sdwa s41, v10, v51 src0_sel:BYTE_0 src1_sel:DWORD
	v_mov_b32_e32 v0, 0
	s_andn2_b32 s12, s12, exec_lo
	s_and_b32 s41, s41, exec_lo
	s_or_b32 s12, s12, s41
	s_or_b32 exec_lo, exec_lo, s40
	s_and_saveexec_b32 s40, s12
	s_cbranch_execnz .LBB6_4871
	s_branch .LBB6_4872
.LBB6_7042:                             ;   in Loop: Header=BB6_4858 Depth=2
	s_or_saveexec_b32 s40, s40
	v_mov_b32_e32 v0, 0x7f800001
	s_xor_b32 exec_lo, exec_lo, s40
	s_cbranch_execz .LBB6_4884
.LBB6_7043:                             ;   in Loop: Header=BB6_4858 Depth=2
	v_cmp_ne_u16_sdwa s41, v10, v51 src0_sel:BYTE_1 src1_sel:DWORD
	v_mov_b32_e32 v0, 0
	s_andn2_b32 s12, s12, exec_lo
	s_and_b32 s41, s41, exec_lo
	s_or_b32 s12, s12, s41
	s_or_b32 exec_lo, exec_lo, s40
	s_and_saveexec_b32 s40, s12
	s_cbranch_execnz .LBB6_4885
	s_branch .LBB6_4886
.LBB6_7044:                             ;   in Loop: Header=BB6_4858 Depth=2
	s_or_saveexec_b32 s40, s40
	v_mov_b32_e32 v0, 0x7f800001
	s_xor_b32 exec_lo, exec_lo, s40
	s_cbranch_execz .LBB6_4898
.LBB6_7045:                             ;   in Loop: Header=BB6_4858 Depth=2
	v_cmp_ne_u16_e32 vcc_lo, 0, v1
	v_mov_b32_e32 v0, 0
	s_andn2_b32 s12, s12, exec_lo
	s_and_b32 s41, vcc_lo, exec_lo
	s_or_b32 s12, s12, s41
	s_or_b32 exec_lo, exec_lo, s40
	s_and_saveexec_b32 s40, s12
	s_cbranch_execnz .LBB6_4899
	s_branch .LBB6_4900
.LBB6_7046:                             ;   in Loop: Header=BB6_4858 Depth=2
	s_or_saveexec_b32 s40, s40
	v_mov_b32_e32 v0, 0x7f800001
	s_xor_b32 exec_lo, exec_lo, s40
	s_cbranch_execz .LBB6_4912
.LBB6_7047:                             ;   in Loop: Header=BB6_4858 Depth=2
	v_cmp_ne_u16_sdwa s41, v10, v51 src0_sel:BYTE_3 src1_sel:DWORD
	v_mov_b32_e32 v0, 0
	s_andn2_b32 s12, s12, exec_lo
	s_and_b32 s41, s41, exec_lo
	s_or_b32 s12, s12, s41
	s_or_b32 exec_lo, exec_lo, s40
	s_and_saveexec_b32 s40, s12
	s_cbranch_execnz .LBB6_4913
	s_branch .LBB6_4914
.LBB6_7048:                             ;   in Loop: Header=BB6_4858 Depth=2
	s_or_saveexec_b32 s40, s40
	v_mov_b32_e32 v0, 0x7f800001
	s_xor_b32 exec_lo, exec_lo, s40
	s_cbranch_execz .LBB6_4926
.LBB6_7049:                             ;   in Loop: Header=BB6_4858 Depth=2
	v_cmp_ne_u16_sdwa s41, v11, v51 src0_sel:BYTE_0 src1_sel:DWORD
	v_mov_b32_e32 v0, 0
	s_andn2_b32 s12, s12, exec_lo
	s_and_b32 s41, s41, exec_lo
	s_or_b32 s12, s12, s41
	s_or_b32 exec_lo, exec_lo, s40
	s_and_saveexec_b32 s40, s12
	s_cbranch_execnz .LBB6_4927
	s_branch .LBB6_4928
.LBB6_7050:                             ;   in Loop: Header=BB6_4858 Depth=2
	s_or_saveexec_b32 s40, s40
	v_mov_b32_e32 v0, 0x7f800001
	s_xor_b32 exec_lo, exec_lo, s40
	s_cbranch_execz .LBB6_4940
.LBB6_7051:                             ;   in Loop: Header=BB6_4858 Depth=2
	v_cmp_ne_u16_sdwa s41, v11, v51 src0_sel:BYTE_1 src1_sel:DWORD
	v_mov_b32_e32 v0, 0
	s_andn2_b32 s12, s12, exec_lo
	s_and_b32 s41, s41, exec_lo
	s_or_b32 s12, s12, s41
	s_or_b32 exec_lo, exec_lo, s40
	s_and_saveexec_b32 s40, s12
	s_cbranch_execnz .LBB6_4941
	s_branch .LBB6_4942
.LBB6_7052:                             ;   in Loop: Header=BB6_4858 Depth=2
	s_or_saveexec_b32 s40, s40
	v_mov_b32_e32 v0, 0x7f800001
	s_xor_b32 exec_lo, exec_lo, s40
	s_cbranch_execz .LBB6_4954
.LBB6_7053:                             ;   in Loop: Header=BB6_4858 Depth=2
	v_cmp_ne_u16_e32 vcc_lo, 0, v1
	v_mov_b32_e32 v0, 0
	s_andn2_b32 s12, s12, exec_lo
	s_and_b32 s41, vcc_lo, exec_lo
	s_or_b32 s12, s12, s41
	s_or_b32 exec_lo, exec_lo, s40
	s_and_saveexec_b32 s40, s12
	s_cbranch_execnz .LBB6_4955
	s_branch .LBB6_4956
.LBB6_7054:                             ;   in Loop: Header=BB6_4858 Depth=2
	s_or_saveexec_b32 s40, s40
	v_mov_b32_e32 v0, 0x7f800001
	s_xor_b32 exec_lo, exec_lo, s40
	s_cbranch_execz .LBB6_4968
.LBB6_7055:                             ;   in Loop: Header=BB6_4858 Depth=2
	v_cmp_ne_u16_sdwa s41, v11, v51 src0_sel:BYTE_3 src1_sel:DWORD
	v_mov_b32_e32 v0, 0
	s_andn2_b32 s12, s12, exec_lo
	s_and_b32 s41, s41, exec_lo
	s_or_b32 s12, s12, s41
	s_or_b32 exec_lo, exec_lo, s40
	s_and_saveexec_b32 s40, s12
	s_cbranch_execnz .LBB6_4969
	s_branch .LBB6_4970
.LBB6_7056:                             ;   in Loop: Header=BB6_4858 Depth=2
	s_or_saveexec_b32 s40, s40
	v_mov_b32_e32 v0, 0x7f800001
	s_xor_b32 exec_lo, exec_lo, s40
	s_cbranch_execz .LBB6_4982
.LBB6_7057:                             ;   in Loop: Header=BB6_4858 Depth=2
	v_cmp_ne_u16_sdwa s41, v12, v51 src0_sel:BYTE_0 src1_sel:DWORD
	v_mov_b32_e32 v0, 0
	s_andn2_b32 s12, s12, exec_lo
	s_and_b32 s41, s41, exec_lo
	s_or_b32 s12, s12, s41
	s_or_b32 exec_lo, exec_lo, s40
	s_and_saveexec_b32 s40, s12
	s_cbranch_execnz .LBB6_4983
	s_branch .LBB6_4984
.LBB6_7058:                             ;   in Loop: Header=BB6_4858 Depth=2
	s_or_saveexec_b32 s40, s40
	v_mov_b32_e32 v0, 0x7f800001
	s_xor_b32 exec_lo, exec_lo, s40
	s_cbranch_execz .LBB6_4996
.LBB6_7059:                             ;   in Loop: Header=BB6_4858 Depth=2
	v_cmp_ne_u16_sdwa s41, v12, v51 src0_sel:BYTE_1 src1_sel:DWORD
	v_mov_b32_e32 v0, 0
	s_andn2_b32 s12, s12, exec_lo
	s_and_b32 s41, s41, exec_lo
	s_or_b32 s12, s12, s41
	s_or_b32 exec_lo, exec_lo, s40
	s_and_saveexec_b32 s40, s12
	s_cbranch_execnz .LBB6_4997
	s_branch .LBB6_4998
.LBB6_7060:                             ;   in Loop: Header=BB6_4858 Depth=2
	s_or_saveexec_b32 s40, s40
	v_mov_b32_e32 v0, 0x7f800001
	s_xor_b32 exec_lo, exec_lo, s40
	s_cbranch_execz .LBB6_5010
.LBB6_7061:                             ;   in Loop: Header=BB6_4858 Depth=2
	v_cmp_ne_u16_e32 vcc_lo, 0, v2
	v_mov_b32_e32 v0, 0
	s_andn2_b32 s12, s12, exec_lo
	s_and_b32 s41, vcc_lo, exec_lo
	s_or_b32 s12, s12, s41
	s_or_b32 exec_lo, exec_lo, s40
	s_and_saveexec_b32 s40, s12
	s_cbranch_execnz .LBB6_5011
	s_branch .LBB6_5012
.LBB6_7062:                             ;   in Loop: Header=BB6_4858 Depth=2
	s_or_saveexec_b32 s40, s40
	v_mov_b32_e32 v0, 0x7f800001
	s_xor_b32 exec_lo, exec_lo, s40
	s_cbranch_execz .LBB6_5024
.LBB6_7063:                             ;   in Loop: Header=BB6_4858 Depth=2
	v_cmp_ne_u16_sdwa s41, v12, v51 src0_sel:BYTE_3 src1_sel:DWORD
	v_mov_b32_e32 v0, 0
	s_andn2_b32 s12, s12, exec_lo
	s_and_b32 s41, s41, exec_lo
	s_or_b32 s12, s12, s41
	s_or_b32 exec_lo, exec_lo, s40
	s_and_saveexec_b32 s40, s12
	s_cbranch_execnz .LBB6_5025
	s_branch .LBB6_5026
.LBB6_7064:                             ;   in Loop: Header=BB6_4858 Depth=2
	s_or_saveexec_b32 s40, s40
	v_mov_b32_e32 v2, 0x7f800001
	s_xor_b32 exec_lo, exec_lo, s40
	s_cbranch_execz .LBB6_5038
.LBB6_7065:                             ;   in Loop: Header=BB6_4858 Depth=2
	v_cmp_ne_u16_sdwa s41, v13, v51 src0_sel:BYTE_0 src1_sel:DWORD
	v_mov_b32_e32 v2, 0
	s_andn2_b32 s12, s12, exec_lo
	s_and_b32 s41, s41, exec_lo
	s_or_b32 s12, s12, s41
	s_or_b32 exec_lo, exec_lo, s40
	s_and_saveexec_b32 s40, s12
	s_cbranch_execnz .LBB6_5039
	s_branch .LBB6_5040
.LBB6_7066:                             ;   in Loop: Header=BB6_4858 Depth=2
	s_or_saveexec_b32 s40, s40
	v_mov_b32_e32 v2, 0x7f800001
	s_xor_b32 exec_lo, exec_lo, s40
	s_cbranch_execz .LBB6_5052
.LBB6_7067:                             ;   in Loop: Header=BB6_4858 Depth=2
	v_cmp_ne_u16_sdwa s41, v13, v51 src0_sel:BYTE_1 src1_sel:DWORD
	v_mov_b32_e32 v2, 0
	s_andn2_b32 s12, s12, exec_lo
	s_and_b32 s41, s41, exec_lo
	s_or_b32 s12, s12, s41
	s_or_b32 exec_lo, exec_lo, s40
	s_and_saveexec_b32 s40, s12
	s_cbranch_execnz .LBB6_5053
	s_branch .LBB6_5054
.LBB6_7068:                             ;   in Loop: Header=BB6_4858 Depth=2
	s_or_saveexec_b32 s40, s40
	v_mov_b32_e32 v2, 0x7f800001
	s_xor_b32 exec_lo, exec_lo, s40
	s_cbranch_execz .LBB6_5066
.LBB6_7069:                             ;   in Loop: Header=BB6_4858 Depth=2
	v_cmp_ne_u16_e32 vcc_lo, 0, v3
	v_mov_b32_e32 v2, 0
	s_andn2_b32 s12, s12, exec_lo
	s_and_b32 s41, vcc_lo, exec_lo
	s_or_b32 s12, s12, s41
	s_or_b32 exec_lo, exec_lo, s40
	s_and_saveexec_b32 s40, s12
	s_cbranch_execnz .LBB6_5067
	s_branch .LBB6_5068
.LBB6_7070:                             ;   in Loop: Header=BB6_4858 Depth=2
	s_or_saveexec_b32 s40, s40
	v_mov_b32_e32 v2, 0x7f800001
	s_xor_b32 exec_lo, exec_lo, s40
	s_cbranch_execz .LBB6_5080
.LBB6_7071:                             ;   in Loop: Header=BB6_4858 Depth=2
	v_cmp_ne_u16_sdwa s41, v13, v51 src0_sel:BYTE_3 src1_sel:DWORD
	v_mov_b32_e32 v2, 0
	s_andn2_b32 s12, s12, exec_lo
	s_and_b32 s41, s41, exec_lo
	s_or_b32 s12, s12, s41
	s_or_b32 exec_lo, exec_lo, s40
	s_and_saveexec_b32 s40, s12
	s_cbranch_execnz .LBB6_5081
	s_branch .LBB6_5082
.LBB6_7072:                             ;   in Loop: Header=BB6_4858 Depth=2
	s_or_saveexec_b32 s40, s40
	v_mov_b32_e32 v2, 0x7f800001
	s_xor_b32 exec_lo, exec_lo, s40
	s_cbranch_execz .LBB6_5094
.LBB6_7073:                             ;   in Loop: Header=BB6_4858 Depth=2
	v_cmp_ne_u16_sdwa s41, v10, v51 src0_sel:BYTE_0 src1_sel:DWORD
	v_mov_b32_e32 v2, 0
	s_andn2_b32 s12, s12, exec_lo
	s_and_b32 s41, s41, exec_lo
	s_or_b32 s12, s12, s41
	s_or_b32 exec_lo, exec_lo, s40
	s_and_saveexec_b32 s40, s12
	s_cbranch_execnz .LBB6_5095
	s_branch .LBB6_5096
.LBB6_7074:                             ;   in Loop: Header=BB6_4858 Depth=2
	s_or_saveexec_b32 s40, s40
	v_mov_b32_e32 v2, 0x7f800001
	s_xor_b32 exec_lo, exec_lo, s40
	s_cbranch_execz .LBB6_5108
.LBB6_7075:                             ;   in Loop: Header=BB6_4858 Depth=2
	v_cmp_ne_u16_sdwa s41, v10, v51 src0_sel:BYTE_1 src1_sel:DWORD
	v_mov_b32_e32 v2, 0
	s_andn2_b32 s12, s12, exec_lo
	s_and_b32 s41, s41, exec_lo
	s_or_b32 s12, s12, s41
	s_or_b32 exec_lo, exec_lo, s40
	s_and_saveexec_b32 s40, s12
	s_cbranch_execnz .LBB6_5109
	s_branch .LBB6_5110
.LBB6_7076:                             ;   in Loop: Header=BB6_4858 Depth=2
	s_or_saveexec_b32 s40, s40
	v_mov_b32_e32 v2, 0x7f800001
	s_xor_b32 exec_lo, exec_lo, s40
	s_cbranch_execz .LBB6_5122
.LBB6_7077:                             ;   in Loop: Header=BB6_4858 Depth=2
	v_cmp_ne_u16_e32 vcc_lo, 0, v3
	v_mov_b32_e32 v2, 0
	s_andn2_b32 s12, s12, exec_lo
	s_and_b32 s41, vcc_lo, exec_lo
	s_or_b32 s12, s12, s41
	s_or_b32 exec_lo, exec_lo, s40
	s_and_saveexec_b32 s40, s12
	s_cbranch_execnz .LBB6_5123
	s_branch .LBB6_5124
.LBB6_7078:                             ;   in Loop: Header=BB6_4858 Depth=2
	s_or_saveexec_b32 s40, s40
	v_mov_b32_e32 v2, 0x7f800001
	s_xor_b32 exec_lo, exec_lo, s40
	s_cbranch_execz .LBB6_5136
.LBB6_7079:                             ;   in Loop: Header=BB6_4858 Depth=2
	v_cmp_ne_u16_sdwa s41, v10, v51 src0_sel:BYTE_3 src1_sel:DWORD
	v_mov_b32_e32 v2, 0
	s_andn2_b32 s12, s12, exec_lo
	s_and_b32 s41, s41, exec_lo
	s_or_b32 s12, s12, s41
	s_or_b32 exec_lo, exec_lo, s40
	s_and_saveexec_b32 s40, s12
	s_cbranch_execnz .LBB6_5137
	s_branch .LBB6_5138
.LBB6_7080:                             ;   in Loop: Header=BB6_4858 Depth=2
	s_or_saveexec_b32 s40, s40
	v_mov_b32_e32 v2, 0x7f800001
	s_xor_b32 exec_lo, exec_lo, s40
	s_cbranch_execz .LBB6_5150
.LBB6_7081:                             ;   in Loop: Header=BB6_4858 Depth=2
	v_cmp_ne_u16_sdwa s41, v11, v51 src0_sel:BYTE_0 src1_sel:DWORD
	v_mov_b32_e32 v2, 0
	s_andn2_b32 s12, s12, exec_lo
	s_and_b32 s41, s41, exec_lo
	s_or_b32 s12, s12, s41
	s_or_b32 exec_lo, exec_lo, s40
	s_and_saveexec_b32 s40, s12
	s_cbranch_execnz .LBB6_5151
	s_branch .LBB6_5152
.LBB6_7082:                             ;   in Loop: Header=BB6_4858 Depth=2
	s_or_saveexec_b32 s40, s40
	v_mov_b32_e32 v2, 0x7f800001
	s_xor_b32 exec_lo, exec_lo, s40
	s_cbranch_execz .LBB6_5164
.LBB6_7083:                             ;   in Loop: Header=BB6_4858 Depth=2
	v_cmp_ne_u16_sdwa s41, v11, v51 src0_sel:BYTE_1 src1_sel:DWORD
	v_mov_b32_e32 v2, 0
	s_andn2_b32 s12, s12, exec_lo
	s_and_b32 s41, s41, exec_lo
	s_or_b32 s12, s12, s41
	s_or_b32 exec_lo, exec_lo, s40
	s_and_saveexec_b32 s40, s12
	s_cbranch_execnz .LBB6_5165
	s_branch .LBB6_5166
.LBB6_7084:                             ;   in Loop: Header=BB6_4858 Depth=2
	s_or_saveexec_b32 s40, s40
	v_mov_b32_e32 v2, 0x7f800001
	s_xor_b32 exec_lo, exec_lo, s40
	s_cbranch_execz .LBB6_5178
.LBB6_7085:                             ;   in Loop: Header=BB6_4858 Depth=2
	v_cmp_ne_u16_e32 vcc_lo, 0, v3
	v_mov_b32_e32 v2, 0
	s_andn2_b32 s12, s12, exec_lo
	s_and_b32 s41, vcc_lo, exec_lo
	s_or_b32 s12, s12, s41
	s_or_b32 exec_lo, exec_lo, s40
	s_and_saveexec_b32 s40, s12
	s_cbranch_execnz .LBB6_5179
	s_branch .LBB6_5180
.LBB6_7086:                             ;   in Loop: Header=BB6_4858 Depth=2
	s_or_saveexec_b32 s40, s40
	v_mov_b32_e32 v2, 0x7f800001
	s_xor_b32 exec_lo, exec_lo, s40
	s_cbranch_execz .LBB6_5192
.LBB6_7087:                             ;   in Loop: Header=BB6_4858 Depth=2
	v_cmp_ne_u16_sdwa s41, v11, v51 src0_sel:BYTE_3 src1_sel:DWORD
	v_mov_b32_e32 v2, 0
	s_andn2_b32 s12, s12, exec_lo
	s_and_b32 s41, s41, exec_lo
	s_or_b32 s12, s12, s41
	s_or_b32 exec_lo, exec_lo, s40
	s_and_saveexec_b32 s40, s12
	s_cbranch_execnz .LBB6_5193
	s_branch .LBB6_5194
.LBB6_7088:                             ;   in Loop: Header=BB6_4858 Depth=2
	s_or_saveexec_b32 s40, s40
	v_mov_b32_e32 v2, 0x7f800001
	s_xor_b32 exec_lo, exec_lo, s40
	s_cbranch_execz .LBB6_5206
.LBB6_7089:                             ;   in Loop: Header=BB6_4858 Depth=2
	v_cmp_ne_u16_sdwa s41, v12, v51 src0_sel:BYTE_0 src1_sel:DWORD
	v_mov_b32_e32 v2, 0
	s_andn2_b32 s12, s12, exec_lo
	s_and_b32 s41, s41, exec_lo
	s_or_b32 s12, s12, s41
	s_or_b32 exec_lo, exec_lo, s40
	s_and_saveexec_b32 s40, s12
	s_cbranch_execnz .LBB6_5207
	s_branch .LBB6_5208
.LBB6_7090:                             ;   in Loop: Header=BB6_4858 Depth=2
	s_or_saveexec_b32 s40, s40
	v_mov_b32_e32 v2, 0x7f800001
	s_xor_b32 exec_lo, exec_lo, s40
	s_cbranch_execz .LBB6_5220
.LBB6_7091:                             ;   in Loop: Header=BB6_4858 Depth=2
	v_cmp_ne_u16_sdwa s41, v12, v51 src0_sel:BYTE_1 src1_sel:DWORD
	v_mov_b32_e32 v2, 0
	s_andn2_b32 s12, s12, exec_lo
	s_and_b32 s41, s41, exec_lo
	s_or_b32 s12, s12, s41
	s_or_b32 exec_lo, exec_lo, s40
	s_and_saveexec_b32 s40, s12
	s_cbranch_execnz .LBB6_5221
	s_branch .LBB6_5222
.LBB6_7092:                             ;   in Loop: Header=BB6_4858 Depth=2
	s_or_saveexec_b32 s40, s40
	v_mov_b32_e32 v2, 0x7f800001
	s_xor_b32 exec_lo, exec_lo, s40
	s_cbranch_execz .LBB6_5234
.LBB6_7093:                             ;   in Loop: Header=BB6_4858 Depth=2
	v_cmp_ne_u16_e32 vcc_lo, 0, v3
	v_mov_b32_e32 v2, 0
	s_andn2_b32 s12, s12, exec_lo
	s_and_b32 s41, vcc_lo, exec_lo
	s_or_b32 s12, s12, s41
	s_or_b32 exec_lo, exec_lo, s40
	s_and_saveexec_b32 s40, s12
	s_cbranch_execnz .LBB6_5235
	s_branch .LBB6_5236
.LBB6_7094:                             ;   in Loop: Header=BB6_4858 Depth=2
	s_or_saveexec_b32 s40, s40
	v_mov_b32_e32 v2, 0x7f800001
	s_xor_b32 exec_lo, exec_lo, s40
	s_cbranch_execz .LBB6_5248
.LBB6_7095:                             ;   in Loop: Header=BB6_4858 Depth=2
	v_cmp_ne_u16_sdwa s41, v12, v51 src0_sel:BYTE_3 src1_sel:DWORD
	v_mov_b32_e32 v2, 0
	s_andn2_b32 s12, s12, exec_lo
	s_and_b32 s41, s41, exec_lo
	s_or_b32 s12, s12, s41
	s_or_b32 exec_lo, exec_lo, s40
	s_and_saveexec_b32 s40, s12
	s_cbranch_execnz .LBB6_5249
	s_branch .LBB6_5250
.LBB6_7096:                             ;   in Loop: Header=BB6_4858 Depth=2
	s_or_saveexec_b32 s40, s40
	v_mov_b32_e32 v2, 0x7f800001
	s_xor_b32 exec_lo, exec_lo, s40
	s_cbranch_execz .LBB6_5262
.LBB6_7097:                             ;   in Loop: Header=BB6_4858 Depth=2
	v_cmp_ne_u16_sdwa s41, v13, v51 src0_sel:BYTE_0 src1_sel:DWORD
	v_mov_b32_e32 v2, 0
	s_andn2_b32 s12, s12, exec_lo
	s_and_b32 s41, s41, exec_lo
	s_or_b32 s12, s12, s41
	s_or_b32 exec_lo, exec_lo, s40
	s_and_saveexec_b32 s40, s12
	s_cbranch_execnz .LBB6_5263
	s_branch .LBB6_5264
.LBB6_7098:                             ;   in Loop: Header=BB6_4858 Depth=2
	s_or_saveexec_b32 s40, s40
	v_mov_b32_e32 v2, 0x7f800001
	s_xor_b32 exec_lo, exec_lo, s40
	s_cbranch_execz .LBB6_5276
.LBB6_7099:                             ;   in Loop: Header=BB6_4858 Depth=2
	v_cmp_ne_u16_sdwa s41, v13, v51 src0_sel:BYTE_1 src1_sel:DWORD
	v_mov_b32_e32 v2, 0
	s_andn2_b32 s12, s12, exec_lo
	s_and_b32 s41, s41, exec_lo
	s_or_b32 s12, s12, s41
	s_or_b32 exec_lo, exec_lo, s40
	s_and_saveexec_b32 s40, s12
	s_cbranch_execnz .LBB6_5277
	s_branch .LBB6_5278
.LBB6_7100:                             ;   in Loop: Header=BB6_4858 Depth=2
	s_or_saveexec_b32 s40, s40
	v_mov_b32_e32 v2, 0x7f800001
	s_xor_b32 exec_lo, exec_lo, s40
	s_cbranch_execz .LBB6_5290
.LBB6_7101:                             ;   in Loop: Header=BB6_4858 Depth=2
	v_cmp_ne_u16_e32 vcc_lo, 0, v3
	v_mov_b32_e32 v2, 0
	s_andn2_b32 s12, s12, exec_lo
	s_and_b32 s41, vcc_lo, exec_lo
	s_or_b32 s12, s12, s41
	s_or_b32 exec_lo, exec_lo, s40
	s_and_saveexec_b32 s40, s12
	s_cbranch_execnz .LBB6_5291
	s_branch .LBB6_5292
.LBB6_7102:                             ;   in Loop: Header=BB6_4858 Depth=2
	s_or_saveexec_b32 s40, s40
	v_mov_b32_e32 v2, 0x7f800001
	s_xor_b32 exec_lo, exec_lo, s40
	s_cbranch_execz .LBB6_5304
.LBB6_7103:                             ;   in Loop: Header=BB6_4858 Depth=2
	v_cmp_ne_u16_sdwa s41, v13, v51 src0_sel:BYTE_3 src1_sel:DWORD
	v_mov_b32_e32 v2, 0
	s_andn2_b32 s12, s12, exec_lo
	s_and_b32 s41, s41, exec_lo
	s_or_b32 s12, s12, s41
	s_or_b32 exec_lo, exec_lo, s40
	s_and_saveexec_b32 s40, s12
	s_cbranch_execnz .LBB6_5305
	s_branch .LBB6_5306
.LBB6_7104:                             ;   in Loop: Header=BB6_4858 Depth=2
	s_or_saveexec_b32 s40, s40
	v_mov_b32_e32 v2, 0x7f800001
	s_xor_b32 exec_lo, exec_lo, s40
	s_cbranch_execz .LBB6_5318
.LBB6_7105:                             ;   in Loop: Header=BB6_4858 Depth=2
	v_cmp_ne_u16_sdwa s41, v10, v51 src0_sel:BYTE_0 src1_sel:DWORD
	v_mov_b32_e32 v2, 0
	s_andn2_b32 s12, s12, exec_lo
	s_and_b32 s41, s41, exec_lo
	s_or_b32 s12, s12, s41
	s_or_b32 exec_lo, exec_lo, s40
	s_and_saveexec_b32 s40, s12
	s_cbranch_execnz .LBB6_5319
	s_branch .LBB6_5320
.LBB6_7106:                             ;   in Loop: Header=BB6_4858 Depth=2
	s_or_saveexec_b32 s40, s40
	v_mov_b32_e32 v2, 0x7f800001
	s_xor_b32 exec_lo, exec_lo, s40
	s_cbranch_execz .LBB6_5332
.LBB6_7107:                             ;   in Loop: Header=BB6_4858 Depth=2
	v_cmp_ne_u16_sdwa s41, v10, v51 src0_sel:BYTE_1 src1_sel:DWORD
	v_mov_b32_e32 v2, 0
	s_andn2_b32 s12, s12, exec_lo
	s_and_b32 s41, s41, exec_lo
	s_or_b32 s12, s12, s41
	s_or_b32 exec_lo, exec_lo, s40
	s_and_saveexec_b32 s40, s12
	s_cbranch_execnz .LBB6_5333
	s_branch .LBB6_5334
.LBB6_7108:                             ;   in Loop: Header=BB6_4858 Depth=2
	s_or_saveexec_b32 s40, s40
	v_mov_b32_e32 v4, 0x7f800001
	s_xor_b32 exec_lo, exec_lo, s40
	s_cbranch_execz .LBB6_5346
.LBB6_7109:                             ;   in Loop: Header=BB6_4858 Depth=2
	v_cmp_ne_u16_e32 vcc_lo, 0, v5
	v_mov_b32_e32 v4, 0
	s_andn2_b32 s12, s12, exec_lo
	s_and_b32 s41, vcc_lo, exec_lo
	s_or_b32 s12, s12, s41
	s_or_b32 exec_lo, exec_lo, s40
	s_and_saveexec_b32 s40, s12
	s_cbranch_execnz .LBB6_5347
	s_branch .LBB6_5348
.LBB6_7110:                             ;   in Loop: Header=BB6_4858 Depth=2
	s_or_saveexec_b32 s40, s40
	v_mov_b32_e32 v4, 0x7f800001
	s_xor_b32 exec_lo, exec_lo, s40
	s_cbranch_execz .LBB6_5360
.LBB6_7111:                             ;   in Loop: Header=BB6_4858 Depth=2
	v_cmp_ne_u16_sdwa s41, v10, v51 src0_sel:BYTE_3 src1_sel:DWORD
	v_mov_b32_e32 v4, 0
	s_andn2_b32 s12, s12, exec_lo
	s_and_b32 s41, s41, exec_lo
	s_or_b32 s12, s12, s41
	s_or_b32 exec_lo, exec_lo, s40
	s_and_saveexec_b32 s40, s12
	s_cbranch_execnz .LBB6_5361
	s_branch .LBB6_5362
.LBB6_7112:                             ;   in Loop: Header=BB6_4858 Depth=2
	s_or_saveexec_b32 s40, s40
	v_mov_b32_e32 v4, 0x7f800001
	s_xor_b32 exec_lo, exec_lo, s40
	s_cbranch_execz .LBB6_5374
.LBB6_7113:                             ;   in Loop: Header=BB6_4858 Depth=2
	v_cmp_ne_u16_sdwa s41, v11, v51 src0_sel:BYTE_0 src1_sel:DWORD
	v_mov_b32_e32 v4, 0
	s_andn2_b32 s12, s12, exec_lo
	s_and_b32 s41, s41, exec_lo
	s_or_b32 s12, s12, s41
	s_or_b32 exec_lo, exec_lo, s40
	s_and_saveexec_b32 s40, s12
	s_cbranch_execnz .LBB6_5375
	s_branch .LBB6_5376
.LBB6_7114:                             ;   in Loop: Header=BB6_4858 Depth=2
	s_or_saveexec_b32 s40, s40
	v_mov_b32_e32 v4, 0x7f800001
	s_xor_b32 exec_lo, exec_lo, s40
	s_cbranch_execz .LBB6_5388
.LBB6_7115:                             ;   in Loop: Header=BB6_4858 Depth=2
	v_cmp_ne_u16_sdwa s41, v11, v51 src0_sel:BYTE_1 src1_sel:DWORD
	v_mov_b32_e32 v4, 0
	s_andn2_b32 s12, s12, exec_lo
	s_and_b32 s41, s41, exec_lo
	s_or_b32 s12, s12, s41
	s_or_b32 exec_lo, exec_lo, s40
	s_and_saveexec_b32 s40, s12
	s_cbranch_execnz .LBB6_5389
	s_branch .LBB6_5390
.LBB6_7116:                             ;   in Loop: Header=BB6_4858 Depth=2
	s_or_saveexec_b32 s40, s40
	v_mov_b32_e32 v4, 0x7f800001
	s_xor_b32 exec_lo, exec_lo, s40
	s_cbranch_execz .LBB6_5402
.LBB6_7117:                             ;   in Loop: Header=BB6_4858 Depth=2
	v_cmp_ne_u16_e32 vcc_lo, 0, v5
	v_mov_b32_e32 v4, 0
	s_andn2_b32 s12, s12, exec_lo
	s_and_b32 s41, vcc_lo, exec_lo
	s_or_b32 s12, s12, s41
	s_or_b32 exec_lo, exec_lo, s40
	s_and_saveexec_b32 s40, s12
	s_cbranch_execnz .LBB6_5403
	s_branch .LBB6_5404
.LBB6_7118:                             ;   in Loop: Header=BB6_4858 Depth=2
	s_or_saveexec_b32 s40, s40
	v_mov_b32_e32 v4, 0x7f800001
	s_xor_b32 exec_lo, exec_lo, s40
	s_cbranch_execz .LBB6_5416
.LBB6_7119:                             ;   in Loop: Header=BB6_4858 Depth=2
	v_cmp_ne_u16_sdwa s41, v11, v51 src0_sel:BYTE_3 src1_sel:DWORD
	v_mov_b32_e32 v4, 0
	s_andn2_b32 s12, s12, exec_lo
	s_and_b32 s41, s41, exec_lo
	s_or_b32 s12, s12, s41
	s_or_b32 exec_lo, exec_lo, s40
	s_and_saveexec_b32 s40, s12
	s_cbranch_execnz .LBB6_5417
	s_branch .LBB6_5418
.LBB6_7120:                             ;   in Loop: Header=BB6_4858 Depth=2
	s_or_saveexec_b32 s40, s40
	v_mov_b32_e32 v4, 0x7f800001
	s_xor_b32 exec_lo, exec_lo, s40
	s_cbranch_execz .LBB6_5430
.LBB6_7121:                             ;   in Loop: Header=BB6_4858 Depth=2
	v_cmp_ne_u16_sdwa s41, v12, v51 src0_sel:BYTE_0 src1_sel:DWORD
	v_mov_b32_e32 v4, 0
	s_andn2_b32 s12, s12, exec_lo
	s_and_b32 s41, s41, exec_lo
	s_or_b32 s12, s12, s41
	s_or_b32 exec_lo, exec_lo, s40
	s_and_saveexec_b32 s40, s12
	s_cbranch_execnz .LBB6_5431
	s_branch .LBB6_5432
.LBB6_7122:                             ;   in Loop: Header=BB6_4858 Depth=2
	s_or_saveexec_b32 s40, s40
	v_mov_b32_e32 v4, 0x7f800001
	s_xor_b32 exec_lo, exec_lo, s40
	s_cbranch_execz .LBB6_5444
.LBB6_7123:                             ;   in Loop: Header=BB6_4858 Depth=2
	v_cmp_ne_u16_sdwa s41, v12, v51 src0_sel:BYTE_1 src1_sel:DWORD
	v_mov_b32_e32 v4, 0
	s_andn2_b32 s12, s12, exec_lo
	s_and_b32 s41, s41, exec_lo
	s_or_b32 s12, s12, s41
	s_or_b32 exec_lo, exec_lo, s40
	s_and_saveexec_b32 s40, s12
	s_cbranch_execnz .LBB6_5445
	s_branch .LBB6_5446
.LBB6_7124:                             ;   in Loop: Header=BB6_4858 Depth=2
	s_or_saveexec_b32 s40, s40
	v_mov_b32_e32 v4, 0x7f800001
	s_xor_b32 exec_lo, exec_lo, s40
	s_cbranch_execz .LBB6_5458
.LBB6_7125:                             ;   in Loop: Header=BB6_4858 Depth=2
	v_cmp_ne_u16_e32 vcc_lo, 0, v5
	v_mov_b32_e32 v4, 0
	s_andn2_b32 s12, s12, exec_lo
	s_and_b32 s41, vcc_lo, exec_lo
	s_or_b32 s12, s12, s41
	s_or_b32 exec_lo, exec_lo, s40
	s_and_saveexec_b32 s40, s12
	s_cbranch_execnz .LBB6_5459
	s_branch .LBB6_5460
.LBB6_7126:                             ;   in Loop: Header=BB6_4858 Depth=2
	s_or_saveexec_b32 s40, s40
	v_mov_b32_e32 v4, 0x7f800001
	s_xor_b32 exec_lo, exec_lo, s40
	s_cbranch_execz .LBB6_5472
.LBB6_7127:                             ;   in Loop: Header=BB6_4858 Depth=2
	v_cmp_ne_u16_sdwa s41, v12, v51 src0_sel:BYTE_3 src1_sel:DWORD
	v_mov_b32_e32 v4, 0
	s_andn2_b32 s12, s12, exec_lo
	s_and_b32 s41, s41, exec_lo
	s_or_b32 s12, s12, s41
	s_or_b32 exec_lo, exec_lo, s40
	s_and_saveexec_b32 s40, s12
	s_cbranch_execnz .LBB6_5473
	s_branch .LBB6_5474
.LBB6_7128:                             ;   in Loop: Header=BB6_4858 Depth=2
	s_or_saveexec_b32 s40, s40
	v_mov_b32_e32 v4, 0x7f800001
	s_xor_b32 exec_lo, exec_lo, s40
	s_cbranch_execz .LBB6_5486
.LBB6_7129:                             ;   in Loop: Header=BB6_4858 Depth=2
	v_cmp_ne_u16_sdwa s41, v13, v51 src0_sel:BYTE_0 src1_sel:DWORD
	v_mov_b32_e32 v4, 0
	s_andn2_b32 s12, s12, exec_lo
	s_and_b32 s41, s41, exec_lo
	s_or_b32 s12, s12, s41
	s_or_b32 exec_lo, exec_lo, s40
	s_and_saveexec_b32 s40, s12
	s_cbranch_execnz .LBB6_5487
	s_branch .LBB6_5488
.LBB6_7130:                             ;   in Loop: Header=BB6_4858 Depth=2
	s_or_saveexec_b32 s40, s40
	v_mov_b32_e32 v4, 0x7f800001
	s_xor_b32 exec_lo, exec_lo, s40
	s_cbranch_execz .LBB6_5500
.LBB6_7131:                             ;   in Loop: Header=BB6_4858 Depth=2
	v_cmp_ne_u16_sdwa s41, v13, v51 src0_sel:BYTE_1 src1_sel:DWORD
	v_mov_b32_e32 v4, 0
	s_andn2_b32 s12, s12, exec_lo
	s_and_b32 s41, s41, exec_lo
	s_or_b32 s12, s12, s41
	s_or_b32 exec_lo, exec_lo, s40
	s_and_saveexec_b32 s40, s12
	s_cbranch_execnz .LBB6_5501
	s_branch .LBB6_5502
.LBB6_7132:                             ;   in Loop: Header=BB6_4858 Depth=2
	s_or_saveexec_b32 s40, s40
	v_mov_b32_e32 v4, 0x7f800001
	s_xor_b32 exec_lo, exec_lo, s40
	s_cbranch_execz .LBB6_5514
.LBB6_7133:                             ;   in Loop: Header=BB6_4858 Depth=2
	v_cmp_ne_u16_e32 vcc_lo, 0, v5
	v_mov_b32_e32 v4, 0
	s_andn2_b32 s12, s12, exec_lo
	s_and_b32 s41, vcc_lo, exec_lo
	s_or_b32 s12, s12, s41
	s_or_b32 exec_lo, exec_lo, s40
	s_and_saveexec_b32 s40, s12
	s_cbranch_execnz .LBB6_5515
	s_branch .LBB6_5516
.LBB6_7134:                             ;   in Loop: Header=BB6_4858 Depth=2
	s_or_saveexec_b32 s40, s40
	v_mov_b32_e32 v4, 0x7f800001
	s_xor_b32 exec_lo, exec_lo, s40
	s_cbranch_execz .LBB6_5528
.LBB6_7135:                             ;   in Loop: Header=BB6_4858 Depth=2
	v_cmp_ne_u16_sdwa s41, v13, v51 src0_sel:BYTE_3 src1_sel:DWORD
	v_mov_b32_e32 v4, 0
	s_andn2_b32 s12, s12, exec_lo
	s_and_b32 s41, s41, exec_lo
	s_or_b32 s12, s12, s41
	s_or_b32 exec_lo, exec_lo, s40
	s_and_saveexec_b32 s40, s12
	s_cbranch_execnz .LBB6_5529
	s_branch .LBB6_5530
.LBB6_7136:                             ;   in Loop: Header=BB6_4858 Depth=2
	s_or_saveexec_b32 s40, s40
	v_mov_b32_e32 v4, 0x7f800001
	s_xor_b32 exec_lo, exec_lo, s40
	s_cbranch_execz .LBB6_5542
.LBB6_7137:                             ;   in Loop: Header=BB6_4858 Depth=2
	v_cmp_ne_u16_sdwa s41, v10, v51 src0_sel:BYTE_0 src1_sel:DWORD
	v_mov_b32_e32 v4, 0
	s_andn2_b32 s12, s12, exec_lo
	s_and_b32 s41, s41, exec_lo
	s_or_b32 s12, s12, s41
	s_or_b32 exec_lo, exec_lo, s40
	s_and_saveexec_b32 s40, s12
	s_cbranch_execnz .LBB6_5543
	s_branch .LBB6_5544
.LBB6_7138:                             ;   in Loop: Header=BB6_4858 Depth=2
	s_or_saveexec_b32 s40, s40
	v_mov_b32_e32 v4, 0x7f800001
	s_xor_b32 exec_lo, exec_lo, s40
	s_cbranch_execz .LBB6_5556
.LBB6_7139:                             ;   in Loop: Header=BB6_4858 Depth=2
	v_cmp_ne_u16_sdwa s41, v10, v51 src0_sel:BYTE_1 src1_sel:DWORD
	v_mov_b32_e32 v4, 0
	s_andn2_b32 s12, s12, exec_lo
	s_and_b32 s41, s41, exec_lo
	s_or_b32 s12, s12, s41
	s_or_b32 exec_lo, exec_lo, s40
	s_and_saveexec_b32 s40, s12
	s_cbranch_execnz .LBB6_5557
	s_branch .LBB6_5558
.LBB6_7140:                             ;   in Loop: Header=BB6_4858 Depth=2
	s_or_saveexec_b32 s40, s40
	v_mov_b32_e32 v4, 0x7f800001
	s_xor_b32 exec_lo, exec_lo, s40
	s_cbranch_execz .LBB6_5570
.LBB6_7141:                             ;   in Loop: Header=BB6_4858 Depth=2
	v_cmp_ne_u16_e32 vcc_lo, 0, v5
	v_mov_b32_e32 v4, 0
	s_andn2_b32 s12, s12, exec_lo
	s_and_b32 s41, vcc_lo, exec_lo
	s_or_b32 s12, s12, s41
	s_or_b32 exec_lo, exec_lo, s40
	s_and_saveexec_b32 s40, s12
	s_cbranch_execnz .LBB6_5571
	s_branch .LBB6_5572
.LBB6_7142:                             ;   in Loop: Header=BB6_4858 Depth=2
	s_or_saveexec_b32 s40, s40
	v_mov_b32_e32 v4, 0x7f800001
	s_xor_b32 exec_lo, exec_lo, s40
	s_cbranch_execz .LBB6_5584
.LBB6_7143:                             ;   in Loop: Header=BB6_4858 Depth=2
	v_cmp_ne_u16_sdwa s41, v10, v51 src0_sel:BYTE_3 src1_sel:DWORD
	v_mov_b32_e32 v4, 0
	s_andn2_b32 s12, s12, exec_lo
	s_and_b32 s41, s41, exec_lo
	s_or_b32 s12, s12, s41
	s_or_b32 exec_lo, exec_lo, s40
	s_and_saveexec_b32 s40, s12
	s_cbranch_execnz .LBB6_5585
	s_branch .LBB6_5586
.LBB6_7144:                             ;   in Loop: Header=BB6_4858 Depth=2
	s_or_saveexec_b32 s40, s40
	v_mov_b32_e32 v4, 0x7f800001
	s_xor_b32 exec_lo, exec_lo, s40
	s_cbranch_execz .LBB6_5598
.LBB6_7145:                             ;   in Loop: Header=BB6_4858 Depth=2
	v_cmp_ne_u16_sdwa s41, v11, v51 src0_sel:BYTE_0 src1_sel:DWORD
	v_mov_b32_e32 v4, 0
	s_andn2_b32 s12, s12, exec_lo
	s_and_b32 s41, s41, exec_lo
	s_or_b32 s12, s12, s41
	s_or_b32 exec_lo, exec_lo, s40
	s_and_saveexec_b32 s40, s12
	s_cbranch_execnz .LBB6_5599
	s_branch .LBB6_5600
.LBB6_7146:                             ;   in Loop: Header=BB6_4858 Depth=2
	s_or_saveexec_b32 s40, s40
	v_mov_b32_e32 v4, 0x7f800001
	s_xor_b32 exec_lo, exec_lo, s40
	s_cbranch_execz .LBB6_5612
.LBB6_7147:                             ;   in Loop: Header=BB6_4858 Depth=2
	v_cmp_ne_u16_sdwa s41, v11, v51 src0_sel:BYTE_1 src1_sel:DWORD
	v_mov_b32_e32 v4, 0
	s_andn2_b32 s12, s12, exec_lo
	s_and_b32 s41, s41, exec_lo
	s_or_b32 s12, s12, s41
	s_or_b32 exec_lo, exec_lo, s40
	s_and_saveexec_b32 s40, s12
	s_cbranch_execnz .LBB6_5613
	s_branch .LBB6_5614
.LBB6_7148:                             ;   in Loop: Header=BB6_4858 Depth=2
	s_or_saveexec_b32 s40, s40
	v_mov_b32_e32 v4, 0x7f800001
	s_xor_b32 exec_lo, exec_lo, s40
	s_cbranch_execz .LBB6_5626
.LBB6_7149:                             ;   in Loop: Header=BB6_4858 Depth=2
	v_cmp_ne_u16_e32 vcc_lo, 0, v5
	v_mov_b32_e32 v4, 0
	s_andn2_b32 s12, s12, exec_lo
	s_and_b32 s41, vcc_lo, exec_lo
	s_or_b32 s12, s12, s41
	s_or_b32 exec_lo, exec_lo, s40
	s_and_saveexec_b32 s40, s12
	s_cbranch_execnz .LBB6_5627
	s_branch .LBB6_5628
.LBB6_7150:                             ;   in Loop: Header=BB6_4858 Depth=2
	s_or_saveexec_b32 s40, s40
	v_mov_b32_e32 v4, 0x7f800001
	s_xor_b32 exec_lo, exec_lo, s40
	s_cbranch_execz .LBB6_5640
.LBB6_7151:                             ;   in Loop: Header=BB6_4858 Depth=2
	v_cmp_ne_u16_sdwa s41, v11, v51 src0_sel:BYTE_3 src1_sel:DWORD
	v_mov_b32_e32 v4, 0
	s_andn2_b32 s12, s12, exec_lo
	s_and_b32 s41, s41, exec_lo
	s_or_b32 s12, s12, s41
	s_or_b32 exec_lo, exec_lo, s40
	s_and_saveexec_b32 s40, s12
	s_cbranch_execnz .LBB6_5641
	s_branch .LBB6_5642
.LBB6_7152:                             ;   in Loop: Header=BB6_4858 Depth=2
	s_or_saveexec_b32 s40, s40
	v_mov_b32_e32 v4, 0x7f800001
	s_xor_b32 exec_lo, exec_lo, s40
	s_cbranch_execz .LBB6_5654
.LBB6_7153:                             ;   in Loop: Header=BB6_4858 Depth=2
	v_cmp_ne_u16_sdwa s41, v12, v51 src0_sel:BYTE_0 src1_sel:DWORD
	v_mov_b32_e32 v4, 0
	s_andn2_b32 s12, s12, exec_lo
	s_and_b32 s41, s41, exec_lo
	s_or_b32 s12, s12, s41
	s_or_b32 exec_lo, exec_lo, s40
	s_and_saveexec_b32 s40, s12
	s_cbranch_execnz .LBB6_5655
	s_branch .LBB6_5656
.LBB6_7154:                             ;   in Loop: Header=BB6_4858 Depth=2
	s_or_saveexec_b32 s40, s40
	v_mov_b32_e32 v4, 0x7f800001
	s_xor_b32 exec_lo, exec_lo, s40
	s_cbranch_execz .LBB6_5668
.LBB6_7155:                             ;   in Loop: Header=BB6_4858 Depth=2
	v_cmp_ne_u16_sdwa s41, v12, v51 src0_sel:BYTE_1 src1_sel:DWORD
	v_mov_b32_e32 v4, 0
	s_andn2_b32 s12, s12, exec_lo
	s_and_b32 s41, s41, exec_lo
	s_or_b32 s12, s12, s41
	s_or_b32 exec_lo, exec_lo, s40
	s_and_saveexec_b32 s40, s12
	s_cbranch_execnz .LBB6_5669
	s_branch .LBB6_5670
.LBB6_7156:                             ;   in Loop: Header=BB6_4858 Depth=2
	s_or_saveexec_b32 s40, s40
	v_mov_b32_e32 v4, 0x7f800001
	s_xor_b32 exec_lo, exec_lo, s40
	s_cbranch_execz .LBB6_5682
.LBB6_7157:                             ;   in Loop: Header=BB6_4858 Depth=2
	v_cmp_ne_u16_e32 vcc_lo, 0, v5
	v_mov_b32_e32 v4, 0
	s_andn2_b32 s12, s12, exec_lo
	s_and_b32 s41, vcc_lo, exec_lo
	s_or_b32 s12, s12, s41
	s_or_b32 exec_lo, exec_lo, s40
	s_and_saveexec_b32 s40, s12
	s_cbranch_execnz .LBB6_5683
	s_branch .LBB6_5684
.LBB6_7158:                             ;   in Loop: Header=BB6_4858 Depth=2
	s_or_saveexec_b32 s40, s40
	v_mov_b32_e32 v4, 0x7f800001
	s_xor_b32 exec_lo, exec_lo, s40
	s_cbranch_execz .LBB6_5696
.LBB6_7159:                             ;   in Loop: Header=BB6_4858 Depth=2
	v_cmp_ne_u16_sdwa s41, v12, v51 src0_sel:BYTE_3 src1_sel:DWORD
	v_mov_b32_e32 v4, 0
	s_andn2_b32 s12, s12, exec_lo
	s_and_b32 s41, s41, exec_lo
	s_or_b32 s12, s12, s41
	s_or_b32 exec_lo, exec_lo, s40
	s_and_saveexec_b32 s40, s12
	s_cbranch_execnz .LBB6_5697
	s_branch .LBB6_5698
.LBB6_7160:                             ;   in Loop: Header=BB6_4858 Depth=2
	s_or_saveexec_b32 s40, s40
	v_mov_b32_e32 v4, 0x7f800001
	s_xor_b32 exec_lo, exec_lo, s40
	s_cbranch_execz .LBB6_5710
.LBB6_7161:                             ;   in Loop: Header=BB6_4858 Depth=2
	v_cmp_ne_u16_sdwa s41, v13, v51 src0_sel:BYTE_0 src1_sel:DWORD
	v_mov_b32_e32 v4, 0
	s_andn2_b32 s12, s12, exec_lo
	s_and_b32 s41, s41, exec_lo
	s_or_b32 s12, s12, s41
	s_or_b32 exec_lo, exec_lo, s40
	s_and_saveexec_b32 s40, s12
	s_cbranch_execnz .LBB6_5711
	s_branch .LBB6_5712
.LBB6_7162:                             ;   in Loop: Header=BB6_4858 Depth=2
	s_or_saveexec_b32 s40, s40
	v_mov_b32_e32 v4, 0x7f800001
	s_xor_b32 exec_lo, exec_lo, s40
	s_cbranch_execz .LBB6_5724
.LBB6_7163:                             ;   in Loop: Header=BB6_4858 Depth=2
	v_cmp_ne_u16_sdwa s41, v13, v51 src0_sel:BYTE_1 src1_sel:DWORD
	v_mov_b32_e32 v4, 0
	s_andn2_b32 s12, s12, exec_lo
	s_and_b32 s41, s41, exec_lo
	s_or_b32 s12, s12, s41
	s_or_b32 exec_lo, exec_lo, s40
	s_and_saveexec_b32 s40, s12
	s_cbranch_execnz .LBB6_5725
	s_branch .LBB6_5726
.LBB6_7164:                             ;   in Loop: Header=BB6_4858 Depth=2
	s_or_saveexec_b32 s12, s12
	v_mov_b32_e32 v4, 0x7f800001
	s_xor_b32 exec_lo, exec_lo, s12
	s_cbranch_execz .LBB6_5738
.LBB6_7165:                             ;   in Loop: Header=BB6_4858 Depth=2
	v_cmp_ne_u16_e32 vcc_lo, 0, v5
	v_mov_b32_e32 v4, 0
	s_andn2_b32 s40, s40, exec_lo
	s_and_b32 s41, vcc_lo, exec_lo
	s_or_b32 s40, s40, s41
	s_or_b32 exec_lo, exec_lo, s12
	s_and_saveexec_b32 s12, s40
	s_cbranch_execnz .LBB6_5739
	s_branch .LBB6_5740
.LBB6_7166:                             ;   in Loop: Header=BB6_4858 Depth=2
	s_or_saveexec_b32 s40, s40
	v_mov_b32_e32 v4, 0x7f800001
	s_xor_b32 exec_lo, exec_lo, s40
	s_cbranch_execz .LBB6_5752
.LBB6_7167:                             ;   in Loop: Header=BB6_4858 Depth=2
	v_cmp_ne_u16_sdwa s41, v13, v51 src0_sel:BYTE_3 src1_sel:DWORD
	v_mov_b32_e32 v4, 0
	s_andn2_b32 s12, s12, exec_lo
	s_and_b32 s41, s41, exec_lo
	s_or_b32 s12, s12, s41
	s_or_b32 exec_lo, exec_lo, s40
	s_and_saveexec_b32 s40, s12
	s_cbranch_execnz .LBB6_5753
	s_branch .LBB6_5754
.LBB6_7168:                             ;   in Loop: Header=BB6_4858 Depth=2
	s_or_saveexec_b32 s12, s12
	v_mov_b32_e32 v5, 0x7f800001
	s_xor_b32 exec_lo, exec_lo, s12
	s_cbranch_execz .LBB6_5766
.LBB6_7169:                             ;   in Loop: Header=BB6_4858 Depth=2
	v_cmp_ne_u16_sdwa s40, v4, v51 src0_sel:BYTE_0 src1_sel:DWORD
	v_mov_b32_e32 v5, 0
	s_andn2_b32 s29, s29, exec_lo
	s_and_b32 s40, s40, exec_lo
	s_or_b32 s29, s29, s40
	s_or_b32 exec_lo, exec_lo, s12
	s_and_saveexec_b32 s12, s29
	s_cbranch_execnz .LBB6_5767
	s_branch .LBB6_5768
.LBB6_7170:                             ;   in Loop: Header=BB6_4858 Depth=2
	s_or_saveexec_b32 s12, s12
	v_mov_b32_e32 v6, 0x7f800001
	s_xor_b32 exec_lo, exec_lo, s12
	s_cbranch_execz .LBB6_5772
.LBB6_7171:                             ;   in Loop: Header=BB6_4858 Depth=2
	v_cmp_ne_u16_sdwa s40, v22, v51 src0_sel:BYTE_0 src1_sel:DWORD
	v_mov_b32_e32 v6, 0
	s_andn2_b32 s29, s29, exec_lo
	s_and_b32 s40, s40, exec_lo
	s_or_b32 s29, s29, s40
	s_or_b32 exec_lo, exec_lo, s12
	s_and_saveexec_b32 s12, s29
	s_cbranch_execnz .LBB6_5773
	s_branch .LBB6_5774
.LBB6_7172:                             ;   in Loop: Header=BB6_4858 Depth=2
	s_or_saveexec_b32 s12, s12
	v_mov_b32_e32 v5, 0x7f800001
	s_xor_b32 exec_lo, exec_lo, s12
	s_cbranch_execz .LBB6_5786
.LBB6_7173:                             ;   in Loop: Header=BB6_4858 Depth=2
	v_cmp_ne_u16_sdwa s40, v4, v51 src0_sel:BYTE_1 src1_sel:DWORD
	v_mov_b32_e32 v5, 0
	s_andn2_b32 s29, s29, exec_lo
	s_and_b32 s40, s40, exec_lo
	s_or_b32 s29, s29, s40
	s_or_b32 exec_lo, exec_lo, s12
	s_and_saveexec_b32 s12, s29
	s_cbranch_execnz .LBB6_5787
	s_branch .LBB6_5788
.LBB6_7174:                             ;   in Loop: Header=BB6_4858 Depth=2
	s_or_saveexec_b32 s12, s12
	v_mov_b32_e32 v6, 0x7f800001
	s_xor_b32 exec_lo, exec_lo, s12
	s_cbranch_execz .LBB6_5792
.LBB6_7175:                             ;   in Loop: Header=BB6_4858 Depth=2
	v_cmp_ne_u16_sdwa s40, v22, v51 src0_sel:BYTE_1 src1_sel:DWORD
	v_mov_b32_e32 v6, 0
	s_andn2_b32 s29, s29, exec_lo
	s_and_b32 s40, s40, exec_lo
	s_or_b32 s29, s29, s40
	s_or_b32 exec_lo, exec_lo, s12
	s_and_saveexec_b32 s12, s29
	s_cbranch_execnz .LBB6_5793
	s_branch .LBB6_5794
.LBB6_7176:                             ;   in Loop: Header=BB6_4858 Depth=2
	s_or_saveexec_b32 s12, s12
	v_mov_b32_e32 v5, 0x7f800001
	s_xor_b32 exec_lo, exec_lo, s12
	s_cbranch_execz .LBB6_5806
.LBB6_7177:                             ;   in Loop: Header=BB6_4858 Depth=2
	v_cmp_ne_u16_sdwa s40, v6, v51 src0_sel:BYTE_0 src1_sel:DWORD
	v_mov_b32_e32 v5, 0
	s_andn2_b32 s29, s29, exec_lo
	s_and_b32 s40, s40, exec_lo
	s_or_b32 s29, s29, s40
	s_or_b32 exec_lo, exec_lo, s12
	v_lshl_or_b32 v4, v6, 16, v4
	s_and_saveexec_b32 s12, s29
	s_cbranch_execnz .LBB6_5807
	s_branch .LBB6_5808
.LBB6_7178:                             ;   in Loop: Header=BB6_4858 Depth=2
	s_or_saveexec_b32 s12, s12
	v_mov_b32_e32 v6, 0x7f800001
	s_xor_b32 exec_lo, exec_lo, s12
	s_cbranch_execz .LBB6_5812
.LBB6_7179:                             ;   in Loop: Header=BB6_4858 Depth=2
	v_cmp_ne_u16_e32 vcc_lo, 0, v7
	v_mov_b32_e32 v6, 0
	s_andn2_b32 s29, s29, exec_lo
	s_and_b32 s40, vcc_lo, exec_lo
	s_or_b32 s29, s29, s40
	s_or_b32 exec_lo, exec_lo, s12
	s_and_saveexec_b32 s12, s29
	s_cbranch_execnz .LBB6_5813
	s_branch .LBB6_5814
.LBB6_7180:                             ;   in Loop: Header=BB6_4858 Depth=2
	s_or_saveexec_b32 s12, s12
	v_mov_b32_e32 v5, 0x7f800001
	s_xor_b32 exec_lo, exec_lo, s12
	s_cbranch_execz .LBB6_5826
.LBB6_7181:                             ;   in Loop: Header=BB6_4858 Depth=2
	v_cmp_ne_u16_sdwa s40, v4, v51 src0_sel:BYTE_3 src1_sel:DWORD
	v_mov_b32_e32 v5, 0
	s_andn2_b32 s29, s29, exec_lo
	s_and_b32 s40, s40, exec_lo
	s_or_b32 s29, s29, s40
	s_or_b32 exec_lo, exec_lo, s12
	s_and_saveexec_b32 s12, s29
	s_cbranch_execnz .LBB6_5827
	s_branch .LBB6_5828
.LBB6_7182:                             ;   in Loop: Header=BB6_4858 Depth=2
	s_or_saveexec_b32 s12, s12
	v_mov_b32_e32 v4, 0x7f800001
	s_xor_b32 exec_lo, exec_lo, s12
	s_cbranch_execz .LBB6_5832
.LBB6_7183:                             ;   in Loop: Header=BB6_4858 Depth=2
	v_cmp_ne_u16_sdwa s40, v22, v51 src0_sel:BYTE_3 src1_sel:DWORD
	v_mov_b32_e32 v4, 0
	s_andn2_b32 s29, s29, exec_lo
	s_and_b32 s40, s40, exec_lo
	s_or_b32 s29, s29, s40
	s_or_b32 exec_lo, exec_lo, s12
	s_and_saveexec_b32 s12, s29
	s_cbranch_execnz .LBB6_5833
	s_branch .LBB6_5834
.LBB6_7184:                             ;   in Loop: Header=BB6_4858 Depth=2
	s_or_saveexec_b32 s12, s12
	v_mov_b32_e32 v5, 0x7f800001
	s_xor_b32 exec_lo, exec_lo, s12
	s_cbranch_execz .LBB6_5846
.LBB6_7185:                             ;   in Loop: Header=BB6_4858 Depth=2
	v_cmp_ne_u16_sdwa s40, v4, v51 src0_sel:BYTE_0 src1_sel:DWORD
	v_mov_b32_e32 v5, 0
	s_andn2_b32 s29, s29, exec_lo
	s_and_b32 s40, s40, exec_lo
	s_or_b32 s29, s29, s40
	s_or_b32 exec_lo, exec_lo, s12
	s_and_saveexec_b32 s12, s29
	s_cbranch_execnz .LBB6_5847
	s_branch .LBB6_5848
.LBB6_7186:                             ;   in Loop: Header=BB6_4858 Depth=2
	s_or_saveexec_b32 s12, s12
	v_mov_b32_e32 v6, 0x7f800001
	s_xor_b32 exec_lo, exec_lo, s12
	s_cbranch_execz .LBB6_5852
.LBB6_7187:                             ;   in Loop: Header=BB6_4858 Depth=2
	v_cmp_ne_u16_sdwa s40, v23, v51 src0_sel:BYTE_0 src1_sel:DWORD
	v_mov_b32_e32 v6, 0
	s_andn2_b32 s29, s29, exec_lo
	s_and_b32 s40, s40, exec_lo
	s_or_b32 s29, s29, s40
	s_or_b32 exec_lo, exec_lo, s12
	s_and_saveexec_b32 s12, s29
	s_cbranch_execnz .LBB6_5853
	s_branch .LBB6_5854
.LBB6_7188:                             ;   in Loop: Header=BB6_4858 Depth=2
	s_or_saveexec_b32 s12, s12
	v_mov_b32_e32 v5, 0x7f800001
	s_xor_b32 exec_lo, exec_lo, s12
	s_cbranch_execz .LBB6_5866
.LBB6_7189:                             ;   in Loop: Header=BB6_4858 Depth=2
	v_cmp_ne_u16_sdwa s40, v4, v51 src0_sel:BYTE_1 src1_sel:DWORD
	v_mov_b32_e32 v5, 0
	s_andn2_b32 s29, s29, exec_lo
	s_and_b32 s40, s40, exec_lo
	s_or_b32 s29, s29, s40
	s_or_b32 exec_lo, exec_lo, s12
	s_and_saveexec_b32 s12, s29
	s_cbranch_execnz .LBB6_5867
	s_branch .LBB6_5868
.LBB6_7190:                             ;   in Loop: Header=BB6_4858 Depth=2
	s_or_saveexec_b32 s12, s12
	v_mov_b32_e32 v6, 0x7f800001
	s_xor_b32 exec_lo, exec_lo, s12
	s_cbranch_execz .LBB6_5872
.LBB6_7191:                             ;   in Loop: Header=BB6_4858 Depth=2
	v_cmp_ne_u16_sdwa s40, v23, v51 src0_sel:BYTE_1 src1_sel:DWORD
	v_mov_b32_e32 v6, 0
	s_andn2_b32 s29, s29, exec_lo
	s_and_b32 s40, s40, exec_lo
	s_or_b32 s29, s29, s40
	s_or_b32 exec_lo, exec_lo, s12
	s_and_saveexec_b32 s12, s29
	s_cbranch_execnz .LBB6_5873
	s_branch .LBB6_5874
.LBB6_7192:                             ;   in Loop: Header=BB6_4858 Depth=2
	s_or_saveexec_b32 s12, s12
	v_mov_b32_e32 v5, 0x7f800001
	s_xor_b32 exec_lo, exec_lo, s12
	s_cbranch_execz .LBB6_5886
.LBB6_7193:                             ;   in Loop: Header=BB6_4858 Depth=2
	v_cmp_ne_u16_sdwa s40, v6, v51 src0_sel:BYTE_0 src1_sel:DWORD
	v_mov_b32_e32 v5, 0
	s_andn2_b32 s29, s29, exec_lo
	s_and_b32 s40, s40, exec_lo
	s_or_b32 s29, s29, s40
	s_or_b32 exec_lo, exec_lo, s12
	v_lshl_or_b32 v4, v6, 16, v4
	s_and_saveexec_b32 s12, s29
	s_cbranch_execnz .LBB6_5887
	s_branch .LBB6_5888
.LBB6_7194:                             ;   in Loop: Header=BB6_4858 Depth=2
	s_or_saveexec_b32 s12, s12
	v_mov_b32_e32 v6, 0x7f800001
	s_xor_b32 exec_lo, exec_lo, s12
	s_cbranch_execz .LBB6_5892
.LBB6_7195:                             ;   in Loop: Header=BB6_4858 Depth=2
	v_cmp_ne_u16_e32 vcc_lo, 0, v7
	v_mov_b32_e32 v6, 0
	s_andn2_b32 s29, s29, exec_lo
	s_and_b32 s40, vcc_lo, exec_lo
	s_or_b32 s29, s29, s40
	s_or_b32 exec_lo, exec_lo, s12
	s_and_saveexec_b32 s12, s29
	s_cbranch_execnz .LBB6_5893
	s_branch .LBB6_5894
.LBB6_7196:                             ;   in Loop: Header=BB6_4858 Depth=2
	s_or_saveexec_b32 s12, s12
	v_mov_b32_e32 v5, 0x7f800001
	s_xor_b32 exec_lo, exec_lo, s12
	s_cbranch_execz .LBB6_5906
.LBB6_7197:                             ;   in Loop: Header=BB6_4858 Depth=2
	v_cmp_ne_u16_sdwa s40, v4, v51 src0_sel:BYTE_3 src1_sel:DWORD
	v_mov_b32_e32 v5, 0
	s_andn2_b32 s29, s29, exec_lo
	s_and_b32 s40, s40, exec_lo
	s_or_b32 s29, s29, s40
	s_or_b32 exec_lo, exec_lo, s12
	s_and_saveexec_b32 s12, s29
	s_cbranch_execnz .LBB6_5907
	s_branch .LBB6_5908
.LBB6_7198:                             ;   in Loop: Header=BB6_4858 Depth=2
	s_or_saveexec_b32 s12, s12
	v_mov_b32_e32 v4, 0x7f800001
	s_xor_b32 exec_lo, exec_lo, s12
	s_cbranch_execz .LBB6_5912
.LBB6_7199:                             ;   in Loop: Header=BB6_4858 Depth=2
	v_cmp_ne_u16_sdwa s40, v23, v51 src0_sel:BYTE_3 src1_sel:DWORD
	v_mov_b32_e32 v4, 0
	s_andn2_b32 s29, s29, exec_lo
	s_and_b32 s40, s40, exec_lo
	s_or_b32 s29, s29, s40
	s_or_b32 exec_lo, exec_lo, s12
	s_and_saveexec_b32 s12, s29
	s_cbranch_execnz .LBB6_5913
	s_branch .LBB6_5914
.LBB6_7200:                             ;   in Loop: Header=BB6_4858 Depth=2
	s_or_saveexec_b32 s12, s12
	v_mov_b32_e32 v4, 0x7f800001
	s_xor_b32 exec_lo, exec_lo, s12
	s_cbranch_execz .LBB6_5926
.LBB6_7201:                             ;   in Loop: Header=BB6_4858 Depth=2
	v_cmp_ne_u16_sdwa s40, v1, v51 src0_sel:BYTE_0 src1_sel:DWORD
	v_mov_b32_e32 v4, 0
	s_andn2_b32 s29, s29, exec_lo
	s_and_b32 s40, s40, exec_lo
	s_or_b32 s29, s29, s40
	s_or_b32 exec_lo, exec_lo, s12
	s_and_saveexec_b32 s12, s29
	s_cbranch_execnz .LBB6_5927
	s_branch .LBB6_5928
.LBB6_7202:                             ;   in Loop: Header=BB6_4858 Depth=2
	s_or_saveexec_b32 s12, s12
	v_mov_b32_e32 v5, 0x7f800001
	s_xor_b32 exec_lo, exec_lo, s12
	s_cbranch_execz .LBB6_5932
.LBB6_7203:                             ;   in Loop: Header=BB6_4858 Depth=2
	v_cmp_ne_u16_sdwa s40, v24, v51 src0_sel:BYTE_0 src1_sel:DWORD
	v_mov_b32_e32 v5, 0
	s_andn2_b32 s29, s29, exec_lo
	s_and_b32 s40, s40, exec_lo
	s_or_b32 s29, s29, s40
	s_or_b32 exec_lo, exec_lo, s12
	s_and_saveexec_b32 s12, s29
	s_cbranch_execnz .LBB6_5933
	s_branch .LBB6_5934
.LBB6_7204:                             ;   in Loop: Header=BB6_4858 Depth=2
	s_or_saveexec_b32 s12, s12
	v_mov_b32_e32 v4, 0x7f800001
	s_xor_b32 exec_lo, exec_lo, s12
	s_cbranch_execz .LBB6_5946
.LBB6_7205:                             ;   in Loop: Header=BB6_4858 Depth=2
	v_cmp_ne_u16_sdwa s40, v1, v51 src0_sel:BYTE_1 src1_sel:DWORD
	v_mov_b32_e32 v4, 0
	s_andn2_b32 s29, s29, exec_lo
	s_and_b32 s40, s40, exec_lo
	s_or_b32 s29, s29, s40
	s_or_b32 exec_lo, exec_lo, s12
	s_and_saveexec_b32 s12, s29
	s_cbranch_execnz .LBB6_5947
	s_branch .LBB6_5948
.LBB6_7206:                             ;   in Loop: Header=BB6_4858 Depth=2
	s_or_saveexec_b32 s12, s12
	v_mov_b32_e32 v5, 0x7f800001
	s_xor_b32 exec_lo, exec_lo, s12
	s_cbranch_execz .LBB6_5952
.LBB6_7207:                             ;   in Loop: Header=BB6_4858 Depth=2
	v_cmp_ne_u16_sdwa s40, v24, v51 src0_sel:BYTE_1 src1_sel:DWORD
	v_mov_b32_e32 v5, 0
	s_andn2_b32 s29, s29, exec_lo
	s_and_b32 s40, s40, exec_lo
	s_or_b32 s29, s29, s40
	s_or_b32 exec_lo, exec_lo, s12
	s_and_saveexec_b32 s12, s29
	s_cbranch_execnz .LBB6_5953
	s_branch .LBB6_5954
.LBB6_7208:                             ;   in Loop: Header=BB6_4858 Depth=2
	s_or_saveexec_b32 s12, s12
	v_mov_b32_e32 v4, 0x7f800001
	s_xor_b32 exec_lo, exec_lo, s12
	s_cbranch_execz .LBB6_5966
.LBB6_7209:                             ;   in Loop: Header=BB6_4858 Depth=2
	v_cmp_ne_u16_sdwa s40, v0, v51 src0_sel:BYTE_0 src1_sel:DWORD
	v_mov_b32_e32 v4, 0
	s_andn2_b32 s29, s29, exec_lo
	s_and_b32 s40, s40, exec_lo
	s_or_b32 s29, s29, s40
	s_or_b32 exec_lo, exec_lo, s12
	v_lshl_or_b32 v0, v0, 16, v1
	s_and_saveexec_b32 s12, s29
	s_cbranch_execnz .LBB6_5967
	s_branch .LBB6_5968
.LBB6_7210:                             ;   in Loop: Header=BB6_4858 Depth=2
	s_or_saveexec_b32 s12, s12
	v_mov_b32_e32 v1, 0x7f800001
	s_xor_b32 exec_lo, exec_lo, s12
	s_cbranch_execz .LBB6_5972
.LBB6_7211:                             ;   in Loop: Header=BB6_4858 Depth=2
	v_cmp_ne_u16_e32 vcc_lo, 0, v5
	v_mov_b32_e32 v1, 0
	s_andn2_b32 s29, s29, exec_lo
	s_and_b32 s40, vcc_lo, exec_lo
	s_or_b32 s29, s29, s40
	s_or_b32 exec_lo, exec_lo, s12
	s_and_saveexec_b32 s12, s29
	s_cbranch_execnz .LBB6_5973
	s_branch .LBB6_5974
.LBB6_7212:                             ;   in Loop: Header=BB6_4858 Depth=2
	s_or_saveexec_b32 s12, s12
	v_mov_b32_e32 v1, 0x7f800001
	s_xor_b32 exec_lo, exec_lo, s12
	s_cbranch_execz .LBB6_5986
.LBB6_7213:                             ;   in Loop: Header=BB6_4858 Depth=2
	v_cmp_ne_u16_sdwa s40, v0, v51 src0_sel:BYTE_3 src1_sel:DWORD
	v_mov_b32_e32 v1, 0
	s_andn2_b32 s29, s29, exec_lo
	s_and_b32 s40, s40, exec_lo
	s_or_b32 s29, s29, s40
	s_or_b32 exec_lo, exec_lo, s12
	s_and_saveexec_b32 s12, s29
	s_cbranch_execnz .LBB6_5987
	s_branch .LBB6_5988
.LBB6_7214:                             ;   in Loop: Header=BB6_4858 Depth=2
	s_or_saveexec_b32 s12, s12
	v_mov_b32_e32 v0, 0x7f800001
	s_xor_b32 exec_lo, exec_lo, s12
	s_cbranch_execz .LBB6_5992
.LBB6_7215:                             ;   in Loop: Header=BB6_4858 Depth=2
	v_cmp_ne_u16_sdwa s40, v24, v51 src0_sel:BYTE_3 src1_sel:DWORD
	v_mov_b32_e32 v0, 0
	s_andn2_b32 s29, s29, exec_lo
	s_and_b32 s40, s40, exec_lo
	s_or_b32 s29, s29, s40
	s_or_b32 exec_lo, exec_lo, s12
	s_and_saveexec_b32 s12, s29
	s_cbranch_execnz .LBB6_5993
	s_branch .LBB6_5994
.LBB6_7216:                             ;   in Loop: Header=BB6_4858 Depth=2
	s_or_saveexec_b32 s12, s12
	v_mov_b32_e32 v1, 0x7f800001
	s_xor_b32 exec_lo, exec_lo, s12
	s_cbranch_execz .LBB6_6006
.LBB6_7217:                             ;   in Loop: Header=BB6_4858 Depth=2
	v_cmp_ne_u16_sdwa s40, v0, v51 src0_sel:BYTE_0 src1_sel:DWORD
	v_mov_b32_e32 v1, 0
	s_andn2_b32 s29, s29, exec_lo
	s_and_b32 s40, s40, exec_lo
	s_or_b32 s29, s29, s40
	s_or_b32 exec_lo, exec_lo, s12
	s_and_saveexec_b32 s12, s29
	s_cbranch_execnz .LBB6_6007
	s_branch .LBB6_6008
.LBB6_7218:                             ;   in Loop: Header=BB6_4858 Depth=2
	s_or_saveexec_b32 s12, s12
	v_mov_b32_e32 v4, 0x7f800001
	s_xor_b32 exec_lo, exec_lo, s12
	s_cbranch_execz .LBB6_6012
.LBB6_7219:                             ;   in Loop: Header=BB6_4858 Depth=2
	v_cmp_ne_u16_sdwa s40, v25, v51 src0_sel:BYTE_0 src1_sel:DWORD
	v_mov_b32_e32 v4, 0
	s_andn2_b32 s29, s29, exec_lo
	s_and_b32 s40, s40, exec_lo
	s_or_b32 s29, s29, s40
	s_or_b32 exec_lo, exec_lo, s12
	s_and_saveexec_b32 s12, s29
	s_cbranch_execnz .LBB6_6013
	s_branch .LBB6_6014
.LBB6_7220:                             ;   in Loop: Header=BB6_4858 Depth=2
	s_or_saveexec_b32 s12, s12
	v_mov_b32_e32 v1, 0x7f800001
	s_xor_b32 exec_lo, exec_lo, s12
	s_cbranch_execz .LBB6_6026
.LBB6_7221:                             ;   in Loop: Header=BB6_4858 Depth=2
	v_cmp_ne_u16_sdwa s40, v0, v51 src0_sel:BYTE_1 src1_sel:DWORD
	v_mov_b32_e32 v1, 0
	s_andn2_b32 s29, s29, exec_lo
	s_and_b32 s40, s40, exec_lo
	s_or_b32 s29, s29, s40
	s_or_b32 exec_lo, exec_lo, s12
	s_and_saveexec_b32 s12, s29
	s_cbranch_execnz .LBB6_6027
	s_branch .LBB6_6028
.LBB6_7222:                             ;   in Loop: Header=BB6_4858 Depth=2
	s_or_saveexec_b32 s12, s12
	v_mov_b32_e32 v4, 0x7f800001
	s_xor_b32 exec_lo, exec_lo, s12
	s_cbranch_execz .LBB6_6032
.LBB6_7223:                             ;   in Loop: Header=BB6_4858 Depth=2
	v_cmp_ne_u16_sdwa s40, v25, v51 src0_sel:BYTE_1 src1_sel:DWORD
	v_mov_b32_e32 v4, 0
	s_andn2_b32 s29, s29, exec_lo
	s_and_b32 s40, s40, exec_lo
	s_or_b32 s29, s29, s40
	s_or_b32 exec_lo, exec_lo, s12
	s_and_saveexec_b32 s12, s29
	s_cbranch_execnz .LBB6_6033
	s_branch .LBB6_6034
.LBB6_7224:                             ;   in Loop: Header=BB6_4858 Depth=2
	s_or_saveexec_b32 s12, s12
	v_mov_b32_e32 v1, 0x7f800001
	s_xor_b32 exec_lo, exec_lo, s12
	s_cbranch_execz .LBB6_6046
.LBB6_7225:                             ;   in Loop: Header=BB6_4858 Depth=2
	v_cmp_ne_u16_sdwa s40, v4, v51 src0_sel:BYTE_0 src1_sel:DWORD
	v_mov_b32_e32 v1, 0
	s_andn2_b32 s29, s29, exec_lo
	s_and_b32 s40, s40, exec_lo
	s_or_b32 s29, s29, s40
	s_or_b32 exec_lo, exec_lo, s12
	v_lshl_or_b32 v0, v4, 16, v0
	s_and_saveexec_b32 s12, s29
	s_cbranch_execnz .LBB6_6047
	s_branch .LBB6_6048
.LBB6_7226:                             ;   in Loop: Header=BB6_4858 Depth=2
	s_or_saveexec_b32 s12, s12
	v_mov_b32_e32 v4, 0x7f800001
	s_xor_b32 exec_lo, exec_lo, s12
	s_cbranch_execz .LBB6_6052
.LBB6_7227:                             ;   in Loop: Header=BB6_4858 Depth=2
	v_cmp_ne_u16_e32 vcc_lo, 0, v5
	v_mov_b32_e32 v4, 0
	s_andn2_b32 s29, s29, exec_lo
	s_and_b32 s40, vcc_lo, exec_lo
	s_or_b32 s29, s29, s40
	s_or_b32 exec_lo, exec_lo, s12
	s_and_saveexec_b32 s12, s29
	s_cbranch_execnz .LBB6_6053
	s_branch .LBB6_6054
.LBB6_7228:                             ;   in Loop: Header=BB6_4858 Depth=2
	s_or_saveexec_b32 s12, s12
	v_mov_b32_e32 v1, 0x7f800001
	s_xor_b32 exec_lo, exec_lo, s12
	s_cbranch_execz .LBB6_6066
.LBB6_7229:                             ;   in Loop: Header=BB6_4858 Depth=2
	v_cmp_ne_u16_sdwa s40, v0, v51 src0_sel:BYTE_3 src1_sel:DWORD
	v_mov_b32_e32 v1, 0
	s_andn2_b32 s29, s29, exec_lo
	s_and_b32 s40, s40, exec_lo
	s_or_b32 s29, s29, s40
	s_or_b32 exec_lo, exec_lo, s12
	s_and_saveexec_b32 s12, s29
	s_cbranch_execnz .LBB6_6067
	s_branch .LBB6_6068
.LBB6_7230:                             ;   in Loop: Header=BB6_4858 Depth=2
	s_or_saveexec_b32 s12, s12
	v_mov_b32_e32 v0, 0x7f800001
	s_xor_b32 exec_lo, exec_lo, s12
	s_cbranch_execz .LBB6_6072
.LBB6_7231:                             ;   in Loop: Header=BB6_4858 Depth=2
	v_cmp_ne_u16_sdwa s40, v25, v51 src0_sel:BYTE_3 src1_sel:DWORD
	v_mov_b32_e32 v0, 0
	s_andn2_b32 s29, s29, exec_lo
	s_and_b32 s40, s40, exec_lo
	s_or_b32 s29, s29, s40
	s_or_b32 exec_lo, exec_lo, s12
	s_and_saveexec_b32 s12, s29
	s_cbranch_execnz .LBB6_6073
	s_branch .LBB6_6074
.LBB6_7232:                             ;   in Loop: Header=BB6_4858 Depth=2
	s_or_saveexec_b32 s12, s12
	v_mov_b32_e32 v1, 0x7f800001
	s_xor_b32 exec_lo, exec_lo, s12
	s_cbranch_execz .LBB6_6086
.LBB6_7233:                             ;   in Loop: Header=BB6_4858 Depth=2
	v_cmp_ne_u16_sdwa s40, v0, v51 src0_sel:BYTE_0 src1_sel:DWORD
	v_mov_b32_e32 v1, 0
	s_andn2_b32 s29, s29, exec_lo
	s_and_b32 s40, s40, exec_lo
	s_or_b32 s29, s29, s40
	s_or_b32 exec_lo, exec_lo, s12
	s_and_saveexec_b32 s12, s29
	s_cbranch_execnz .LBB6_6087
	s_branch .LBB6_6088
.LBB6_7234:                             ;   in Loop: Header=BB6_4858 Depth=2
	s_or_saveexec_b32 s12, s12
	v_mov_b32_e32 v4, 0x7f800001
	s_xor_b32 exec_lo, exec_lo, s12
	s_cbranch_execz .LBB6_6092
.LBB6_7235:                             ;   in Loop: Header=BB6_4858 Depth=2
	v_cmp_ne_u16_sdwa s40, v18, v51 src0_sel:BYTE_0 src1_sel:DWORD
	v_mov_b32_e32 v4, 0
	s_andn2_b32 s29, s29, exec_lo
	s_and_b32 s40, s40, exec_lo
	s_or_b32 s29, s29, s40
	s_or_b32 exec_lo, exec_lo, s12
	s_and_saveexec_b32 s12, s29
	s_cbranch_execnz .LBB6_6093
	s_branch .LBB6_6094
.LBB6_7236:                             ;   in Loop: Header=BB6_4858 Depth=2
	s_or_saveexec_b32 s29, s29
	v_mov_b32_e32 v1, 0x7f800001
	s_xor_b32 exec_lo, exec_lo, s29
	s_cbranch_execz .LBB6_6106
.LBB6_7237:                             ;   in Loop: Header=BB6_4858 Depth=2
	v_cmp_ne_u16_sdwa s40, v0, v51 src0_sel:BYTE_1 src1_sel:DWORD
	v_mov_b32_e32 v1, 0
	s_andn2_b32 s12, s12, exec_lo
	s_and_b32 s40, s40, exec_lo
	s_or_b32 s12, s12, s40
	s_or_b32 exec_lo, exec_lo, s29
	s_and_saveexec_b32 s29, s12
	s_cbranch_execnz .LBB6_6107
	s_branch .LBB6_6108
.LBB6_7238:                             ;   in Loop: Header=BB6_4858 Depth=2
	s_or_saveexec_b32 s29, s29
	v_mov_b32_e32 v4, 0x7f800001
	s_xor_b32 exec_lo, exec_lo, s29
	s_cbranch_execz .LBB6_6112
.LBB6_7239:                             ;   in Loop: Header=BB6_4858 Depth=2
	v_cmp_ne_u16_sdwa s40, v18, v51 src0_sel:BYTE_1 src1_sel:DWORD
	v_mov_b32_e32 v4, 0
	s_andn2_b32 s12, s12, exec_lo
	s_and_b32 s40, s40, exec_lo
	s_or_b32 s12, s12, s40
	s_or_b32 exec_lo, exec_lo, s29
	s_and_saveexec_b32 s29, s12
	s_cbranch_execnz .LBB6_6113
	s_branch .LBB6_6114
.LBB6_7240:                             ;   in Loop: Header=BB6_4858 Depth=2
	s_or_saveexec_b32 s12, s12
	v_mov_b32_e32 v1, 0x7f800001
	s_xor_b32 exec_lo, exec_lo, s12
	s_cbranch_execz .LBB6_6126
.LBB6_7241:                             ;   in Loop: Header=BB6_4858 Depth=2
	v_cmp_ne_u16_sdwa s40, v4, v51 src0_sel:BYTE_0 src1_sel:DWORD
	v_mov_b32_e32 v1, 0
	s_andn2_b32 s29, s29, exec_lo
	s_and_b32 s40, s40, exec_lo
	s_or_b32 s29, s29, s40
	s_or_b32 exec_lo, exec_lo, s12
	v_lshl_or_b32 v0, v4, 16, v0
	s_and_saveexec_b32 s12, s29
	s_cbranch_execnz .LBB6_6127
	s_branch .LBB6_6128
.LBB6_7242:                             ;   in Loop: Header=BB6_4858 Depth=2
	s_or_saveexec_b32 s12, s12
	v_mov_b32_e32 v4, 0x7f800001
	s_xor_b32 exec_lo, exec_lo, s12
	s_cbranch_execz .LBB6_6132
.LBB6_7243:                             ;   in Loop: Header=BB6_4858 Depth=2
	v_cmp_ne_u16_e32 vcc_lo, 0, v5
	v_mov_b32_e32 v4, 0
	s_andn2_b32 s29, s29, exec_lo
	s_and_b32 s40, vcc_lo, exec_lo
	s_or_b32 s29, s29, s40
	s_or_b32 exec_lo, exec_lo, s12
	s_and_saveexec_b32 s12, s29
	s_cbranch_execnz .LBB6_6133
	s_branch .LBB6_6134
.LBB6_7244:                             ;   in Loop: Header=BB6_4858 Depth=2
	s_or_saveexec_b32 s29, s29
	v_mov_b32_e32 v1, 0x7f800001
	s_xor_b32 exec_lo, exec_lo, s29
	s_cbranch_execz .LBB6_6146
.LBB6_7245:                             ;   in Loop: Header=BB6_4858 Depth=2
	v_cmp_ne_u16_sdwa s40, v0, v51 src0_sel:BYTE_3 src1_sel:DWORD
	v_mov_b32_e32 v1, 0
	s_andn2_b32 s12, s12, exec_lo
	s_and_b32 s40, s40, exec_lo
	s_or_b32 s12, s12, s40
	s_or_b32 exec_lo, exec_lo, s29
	s_and_saveexec_b32 s29, s12
	s_cbranch_execnz .LBB6_6147
	s_branch .LBB6_6148
.LBB6_7246:                             ;   in Loop: Header=BB6_4858 Depth=2
	s_or_saveexec_b32 s29, s29
	v_mov_b32_e32 v0, 0x7f800001
	s_xor_b32 exec_lo, exec_lo, s29
	s_cbranch_execz .LBB6_6152
.LBB6_7247:                             ;   in Loop: Header=BB6_4858 Depth=2
	v_cmp_ne_u16_sdwa s40, v18, v51 src0_sel:BYTE_3 src1_sel:DWORD
	v_mov_b32_e32 v0, 0
	s_andn2_b32 s12, s12, exec_lo
	s_and_b32 s40, s40, exec_lo
	s_or_b32 s12, s12, s40
	s_or_b32 exec_lo, exec_lo, s29
	s_and_saveexec_b32 s29, s12
	s_cbranch_execnz .LBB6_6153
	s_branch .LBB6_6154
.LBB6_7248:                             ;   in Loop: Header=BB6_4858 Depth=2
	s_or_saveexec_b32 s12, s12
	v_mov_b32_e32 v1, 0x7f800001
	s_xor_b32 exec_lo, exec_lo, s12
	s_cbranch_execz .LBB6_6166
.LBB6_7249:                             ;   in Loop: Header=BB6_4858 Depth=2
	v_cmp_ne_u16_sdwa s40, v0, v51 src0_sel:BYTE_0 src1_sel:DWORD
	v_mov_b32_e32 v1, 0
	s_andn2_b32 s29, s29, exec_lo
	s_and_b32 s40, s40, exec_lo
	s_or_b32 s29, s29, s40
	s_or_b32 exec_lo, exec_lo, s12
	s_and_saveexec_b32 s12, s29
	s_cbranch_execnz .LBB6_6167
	s_branch .LBB6_6168
.LBB6_7250:                             ;   in Loop: Header=BB6_4858 Depth=2
	s_or_saveexec_b32 s12, s12
	v_mov_b32_e32 v4, 0x7f800001
	s_xor_b32 exec_lo, exec_lo, s12
	s_cbranch_execz .LBB6_6172
.LBB6_7251:                             ;   in Loop: Header=BB6_4858 Depth=2
	v_cmp_ne_u16_sdwa s40, v19, v51 src0_sel:BYTE_0 src1_sel:DWORD
	v_mov_b32_e32 v4, 0
	s_andn2_b32 s29, s29, exec_lo
	s_and_b32 s40, s40, exec_lo
	s_or_b32 s29, s29, s40
	s_or_b32 exec_lo, exec_lo, s12
	s_and_saveexec_b32 s12, s29
	s_cbranch_execnz .LBB6_6173
	s_branch .LBB6_6174
.LBB6_7252:                             ;   in Loop: Header=BB6_4858 Depth=2
	s_or_saveexec_b32 s29, s29
	v_mov_b32_e32 v1, 0x7f800001
	s_xor_b32 exec_lo, exec_lo, s29
	s_cbranch_execz .LBB6_6186
.LBB6_7253:                             ;   in Loop: Header=BB6_4858 Depth=2
	v_cmp_ne_u16_sdwa s40, v0, v51 src0_sel:BYTE_1 src1_sel:DWORD
	v_mov_b32_e32 v1, 0
	s_andn2_b32 s12, s12, exec_lo
	s_and_b32 s40, s40, exec_lo
	s_or_b32 s12, s12, s40
	s_or_b32 exec_lo, exec_lo, s29
	s_and_saveexec_b32 s29, s12
	s_cbranch_execnz .LBB6_6187
	s_branch .LBB6_6188
.LBB6_7254:                             ;   in Loop: Header=BB6_4858 Depth=2
	s_or_saveexec_b32 s29, s29
	v_mov_b32_e32 v4, 0x7f800001
	s_xor_b32 exec_lo, exec_lo, s29
	s_cbranch_execz .LBB6_6192
.LBB6_7255:                             ;   in Loop: Header=BB6_4858 Depth=2
	v_cmp_ne_u16_sdwa s40, v19, v51 src0_sel:BYTE_1 src1_sel:DWORD
	v_mov_b32_e32 v4, 0
	s_andn2_b32 s12, s12, exec_lo
	s_and_b32 s40, s40, exec_lo
	s_or_b32 s12, s12, s40
	s_or_b32 exec_lo, exec_lo, s29
	s_and_saveexec_b32 s29, s12
	s_cbranch_execnz .LBB6_6193
	s_branch .LBB6_6194
.LBB6_7256:                             ;   in Loop: Header=BB6_4858 Depth=2
	s_or_saveexec_b32 s12, s12
	v_mov_b32_e32 v1, 0x7f800001
	s_xor_b32 exec_lo, exec_lo, s12
	s_cbranch_execz .LBB6_6206
.LBB6_7257:                             ;   in Loop: Header=BB6_4858 Depth=2
	v_cmp_ne_u16_sdwa s40, v4, v51 src0_sel:BYTE_0 src1_sel:DWORD
	v_mov_b32_e32 v1, 0
	s_andn2_b32 s29, s29, exec_lo
	s_and_b32 s40, s40, exec_lo
	s_or_b32 s29, s29, s40
	s_or_b32 exec_lo, exec_lo, s12
	v_lshl_or_b32 v0, v4, 16, v0
	s_and_saveexec_b32 s12, s29
	s_cbranch_execnz .LBB6_6207
	s_branch .LBB6_6208
.LBB6_7258:                             ;   in Loop: Header=BB6_4858 Depth=2
	s_or_saveexec_b32 s12, s12
	v_mov_b32_e32 v4, 0x7f800001
	s_xor_b32 exec_lo, exec_lo, s12
	s_cbranch_execz .LBB6_6212
.LBB6_7259:                             ;   in Loop: Header=BB6_4858 Depth=2
	v_cmp_ne_u16_e32 vcc_lo, 0, v5
	v_mov_b32_e32 v4, 0
	s_andn2_b32 s29, s29, exec_lo
	s_and_b32 s40, vcc_lo, exec_lo
	s_or_b32 s29, s29, s40
	s_or_b32 exec_lo, exec_lo, s12
	s_and_saveexec_b32 s12, s29
	s_cbranch_execnz .LBB6_6213
	s_branch .LBB6_6214
.LBB6_7260:                             ;   in Loop: Header=BB6_4858 Depth=2
	s_or_saveexec_b32 s29, s29
	v_mov_b32_e32 v1, 0x7f800001
	s_xor_b32 exec_lo, exec_lo, s29
	s_cbranch_execz .LBB6_6226
.LBB6_7261:                             ;   in Loop: Header=BB6_4858 Depth=2
	v_cmp_ne_u16_sdwa s40, v0, v51 src0_sel:BYTE_3 src1_sel:DWORD
	v_mov_b32_e32 v1, 0
	s_andn2_b32 s12, s12, exec_lo
	s_and_b32 s40, s40, exec_lo
	s_or_b32 s12, s12, s40
	s_or_b32 exec_lo, exec_lo, s29
	s_and_saveexec_b32 s29, s12
	s_cbranch_execnz .LBB6_6227
	s_branch .LBB6_6228
.LBB6_7262:                             ;   in Loop: Header=BB6_4858 Depth=2
	s_or_saveexec_b32 s29, s29
	v_mov_b32_e32 v0, 0x7f800001
	s_xor_b32 exec_lo, exec_lo, s29
	s_cbranch_execz .LBB6_6232
.LBB6_7263:                             ;   in Loop: Header=BB6_4858 Depth=2
	v_cmp_ne_u16_sdwa s40, v19, v51 src0_sel:BYTE_3 src1_sel:DWORD
	v_mov_b32_e32 v0, 0
	s_andn2_b32 s12, s12, exec_lo
	s_and_b32 s40, s40, exec_lo
	s_or_b32 s12, s12, s40
	s_or_b32 exec_lo, exec_lo, s29
	s_and_saveexec_b32 s29, s12
	s_cbranch_execnz .LBB6_6233
	s_branch .LBB6_6234
.LBB6_7264:                             ;   in Loop: Header=BB6_4858 Depth=2
	s_or_saveexec_b32 s12, s12
	v_mov_b32_e32 v0, 0x7f800001
	s_xor_b32 exec_lo, exec_lo, s12
	s_cbranch_execz .LBB6_6246
.LBB6_7265:                             ;   in Loop: Header=BB6_4858 Depth=2
	v_cmp_ne_u16_sdwa s40, v1, v51 src0_sel:BYTE_0 src1_sel:DWORD
	v_mov_b32_e32 v0, 0
	s_andn2_b32 s29, s29, exec_lo
	s_and_b32 s40, s40, exec_lo
	s_or_b32 s29, s29, s40
	s_or_b32 exec_lo, exec_lo, s12
	s_and_saveexec_b32 s12, s29
	s_cbranch_execnz .LBB6_6247
	s_branch .LBB6_6248
.LBB6_7266:                             ;   in Loop: Header=BB6_4858 Depth=2
	s_or_saveexec_b32 s12, s12
	v_mov_b32_e32 v4, 0x7f800001
	s_xor_b32 exec_lo, exec_lo, s12
	s_cbranch_execz .LBB6_6252
.LBB6_7267:                             ;   in Loop: Header=BB6_4858 Depth=2
	v_cmp_ne_u16_sdwa s40, v20, v51 src0_sel:BYTE_0 src1_sel:DWORD
	v_mov_b32_e32 v4, 0
	s_andn2_b32 s29, s29, exec_lo
	s_and_b32 s40, s40, exec_lo
	s_or_b32 s29, s29, s40
	s_or_b32 exec_lo, exec_lo, s12
	s_and_saveexec_b32 s12, s29
	s_cbranch_execnz .LBB6_6253
	s_branch .LBB6_6254
.LBB6_7268:                             ;   in Loop: Header=BB6_4858 Depth=2
	s_or_saveexec_b32 s29, s29
	v_mov_b32_e32 v0, 0x7f800001
	s_xor_b32 exec_lo, exec_lo, s29
	s_cbranch_execz .LBB6_6266
.LBB6_7269:                             ;   in Loop: Header=BB6_4858 Depth=2
	v_cmp_ne_u16_sdwa s40, v1, v51 src0_sel:BYTE_1 src1_sel:DWORD
	v_mov_b32_e32 v0, 0
	s_andn2_b32 s12, s12, exec_lo
	s_and_b32 s40, s40, exec_lo
	s_or_b32 s12, s12, s40
	s_or_b32 exec_lo, exec_lo, s29
	s_and_saveexec_b32 s29, s12
	s_cbranch_execnz .LBB6_6267
	s_branch .LBB6_6268
.LBB6_7270:                             ;   in Loop: Header=BB6_4858 Depth=2
	s_or_saveexec_b32 s29, s29
	v_mov_b32_e32 v4, 0x7f800001
	s_xor_b32 exec_lo, exec_lo, s29
	s_cbranch_execz .LBB6_6272
.LBB6_7271:                             ;   in Loop: Header=BB6_4858 Depth=2
	v_cmp_ne_u16_sdwa s40, v20, v51 src0_sel:BYTE_1 src1_sel:DWORD
	v_mov_b32_e32 v4, 0
	s_andn2_b32 s12, s12, exec_lo
	s_and_b32 s40, s40, exec_lo
	s_or_b32 s12, s12, s40
	s_or_b32 exec_lo, exec_lo, s29
	s_and_saveexec_b32 s29, s12
	s_cbranch_execnz .LBB6_6273
	s_branch .LBB6_6274
.LBB6_7272:                             ;   in Loop: Header=BB6_4858 Depth=2
	s_or_saveexec_b32 s12, s12
	v_mov_b32_e32 v5, 0x7f800001
	s_xor_b32 exec_lo, exec_lo, s12
	s_cbranch_execz .LBB6_6286
.LBB6_7273:                             ;   in Loop: Header=BB6_4858 Depth=2
	v_cmp_ne_u16_sdwa s40, v4, v51 src0_sel:BYTE_0 src1_sel:DWORD
	v_mov_b32_e32 v5, 0
	s_andn2_b32 s29, s29, exec_lo
	s_and_b32 s40, s40, exec_lo
	s_or_b32 s29, s29, s40
	s_or_b32 exec_lo, exec_lo, s12
	v_lshl_or_b32 v4, v4, 16, v1
	s_and_saveexec_b32 s12, s29
	s_cbranch_execnz .LBB6_6287
	s_branch .LBB6_6288
.LBB6_7274:                             ;   in Loop: Header=BB6_4858 Depth=2
	s_or_saveexec_b32 s12, s12
	v_mov_b32_e32 v1, 0x7f800001
	s_xor_b32 exec_lo, exec_lo, s12
	s_cbranch_execz .LBB6_6292
.LBB6_7275:                             ;   in Loop: Header=BB6_4858 Depth=2
	v_cmp_ne_u16_e32 vcc_lo, 0, v6
	v_mov_b32_e32 v1, 0
	s_andn2_b32 s29, s29, exec_lo
	s_and_b32 s40, vcc_lo, exec_lo
	s_or_b32 s29, s29, s40
	s_or_b32 exec_lo, exec_lo, s12
	s_and_saveexec_b32 s12, s29
	s_cbranch_execnz .LBB6_6293
	s_branch .LBB6_6294
.LBB6_7276:                             ;   in Loop: Header=BB6_4858 Depth=2
	s_or_saveexec_b32 s29, s29
	v_mov_b32_e32 v5, 0x7f800001
	s_xor_b32 exec_lo, exec_lo, s29
	s_cbranch_execz .LBB6_6306
.LBB6_7277:                             ;   in Loop: Header=BB6_4858 Depth=2
	v_cmp_ne_u16_sdwa s40, v4, v51 src0_sel:BYTE_3 src1_sel:DWORD
	v_mov_b32_e32 v5, 0
	s_andn2_b32 s12, s12, exec_lo
	s_and_b32 s40, s40, exec_lo
	s_or_b32 s12, s12, s40
	s_or_b32 exec_lo, exec_lo, s29
	s_and_saveexec_b32 s29, s12
	s_cbranch_execnz .LBB6_6307
	s_branch .LBB6_6308
.LBB6_7278:                             ;   in Loop: Header=BB6_4858 Depth=2
	s_or_saveexec_b32 s29, s29
	v_mov_b32_e32 v4, 0x7f800001
	s_xor_b32 exec_lo, exec_lo, s29
	s_cbranch_execz .LBB6_6312
.LBB6_7279:                             ;   in Loop: Header=BB6_4858 Depth=2
	v_cmp_ne_u16_sdwa s40, v20, v51 src0_sel:BYTE_3 src1_sel:DWORD
	v_mov_b32_e32 v4, 0
	s_andn2_b32 s12, s12, exec_lo
	s_and_b32 s40, s40, exec_lo
	s_or_b32 s12, s12, s40
	s_or_b32 exec_lo, exec_lo, s29
	s_and_saveexec_b32 s29, s12
	s_cbranch_execnz .LBB6_6313
	s_branch .LBB6_6314
.LBB6_7280:                             ;   in Loop: Header=BB6_4858 Depth=2
	s_or_saveexec_b32 s12, s12
	v_mov_b32_e32 v5, 0x7f800001
	s_xor_b32 exec_lo, exec_lo, s12
	s_cbranch_execz .LBB6_6326
.LBB6_7281:                             ;   in Loop: Header=BB6_4858 Depth=2
	v_cmp_ne_u16_sdwa s40, v4, v51 src0_sel:BYTE_0 src1_sel:DWORD
	v_mov_b32_e32 v5, 0
	s_andn2_b32 s29, s29, exec_lo
	s_and_b32 s40, s40, exec_lo
	s_or_b32 s29, s29, s40
	s_or_b32 exec_lo, exec_lo, s12
	s_and_saveexec_b32 s12, s29
	s_cbranch_execnz .LBB6_6327
	s_branch .LBB6_6328
.LBB6_7282:                             ;   in Loop: Header=BB6_4858 Depth=2
	s_or_saveexec_b32 s12, s12
	v_mov_b32_e32 v6, 0x7f800001
	s_xor_b32 exec_lo, exec_lo, s12
	s_cbranch_execz .LBB6_6332
.LBB6_7283:                             ;   in Loop: Header=BB6_4858 Depth=2
	v_cmp_ne_u16_sdwa s40, v21, v51 src0_sel:BYTE_0 src1_sel:DWORD
	v_mov_b32_e32 v6, 0
	s_andn2_b32 s29, s29, exec_lo
	s_and_b32 s40, s40, exec_lo
	s_or_b32 s29, s29, s40
	s_or_b32 exec_lo, exec_lo, s12
	s_and_saveexec_b32 s12, s29
	s_cbranch_execnz .LBB6_6333
	s_branch .LBB6_6334
.LBB6_7284:                             ;   in Loop: Header=BB6_4858 Depth=2
	s_or_saveexec_b32 s29, s29
	v_mov_b32_e32 v5, 0x7f800001
	s_xor_b32 exec_lo, exec_lo, s29
	s_cbranch_execz .LBB6_6346
.LBB6_7285:                             ;   in Loop: Header=BB6_4858 Depth=2
	v_cmp_ne_u16_sdwa s40, v4, v51 src0_sel:BYTE_1 src1_sel:DWORD
	v_mov_b32_e32 v5, 0
	s_andn2_b32 s12, s12, exec_lo
	s_and_b32 s40, s40, exec_lo
	s_or_b32 s12, s12, s40
	s_or_b32 exec_lo, exec_lo, s29
	s_and_saveexec_b32 s29, s12
	s_cbranch_execnz .LBB6_6347
	s_branch .LBB6_6348
.LBB6_7286:                             ;   in Loop: Header=BB6_4858 Depth=2
	s_or_saveexec_b32 s29, s29
	v_mov_b32_e32 v6, 0x7f800001
	s_xor_b32 exec_lo, exec_lo, s29
	s_cbranch_execz .LBB6_6352
.LBB6_7287:                             ;   in Loop: Header=BB6_4858 Depth=2
	v_cmp_ne_u16_sdwa s40, v21, v51 src0_sel:BYTE_1 src1_sel:DWORD
	v_mov_b32_e32 v6, 0
	s_andn2_b32 s12, s12, exec_lo
	s_and_b32 s40, s40, exec_lo
	s_or_b32 s12, s12, s40
	s_or_b32 exec_lo, exec_lo, s29
	s_and_saveexec_b32 s29, s12
	s_cbranch_execnz .LBB6_6353
	s_branch .LBB6_6354
.LBB6_7288:                             ;   in Loop: Header=BB6_4858 Depth=2
	s_or_saveexec_b32 s12, s12
	v_mov_b32_e32 v3, 0x7f800001
	s_xor_b32 exec_lo, exec_lo, s12
	s_cbranch_execz .LBB6_6366
.LBB6_7289:                             ;   in Loop: Header=BB6_4858 Depth=2
	v_cmp_ne_u16_sdwa s40, v5, v51 src0_sel:BYTE_0 src1_sel:DWORD
	v_mov_b32_e32 v3, 0
	s_andn2_b32 s29, s29, exec_lo
	s_and_b32 s40, s40, exec_lo
	s_or_b32 s29, s29, s40
	s_or_b32 exec_lo, exec_lo, s12
	v_lshl_or_b32 v4, v5, 16, v4
	s_and_saveexec_b32 s12, s29
	s_cbranch_execnz .LBB6_6367
	s_branch .LBB6_6368
.LBB6_7290:                             ;   in Loop: Header=BB6_4858 Depth=2
	s_or_saveexec_b32 s12, s12
	v_mov_b32_e32 v5, 0x7f800001
	s_xor_b32 exec_lo, exec_lo, s12
	s_cbranch_execz .LBB6_6372
.LBB6_7291:                             ;   in Loop: Header=BB6_4858 Depth=2
	v_cmp_ne_u16_e32 vcc_lo, 0, v6
	v_mov_b32_e32 v5, 0
	s_andn2_b32 s29, s29, exec_lo
	s_and_b32 s40, vcc_lo, exec_lo
	s_or_b32 s29, s29, s40
	s_or_b32 exec_lo, exec_lo, s12
	s_and_saveexec_b32 s12, s29
	s_cbranch_execnz .LBB6_6373
	s_branch .LBB6_6374
.LBB6_7292:                             ;   in Loop: Header=BB6_4858 Depth=2
	s_or_saveexec_b32 s29, s29
	v_mov_b32_e32 v5, 0x7f800001
	s_xor_b32 exec_lo, exec_lo, s29
	s_cbranch_execz .LBB6_6386
.LBB6_7293:                             ;   in Loop: Header=BB6_4858 Depth=2
	v_cmp_ne_u16_sdwa s40, v4, v51 src0_sel:BYTE_3 src1_sel:DWORD
	v_mov_b32_e32 v5, 0
	s_andn2_b32 s12, s12, exec_lo
	s_and_b32 s40, s40, exec_lo
	s_or_b32 s12, s12, s40
	s_or_b32 exec_lo, exec_lo, s29
	s_and_saveexec_b32 s29, s12
	s_cbranch_execnz .LBB6_6387
	s_branch .LBB6_6388
.LBB6_7294:                             ;   in Loop: Header=BB6_4858 Depth=2
	s_or_saveexec_b32 s29, s29
	v_mov_b32_e32 v4, 0x7f800001
	s_xor_b32 exec_lo, exec_lo, s29
	s_cbranch_execz .LBB6_6392
.LBB6_7295:                             ;   in Loop: Header=BB6_4858 Depth=2
	v_cmp_ne_u16_sdwa s40, v21, v51 src0_sel:BYTE_3 src1_sel:DWORD
	v_mov_b32_e32 v4, 0
	s_andn2_b32 s12, s12, exec_lo
	s_and_b32 s40, s40, exec_lo
	s_or_b32 s12, s12, s40
	s_or_b32 exec_lo, exec_lo, s29
	s_and_saveexec_b32 s29, s12
	s_cbranch_execnz .LBB6_6393
	s_branch .LBB6_6394
.LBB6_7296:                             ;   in Loop: Header=BB6_4858 Depth=2
	s_or_saveexec_b32 s12, s12
	v_mov_b32_e32 v2, 0x7f800001
	s_xor_b32 exec_lo, exec_lo, s12
	s_cbranch_execz .LBB6_6406
.LBB6_7297:                             ;   in Loop: Header=BB6_4858 Depth=2
	v_cmp_ne_u16_sdwa s40, v4, v51 src0_sel:BYTE_0 src1_sel:DWORD
	v_mov_b32_e32 v2, 0
	s_andn2_b32 s29, s29, exec_lo
	s_and_b32 s40, s40, exec_lo
	s_or_b32 s29, s29, s40
	s_or_b32 exec_lo, exec_lo, s12
	s_and_saveexec_b32 s12, s29
	s_cbranch_execnz .LBB6_6407
	s_branch .LBB6_6408
.LBB6_7298:                             ;   in Loop: Header=BB6_4858 Depth=2
	s_or_saveexec_b32 s12, s12
	v_mov_b32_e32 v5, 0x7f800001
	s_xor_b32 exec_lo, exec_lo, s12
	s_cbranch_execz .LBB6_6412
.LBB6_7299:                             ;   in Loop: Header=BB6_4858 Depth=2
	v_cmp_ne_u16_sdwa s40, v14, v51 src0_sel:BYTE_0 src1_sel:DWORD
	v_mov_b32_e32 v5, 0
	s_andn2_b32 s29, s29, exec_lo
	s_and_b32 s40, s40, exec_lo
	s_or_b32 s29, s29, s40
	s_or_b32 exec_lo, exec_lo, s12
	s_and_saveexec_b32 s12, s29
	s_cbranch_execnz .LBB6_6413
	s_branch .LBB6_6414
.LBB6_7300:                             ;   in Loop: Header=BB6_4858 Depth=2
	s_or_saveexec_b32 s29, s29
	v_mov_b32_e32 v5, 0x7f800001
	s_xor_b32 exec_lo, exec_lo, s29
	s_cbranch_execz .LBB6_6426
.LBB6_7301:                             ;   in Loop: Header=BB6_4858 Depth=2
	v_cmp_ne_u16_sdwa s40, v4, v51 src0_sel:BYTE_1 src1_sel:DWORD
	v_mov_b32_e32 v5, 0
	s_andn2_b32 s12, s12, exec_lo
	s_and_b32 s40, s40, exec_lo
	s_or_b32 s12, s12, s40
	s_or_b32 exec_lo, exec_lo, s29
	s_and_saveexec_b32 s29, s12
	s_cbranch_execnz .LBB6_6427
	s_branch .LBB6_6428
.LBB6_7302:                             ;   in Loop: Header=BB6_4858 Depth=2
	s_or_saveexec_b32 s29, s29
	v_mov_b32_e32 v6, 0x7f800001
	s_xor_b32 exec_lo, exec_lo, s29
	s_cbranch_execz .LBB6_6432
.LBB6_7303:                             ;   in Loop: Header=BB6_4858 Depth=2
	v_cmp_ne_u16_sdwa s40, v14, v51 src0_sel:BYTE_1 src1_sel:DWORD
	v_mov_b32_e32 v6, 0
	s_andn2_b32 s12, s12, exec_lo
	s_and_b32 s40, s40, exec_lo
	s_or_b32 s12, s12, s40
	s_or_b32 exec_lo, exec_lo, s29
	s_and_saveexec_b32 s29, s12
	s_cbranch_execnz .LBB6_6433
	s_branch .LBB6_6434
.LBB6_7304:                             ;   in Loop: Header=BB6_4858 Depth=2
	s_or_saveexec_b32 s12, s12
	v_mov_b32_e32 v6, 0x7f800001
	s_xor_b32 exec_lo, exec_lo, s12
	s_cbranch_execz .LBB6_6446
.LBB6_7305:                             ;   in Loop: Header=BB6_4858 Depth=2
	v_cmp_ne_u16_sdwa s40, v5, v51 src0_sel:BYTE_0 src1_sel:DWORD
	v_mov_b32_e32 v6, 0
	s_andn2_b32 s29, s29, exec_lo
	s_and_b32 s40, s40, exec_lo
	s_or_b32 s29, s29, s40
	s_or_b32 exec_lo, exec_lo, s12
	v_lshl_or_b32 v5, v5, 16, v4
	s_and_saveexec_b32 s12, s29
	s_cbranch_execnz .LBB6_6447
	s_branch .LBB6_6448
.LBB6_7306:                             ;   in Loop: Header=BB6_4858 Depth=2
	s_or_saveexec_b32 s12, s12
	v_mov_b32_e32 v4, 0x7f800001
	s_xor_b32 exec_lo, exec_lo, s12
	s_cbranch_execz .LBB6_6452
.LBB6_7307:                             ;   in Loop: Header=BB6_4858 Depth=2
	v_cmp_ne_u16_e32 vcc_lo, 0, v7
	v_mov_b32_e32 v4, 0
	s_andn2_b32 s29, s29, exec_lo
	s_and_b32 s40, vcc_lo, exec_lo
	s_or_b32 s29, s29, s40
	s_or_b32 exec_lo, exec_lo, s12
	s_and_saveexec_b32 s12, s29
	s_cbranch_execnz .LBB6_6453
	s_branch .LBB6_6454
.LBB6_7308:                             ;   in Loop: Header=BB6_4858 Depth=2
	s_or_saveexec_b32 s29, s29
	v_mov_b32_e32 v6, 0x7f800001
	s_xor_b32 exec_lo, exec_lo, s29
	s_cbranch_execz .LBB6_6466
.LBB6_7309:                             ;   in Loop: Header=BB6_4858 Depth=2
	v_cmp_ne_u16_sdwa s40, v5, v51 src0_sel:BYTE_3 src1_sel:DWORD
	v_mov_b32_e32 v6, 0
	s_andn2_b32 s12, s12, exec_lo
	s_and_b32 s40, s40, exec_lo
	s_or_b32 s12, s12, s40
	s_or_b32 exec_lo, exec_lo, s29
	s_and_saveexec_b32 s29, s12
	s_cbranch_execnz .LBB6_6467
	s_branch .LBB6_6468
.LBB6_7310:                             ;   in Loop: Header=BB6_4858 Depth=2
	s_or_saveexec_b32 s29, s29
	v_mov_b32_e32 v5, 0x7f800001
	s_xor_b32 exec_lo, exec_lo, s29
	s_cbranch_execz .LBB6_6472
.LBB6_7311:                             ;   in Loop: Header=BB6_4858 Depth=2
	v_cmp_ne_u16_sdwa s40, v14, v51 src0_sel:BYTE_3 src1_sel:DWORD
	v_mov_b32_e32 v5, 0
	s_andn2_b32 s12, s12, exec_lo
	s_and_b32 s40, s40, exec_lo
	s_or_b32 s12, s12, s40
	s_or_b32 exec_lo, exec_lo, s29
	s_and_saveexec_b32 s29, s12
	s_cbranch_execnz .LBB6_6473
	s_branch .LBB6_6474
.LBB6_7312:                             ;   in Loop: Header=BB6_4858 Depth=2
	s_or_saveexec_b32 s12, s12
	v_mov_b32_e32 v7, 0x7f800001
	s_xor_b32 exec_lo, exec_lo, s12
	s_cbranch_execz .LBB6_6486
.LBB6_7313:                             ;   in Loop: Header=BB6_4858 Depth=2
	v_cmp_ne_u16_sdwa s40, v6, v51 src0_sel:BYTE_0 src1_sel:DWORD
	v_mov_b32_e32 v7, 0
	s_andn2_b32 s29, s29, exec_lo
	s_and_b32 s40, s40, exec_lo
	s_or_b32 s29, s29, s40
	s_or_b32 exec_lo, exec_lo, s12
	s_and_saveexec_b32 s12, s29
	s_cbranch_execnz .LBB6_6487
	s_branch .LBB6_6488
.LBB6_7314:                             ;   in Loop: Header=BB6_4858 Depth=2
	s_or_saveexec_b32 s12, s12
	v_mov_b32_e32 v8, 0x7f800001
	s_xor_b32 exec_lo, exec_lo, s12
	s_cbranch_execz .LBB6_6492
.LBB6_7315:                             ;   in Loop: Header=BB6_4858 Depth=2
	v_cmp_ne_u16_sdwa s40, v15, v51 src0_sel:BYTE_0 src1_sel:DWORD
	v_mov_b32_e32 v8, 0
	s_andn2_b32 s29, s29, exec_lo
	s_and_b32 s40, s40, exec_lo
	s_or_b32 s29, s29, s40
	s_or_b32 exec_lo, exec_lo, s12
	s_and_saveexec_b32 s12, s29
	s_cbranch_execnz .LBB6_6493
	s_branch .LBB6_6494
.LBB6_7316:                             ;   in Loop: Header=BB6_4858 Depth=2
	s_or_saveexec_b32 s29, s29
	v_mov_b32_e32 v7, 0x7f800001
	s_xor_b32 exec_lo, exec_lo, s29
	s_cbranch_execz .LBB6_6506
.LBB6_7317:                             ;   in Loop: Header=BB6_4858 Depth=2
	v_cmp_ne_u16_sdwa s40, v6, v51 src0_sel:BYTE_1 src1_sel:DWORD
	v_mov_b32_e32 v7, 0
	s_andn2_b32 s12, s12, exec_lo
	s_and_b32 s40, s40, exec_lo
	s_or_b32 s12, s12, s40
	s_or_b32 exec_lo, exec_lo, s29
	s_and_saveexec_b32 s29, s12
	s_cbranch_execnz .LBB6_6507
	s_branch .LBB6_6508
.LBB6_7318:                             ;   in Loop: Header=BB6_4858 Depth=2
	s_or_saveexec_b32 s29, s29
	v_mov_b32_e32 v8, 0x7f800001
	s_xor_b32 exec_lo, exec_lo, s29
	s_cbranch_execz .LBB6_6512
.LBB6_7319:                             ;   in Loop: Header=BB6_4858 Depth=2
	v_cmp_ne_u16_sdwa s40, v15, v51 src0_sel:BYTE_1 src1_sel:DWORD
	v_mov_b32_e32 v8, 0
	s_andn2_b32 s12, s12, exec_lo
	s_and_b32 s40, s40, exec_lo
	s_or_b32 s12, s12, s40
	s_or_b32 exec_lo, exec_lo, s29
	s_and_saveexec_b32 s29, s12
	s_cbranch_execnz .LBB6_6513
	s_branch .LBB6_6514
.LBB6_7320:                             ;   in Loop: Header=BB6_4858 Depth=2
	s_or_saveexec_b32 s12, s12
	v_mov_b32_e32 v7, 0x7f800001
	s_xor_b32 exec_lo, exec_lo, s12
	s_cbranch_execz .LBB6_6526
.LBB6_7321:                             ;   in Loop: Header=BB6_4858 Depth=2
	v_cmp_ne_u16_sdwa s40, v8, v51 src0_sel:BYTE_0 src1_sel:DWORD
	v_mov_b32_e32 v7, 0
	s_andn2_b32 s29, s29, exec_lo
	s_and_b32 s40, s40, exec_lo
	s_or_b32 s29, s29, s40
	s_or_b32 exec_lo, exec_lo, s12
	v_lshl_or_b32 v6, v8, 16, v6
	s_and_saveexec_b32 s12, s29
	s_cbranch_execnz .LBB6_6527
	s_branch .LBB6_6528
.LBB6_7322:                             ;   in Loop: Header=BB6_4858 Depth=2
	s_or_saveexec_b32 s12, s12
	v_mov_b32_e32 v8, 0x7f800001
	s_xor_b32 exec_lo, exec_lo, s12
	s_cbranch_execz .LBB6_6532
.LBB6_7323:                             ;   in Loop: Header=BB6_4858 Depth=2
	v_cmp_ne_u16_e32 vcc_lo, 0, v9
	v_mov_b32_e32 v8, 0
	s_andn2_b32 s29, s29, exec_lo
	s_and_b32 s40, vcc_lo, exec_lo
	s_or_b32 s29, s29, s40
	s_or_b32 exec_lo, exec_lo, s12
	s_and_saveexec_b32 s12, s29
	s_cbranch_execnz .LBB6_6533
	s_branch .LBB6_6534
.LBB6_7324:                             ;   in Loop: Header=BB6_4858 Depth=2
	s_or_saveexec_b32 s29, s29
	v_mov_b32_e32 v7, 0x7f800001
	s_xor_b32 exec_lo, exec_lo, s29
	s_cbranch_execz .LBB6_6546
.LBB6_7325:                             ;   in Loop: Header=BB6_4858 Depth=2
	v_cmp_ne_u16_sdwa s40, v6, v51 src0_sel:BYTE_3 src1_sel:DWORD
	v_mov_b32_e32 v7, 0
	s_andn2_b32 s12, s12, exec_lo
	s_and_b32 s40, s40, exec_lo
	s_or_b32 s12, s12, s40
	s_or_b32 exec_lo, exec_lo, s29
	s_and_saveexec_b32 s29, s12
	s_cbranch_execnz .LBB6_6547
	s_branch .LBB6_6548
.LBB6_7326:                             ;   in Loop: Header=BB6_4858 Depth=2
	s_or_saveexec_b32 s29, s29
	v_mov_b32_e32 v6, 0x7f800001
	s_xor_b32 exec_lo, exec_lo, s29
	s_cbranch_execz .LBB6_6552
.LBB6_7327:                             ;   in Loop: Header=BB6_4858 Depth=2
	v_cmp_ne_u16_sdwa s40, v15, v51 src0_sel:BYTE_3 src1_sel:DWORD
	v_mov_b32_e32 v6, 0
	s_andn2_b32 s12, s12, exec_lo
	s_and_b32 s40, s40, exec_lo
	s_or_b32 s12, s12, s40
	s_or_b32 exec_lo, exec_lo, s29
	s_and_saveexec_b32 s29, s12
	s_cbranch_execnz .LBB6_6553
	s_branch .LBB6_6554
.LBB6_7328:                             ;   in Loop: Header=BB6_4858 Depth=2
	s_or_saveexec_b32 s12, s12
	v_mov_b32_e32 v7, 0x7f800001
	s_xor_b32 exec_lo, exec_lo, s12
	s_cbranch_execz .LBB6_6566
.LBB6_7329:                             ;   in Loop: Header=BB6_4858 Depth=2
	v_cmp_ne_u16_sdwa s40, v9, v51 src0_sel:BYTE_0 src1_sel:DWORD
	v_mov_b32_e32 v7, 0
	s_andn2_b32 s29, s29, exec_lo
	s_and_b32 s40, s40, exec_lo
	s_or_b32 s29, s29, s40
	s_or_b32 exec_lo, exec_lo, s12
	s_and_saveexec_b32 s12, s29
	s_cbranch_execnz .LBB6_6567
	s_branch .LBB6_6568
.LBB6_7330:                             ;   in Loop: Header=BB6_4858 Depth=2
	s_or_saveexec_b32 s12, s12
	v_mov_b32_e32 v8, 0x7f800001
	s_xor_b32 exec_lo, exec_lo, s12
	s_cbranch_execz .LBB6_6572
.LBB6_7331:                             ;   in Loop: Header=BB6_4858 Depth=2
	v_cmp_ne_u16_sdwa s40, v16, v51 src0_sel:BYTE_0 src1_sel:DWORD
	v_mov_b32_e32 v8, 0
	s_andn2_b32 s29, s29, exec_lo
	s_and_b32 s40, s40, exec_lo
	s_or_b32 s29, s29, s40
	s_or_b32 exec_lo, exec_lo, s12
	s_and_saveexec_b32 s12, s29
	s_cbranch_execnz .LBB6_6573
	s_branch .LBB6_6574
.LBB6_7332:                             ;   in Loop: Header=BB6_4858 Depth=2
	s_or_saveexec_b32 s29, s29
	v_mov_b32_e32 v8, 0x7f800001
	s_xor_b32 exec_lo, exec_lo, s29
	s_cbranch_execz .LBB6_6586
.LBB6_7333:                             ;   in Loop: Header=BB6_4858 Depth=2
	v_cmp_ne_u16_sdwa s40, v9, v51 src0_sel:BYTE_1 src1_sel:DWORD
	v_mov_b32_e32 v8, 0
	s_andn2_b32 s12, s12, exec_lo
	s_and_b32 s40, s40, exec_lo
	s_or_b32 s12, s12, s40
	s_or_b32 exec_lo, exec_lo, s29
	s_and_saveexec_b32 s29, s12
	s_cbranch_execnz .LBB6_6587
	s_branch .LBB6_6588
.LBB6_7334:                             ;   in Loop: Header=BB6_4858 Depth=2
	s_or_saveexec_b32 s29, s29
	v_mov_b32_e32 v15, 0x7f800001
	s_xor_b32 exec_lo, exec_lo, s29
	s_cbranch_execz .LBB6_6592
.LBB6_7335:                             ;   in Loop: Header=BB6_4858 Depth=2
	v_cmp_ne_u16_sdwa s40, v16, v51 src0_sel:BYTE_1 src1_sel:DWORD
	v_mov_b32_e32 v15, 0
	s_andn2_b32 s12, s12, exec_lo
	s_and_b32 s40, s40, exec_lo
	s_or_b32 s12, s12, s40
	s_or_b32 exec_lo, exec_lo, s29
	s_and_saveexec_b32 s29, s12
	s_cbranch_execnz .LBB6_6593
	s_branch .LBB6_6594
.LBB6_7336:                             ;   in Loop: Header=BB6_4858 Depth=2
	s_or_saveexec_b32 s12, s12
	v_mov_b32_e32 v32, 0x7f800001
	s_xor_b32 exec_lo, exec_lo, s12
	s_cbranch_execz .LBB6_6606
.LBB6_7337:                             ;   in Loop: Header=BB6_4858 Depth=2
	v_cmp_ne_u16_sdwa s40, v15, v51 src0_sel:BYTE_0 src1_sel:DWORD
	v_mov_b32_e32 v32, 0
	s_andn2_b32 s29, s29, exec_lo
	s_and_b32 s40, s40, exec_lo
	s_or_b32 s29, s29, s40
	s_or_b32 exec_lo, exec_lo, s12
	v_lshl_or_b32 v15, v15, 16, v9
	s_and_saveexec_b32 s12, s29
	s_cbranch_execnz .LBB6_6607
	s_branch .LBB6_6608
.LBB6_7338:                             ;   in Loop: Header=BB6_4858 Depth=2
	s_or_saveexec_b32 s12, s12
	v_mov_b32_e32 v9, 0x7f800001
	s_xor_b32 exec_lo, exec_lo, s12
	s_cbranch_execz .LBB6_6612
.LBB6_7339:                             ;   in Loop: Header=BB6_4858 Depth=2
	v_cmp_ne_u16_e32 vcc_lo, 0, v33
	v_mov_b32_e32 v9, 0
	s_andn2_b32 s29, s29, exec_lo
	s_and_b32 s40, vcc_lo, exec_lo
	s_or_b32 s29, s29, s40
	s_or_b32 exec_lo, exec_lo, s12
	s_and_saveexec_b32 s12, s29
	s_cbranch_execnz .LBB6_6613
	s_branch .LBB6_6614
.LBB6_7340:                             ;   in Loop: Header=BB6_4858 Depth=2
	s_or_saveexec_b32 s29, s29
	v_mov_b32_e32 v32, 0x7f800001
	s_xor_b32 exec_lo, exec_lo, s29
	s_cbranch_execz .LBB6_6626
.LBB6_7341:                             ;   in Loop: Header=BB6_4858 Depth=2
	v_cmp_ne_u16_sdwa s40, v15, v51 src0_sel:BYTE_3 src1_sel:DWORD
	v_mov_b32_e32 v32, 0
	s_andn2_b32 s12, s12, exec_lo
	s_and_b32 s40, s40, exec_lo
	s_or_b32 s12, s12, s40
	s_or_b32 exec_lo, exec_lo, s29
	s_and_saveexec_b32 s29, s12
	s_cbranch_execnz .LBB6_6627
	s_branch .LBB6_6628
.LBB6_7342:                             ;   in Loop: Header=BB6_4858 Depth=2
	s_or_saveexec_b32 s29, s29
	v_mov_b32_e32 v15, 0x7f800001
	s_xor_b32 exec_lo, exec_lo, s29
	s_cbranch_execz .LBB6_6632
.LBB6_7343:                             ;   in Loop: Header=BB6_4858 Depth=2
	v_cmp_ne_u16_sdwa s40, v16, v51 src0_sel:BYTE_3 src1_sel:DWORD
	v_mov_b32_e32 v15, 0
	s_andn2_b32 s12, s12, exec_lo
	s_and_b32 s40, s40, exec_lo
	s_or_b32 s12, s12, s40
	s_or_b32 exec_lo, exec_lo, s29
	s_and_saveexec_b32 s29, s12
	s_cbranch_execnz .LBB6_6633
	s_branch .LBB6_6634
.LBB6_7344:                             ;   in Loop: Header=BB6_4858 Depth=2
	s_or_saveexec_b32 s12, s12
	v_mov_b32_e32 v16, 0x7f800001
	s_xor_b32 exec_lo, exec_lo, s12
	s_cbranch_execz .LBB6_6646
.LBB6_7345:                             ;   in Loop: Header=BB6_4858 Depth=2
	v_cmp_ne_u16_sdwa s40, v33, v51 src0_sel:BYTE_0 src1_sel:DWORD
	v_mov_b32_e32 v16, 0
	s_andn2_b32 s29, s29, exec_lo
	s_and_b32 s40, s40, exec_lo
	s_or_b32 s29, s29, s40
	s_or_b32 exec_lo, exec_lo, s12
	s_and_saveexec_b32 s12, s29
	s_cbranch_execnz .LBB6_6647
	s_branch .LBB6_6648
.LBB6_7346:                             ;   in Loop: Header=BB6_4858 Depth=2
	s_or_saveexec_b32 s12, s12
	v_mov_b32_e32 v32, 0x7f800001
	s_xor_b32 exec_lo, exec_lo, s12
	s_cbranch_execz .LBB6_6652
.LBB6_7347:                             ;   in Loop: Header=BB6_4858 Depth=2
	v_cmp_ne_u16_sdwa s40, v17, v51 src0_sel:BYTE_0 src1_sel:DWORD
	v_mov_b32_e32 v32, 0
	s_andn2_b32 s29, s29, exec_lo
	s_and_b32 s40, s40, exec_lo
	s_or_b32 s29, s29, s40
	s_or_b32 exec_lo, exec_lo, s12
	s_and_saveexec_b32 s12, s29
	s_cbranch_execnz .LBB6_6653
	s_branch .LBB6_6654
.LBB6_7348:                             ;   in Loop: Header=BB6_4858 Depth=2
	s_or_saveexec_b32 s29, s29
	v_mov_b32_e32 v32, 0x7f800001
	s_xor_b32 exec_lo, exec_lo, s29
	s_cbranch_execz .LBB6_6666
.LBB6_7349:                             ;   in Loop: Header=BB6_4858 Depth=2
	v_cmp_ne_u16_sdwa s40, v33, v51 src0_sel:BYTE_1 src1_sel:DWORD
	v_mov_b32_e32 v32, 0
	s_andn2_b32 s12, s12, exec_lo
	s_and_b32 s40, s40, exec_lo
	s_or_b32 s12, s12, s40
	s_or_b32 exec_lo, exec_lo, s29
	s_and_saveexec_b32 s29, s12
	s_cbranch_execnz .LBB6_6667
	s_branch .LBB6_6668
.LBB6_7350:                             ;   in Loop: Header=BB6_4858 Depth=2
	s_or_saveexec_b32 s29, s29
	v_mov_b32_e32 v35, 0x7f800001
	s_xor_b32 exec_lo, exec_lo, s29
	s_cbranch_execz .LBB6_6672
.LBB6_7351:                             ;   in Loop: Header=BB6_4858 Depth=2
	v_cmp_ne_u16_sdwa s40, v17, v51 src0_sel:BYTE_1 src1_sel:DWORD
	v_mov_b32_e32 v35, 0
	s_andn2_b32 s12, s12, exec_lo
	s_and_b32 s40, s40, exec_lo
	s_or_b32 s12, s12, s40
	s_or_b32 exec_lo, exec_lo, s29
	s_and_saveexec_b32 s29, s12
	s_cbranch_execnz .LBB6_6673
	s_branch .LBB6_6674
.LBB6_7352:                             ;   in Loop: Header=BB6_4858 Depth=2
	s_or_saveexec_b32 s12, s12
	v_mov_b32_e32 v36, 0x7f800001
	s_xor_b32 exec_lo, exec_lo, s12
	s_cbranch_execz .LBB6_6686
.LBB6_7353:                             ;   in Loop: Header=BB6_4858 Depth=2
	v_cmp_ne_u16_sdwa s40, v35, v51 src0_sel:BYTE_0 src1_sel:DWORD
	v_mov_b32_e32 v36, 0
	s_andn2_b32 s29, s29, exec_lo
	s_and_b32 s40, s40, exec_lo
	s_or_b32 s29, s29, s40
	s_or_b32 exec_lo, exec_lo, s12
	v_lshl_or_b32 v35, v35, 16, v33
	s_and_saveexec_b32 s12, s29
	s_cbranch_execnz .LBB6_6687
	s_branch .LBB6_6688
.LBB6_7354:                             ;   in Loop: Header=BB6_4858 Depth=2
	s_or_saveexec_b32 s12, s12
	v_mov_b32_e32 v33, 0x7f800001
	s_xor_b32 exec_lo, exec_lo, s12
	s_cbranch_execz .LBB6_6692
.LBB6_7355:                             ;   in Loop: Header=BB6_4858 Depth=2
	v_cmp_ne_u16_e32 vcc_lo, 0, v37
	v_mov_b32_e32 v33, 0
	s_andn2_b32 s29, s29, exec_lo
	s_and_b32 s40, vcc_lo, exec_lo
	s_or_b32 s29, s29, s40
	s_or_b32 exec_lo, exec_lo, s12
	s_and_saveexec_b32 s12, s29
	s_cbranch_execnz .LBB6_6693
	s_branch .LBB6_6694
.LBB6_7356:                             ;   in Loop: Header=BB6_4858 Depth=2
	s_or_saveexec_b32 s29, s29
	v_mov_b32_e32 v36, 0x7f800001
	s_xor_b32 exec_lo, exec_lo, s29
	s_cbranch_execz .LBB6_6706
.LBB6_7357:                             ;   in Loop: Header=BB6_4858 Depth=2
	v_cmp_ne_u16_sdwa s40, v35, v51 src0_sel:BYTE_3 src1_sel:DWORD
	v_mov_b32_e32 v36, 0
	s_andn2_b32 s12, s12, exec_lo
	s_and_b32 s40, s40, exec_lo
	s_or_b32 s12, s12, s40
	s_or_b32 exec_lo, exec_lo, s29
	s_and_saveexec_b32 s29, s12
	s_cbranch_execnz .LBB6_6707
	s_branch .LBB6_6708
.LBB6_7358:                             ;   in Loop: Header=BB6_4858 Depth=2
	s_or_saveexec_b32 s29, s29
	v_mov_b32_e32 v35, 0x7f800001
	s_xor_b32 exec_lo, exec_lo, s29
	s_cbranch_execz .LBB6_6712
.LBB6_7359:                             ;   in Loop: Header=BB6_4858 Depth=2
	v_cmp_ne_u16_sdwa s40, v17, v51 src0_sel:BYTE_3 src1_sel:DWORD
	v_mov_b32_e32 v35, 0
	s_andn2_b32 s12, s12, exec_lo
	s_and_b32 s40, s40, exec_lo
	s_or_b32 s12, s12, s40
	s_or_b32 exec_lo, exec_lo, s29
	s_and_saveexec_b32 s29, s12
	s_cbranch_execnz .LBB6_6713
	s_branch .LBB6_6714
.LBB6_7360:                             ;   in Loop: Header=BB6_4858 Depth=2
	s_or_saveexec_b32 s12, s12
	v_mov_b32_e32 v35, 0x7f800001
	s_xor_b32 exec_lo, exec_lo, s12
	s_cbranch_execz .LBB6_6726
.LBB6_7361:                             ;   in Loop: Header=BB6_4858 Depth=2
	v_cmp_ne_u16_sdwa s40, v37, v51 src0_sel:BYTE_0 src1_sel:DWORD
	v_mov_b32_e32 v35, 0
	s_andn2_b32 s29, s29, exec_lo
	s_and_b32 s40, s40, exec_lo
	s_or_b32 s29, s29, s40
	s_or_b32 exec_lo, exec_lo, s12
	s_and_saveexec_b32 s12, s29
	s_cbranch_execnz .LBB6_6727
	s_branch .LBB6_6728
.LBB6_7362:                             ;   in Loop: Header=BB6_4858 Depth=2
	s_or_saveexec_b32 s12, s12
	v_mov_b32_e32 v36, 0x7f800001
	s_xor_b32 exec_lo, exec_lo, s12
	s_cbranch_execz .LBB6_6732
.LBB6_7363:                             ;   in Loop: Header=BB6_4858 Depth=2
	v_cmp_ne_u16_sdwa s40, v10, v51 src0_sel:BYTE_0 src1_sel:DWORD
	v_mov_b32_e32 v36, 0
	s_andn2_b32 s29, s29, exec_lo
	s_and_b32 s40, s40, exec_lo
	s_or_b32 s29, s29, s40
	s_or_b32 exec_lo, exec_lo, s12
	s_and_saveexec_b32 s12, s29
	s_cbranch_execnz .LBB6_6733
	s_branch .LBB6_6734
.LBB6_7364:                             ;   in Loop: Header=BB6_4858 Depth=2
	s_or_saveexec_b32 s29, s29
	v_mov_b32_e32 v36, 0x7f800001
	s_xor_b32 exec_lo, exec_lo, s29
	s_cbranch_execz .LBB6_6746
.LBB6_7365:                             ;   in Loop: Header=BB6_4858 Depth=2
	v_cmp_ne_u16_sdwa s40, v37, v51 src0_sel:BYTE_1 src1_sel:DWORD
	v_mov_b32_e32 v36, 0
	s_andn2_b32 s12, s12, exec_lo
	s_and_b32 s40, s40, exec_lo
	s_or_b32 s12, s12, s40
	s_or_b32 exec_lo, exec_lo, s29
	s_and_saveexec_b32 s29, s12
	s_cbranch_execnz .LBB6_6747
	s_branch .LBB6_6748
.LBB6_7366:                             ;   in Loop: Header=BB6_4858 Depth=2
	s_or_saveexec_b32 s29, s29
	v_mov_b32_e32 v48, 0x7f800001
	s_xor_b32 exec_lo, exec_lo, s29
	s_cbranch_execz .LBB6_6752
.LBB6_7367:                             ;   in Loop: Header=BB6_4858 Depth=2
	v_cmp_ne_u16_sdwa s40, v10, v51 src0_sel:BYTE_1 src1_sel:DWORD
	v_mov_b32_e32 v48, 0
	s_andn2_b32 s12, s12, exec_lo
	s_and_b32 s40, s40, exec_lo
	s_or_b32 s12, s12, s40
	s_or_b32 exec_lo, exec_lo, s29
	s_and_saveexec_b32 s29, s12
	s_cbranch_execnz .LBB6_6753
	s_branch .LBB6_6754
.LBB6_7368:                             ;   in Loop: Header=BB6_4858 Depth=2
	s_or_saveexec_b32 s12, s12
	v_mov_b32_e32 v49, 0x7f800001
	s_xor_b32 exec_lo, exec_lo, s12
	s_cbranch_execz .LBB6_6766
.LBB6_7369:                             ;   in Loop: Header=BB6_4858 Depth=2
	v_cmp_ne_u16_sdwa s40, v48, v51 src0_sel:BYTE_0 src1_sel:DWORD
	v_mov_b32_e32 v49, 0
	s_andn2_b32 s29, s29, exec_lo
	s_and_b32 s40, s40, exec_lo
	s_or_b32 s29, s29, s40
	s_or_b32 exec_lo, exec_lo, s12
	v_lshl_or_b32 v48, v48, 16, v37
	s_and_saveexec_b32 s12, s29
	s_cbranch_execnz .LBB6_6767
	s_branch .LBB6_6768
.LBB6_7370:                             ;   in Loop: Header=BB6_4858 Depth=2
	s_or_saveexec_b32 s12, s12
	v_mov_b32_e32 v37, 0x7f800001
	s_xor_b32 exec_lo, exec_lo, s12
	s_cbranch_execz .LBB6_6772
.LBB6_7371:                             ;   in Loop: Header=BB6_4858 Depth=2
	v_cmp_ne_u16_e32 vcc_lo, 0, v82
	v_mov_b32_e32 v37, 0
	s_andn2_b32 s29, s29, exec_lo
	s_and_b32 s40, vcc_lo, exec_lo
	s_or_b32 s29, s29, s40
	s_or_b32 exec_lo, exec_lo, s12
	s_and_saveexec_b32 s12, s29
	s_cbranch_execnz .LBB6_6773
	s_branch .LBB6_6774
.LBB6_7372:                             ;   in Loop: Header=BB6_4858 Depth=2
	s_or_saveexec_b32 s29, s29
	v_mov_b32_e32 v49, 0x7f800001
	s_xor_b32 exec_lo, exec_lo, s29
	s_cbranch_execz .LBB6_6786
.LBB6_7373:                             ;   in Loop: Header=BB6_4858 Depth=2
	v_cmp_ne_u16_sdwa s40, v48, v51 src0_sel:BYTE_3 src1_sel:DWORD
	v_mov_b32_e32 v49, 0
	s_andn2_b32 s12, s12, exec_lo
	s_and_b32 s40, s40, exec_lo
	s_or_b32 s12, s12, s40
	s_or_b32 exec_lo, exec_lo, s29
	s_and_saveexec_b32 s29, s12
	s_cbranch_execnz .LBB6_6787
	s_branch .LBB6_6788
.LBB6_7374:                             ;   in Loop: Header=BB6_4858 Depth=2
	s_or_saveexec_b32 s29, s29
	v_mov_b32_e32 v48, 0x7f800001
	s_xor_b32 exec_lo, exec_lo, s29
	s_cbranch_execz .LBB6_6792
.LBB6_7375:                             ;   in Loop: Header=BB6_4858 Depth=2
	v_cmp_ne_u16_sdwa s40, v10, v51 src0_sel:BYTE_3 src1_sel:DWORD
	v_mov_b32_e32 v48, 0
	s_andn2_b32 s12, s12, exec_lo
	s_and_b32 s40, s40, exec_lo
	s_or_b32 s12, s12, s40
	s_or_b32 exec_lo, exec_lo, s29
	s_and_saveexec_b32 s29, s12
	s_cbranch_execnz .LBB6_6793
	s_branch .LBB6_6794
.LBB6_7376:                             ;   in Loop: Header=BB6_4858 Depth=2
	s_or_saveexec_b32 s12, s12
	v_mov_b32_e32 v48, 0x7f800001
	s_xor_b32 exec_lo, exec_lo, s12
	s_cbranch_execz .LBB6_6806
.LBB6_7377:                             ;   in Loop: Header=BB6_4858 Depth=2
	v_cmp_ne_u16_sdwa s40, v82, v51 src0_sel:BYTE_0 src1_sel:DWORD
	v_mov_b32_e32 v48, 0
	s_andn2_b32 s29, s29, exec_lo
	s_and_b32 s40, s40, exec_lo
	s_or_b32 s29, s29, s40
	s_or_b32 exec_lo, exec_lo, s12
	s_and_saveexec_b32 s12, s29
	s_cbranch_execnz .LBB6_6807
	s_branch .LBB6_6808
.LBB6_7378:                             ;   in Loop: Header=BB6_4858 Depth=2
	s_or_saveexec_b32 s12, s12
	v_mov_b32_e32 v49, 0x7f800001
	s_xor_b32 exec_lo, exec_lo, s12
	s_cbranch_execz .LBB6_6812
.LBB6_7379:                             ;   in Loop: Header=BB6_4858 Depth=2
	v_cmp_ne_u16_sdwa s40, v11, v51 src0_sel:BYTE_0 src1_sel:DWORD
	v_mov_b32_e32 v49, 0
	s_andn2_b32 s29, s29, exec_lo
	s_and_b32 s40, s40, exec_lo
	s_or_b32 s29, s29, s40
	s_or_b32 exec_lo, exec_lo, s12
	s_and_saveexec_b32 s12, s29
	s_cbranch_execnz .LBB6_6813
	s_branch .LBB6_6814
.LBB6_7380:                             ;   in Loop: Header=BB6_4858 Depth=2
	s_or_saveexec_b32 s29, s29
	v_mov_b32_e32 v49, 0x7f800001
	s_xor_b32 exec_lo, exec_lo, s29
	s_cbranch_execz .LBB6_6826
.LBB6_7381:                             ;   in Loop: Header=BB6_4858 Depth=2
	v_cmp_ne_u16_sdwa s40, v82, v51 src0_sel:BYTE_1 src1_sel:DWORD
	v_mov_b32_e32 v49, 0
	s_andn2_b32 s12, s12, exec_lo
	s_and_b32 s40, s40, exec_lo
	s_or_b32 s12, s12, s40
	s_or_b32 exec_lo, exec_lo, s29
	s_and_saveexec_b32 s29, s12
	s_cbranch_execnz .LBB6_6827
	s_branch .LBB6_6828
.LBB6_7382:                             ;   in Loop: Header=BB6_4858 Depth=2
	s_or_saveexec_b32 s29, s29
	v_mov_b32_e32 v83, 0x7f800001
	s_xor_b32 exec_lo, exec_lo, s29
	s_cbranch_execz .LBB6_6832
.LBB6_7383:                             ;   in Loop: Header=BB6_4858 Depth=2
	v_cmp_ne_u16_sdwa s40, v11, v51 src0_sel:BYTE_1 src1_sel:DWORD
	v_mov_b32_e32 v83, 0
	s_andn2_b32 s12, s12, exec_lo
	s_and_b32 s40, s40, exec_lo
	s_or_b32 s12, s12, s40
	s_or_b32 exec_lo, exec_lo, s29
	s_and_saveexec_b32 s29, s12
	s_cbranch_execnz .LBB6_6833
	s_branch .LBB6_6834
.LBB6_7384:                             ;   in Loop: Header=BB6_4858 Depth=2
	s_or_saveexec_b32 s12, s12
	v_mov_b32_e32 v84, 0x7f800001
	s_xor_b32 exec_lo, exec_lo, s12
	s_cbranch_execz .LBB6_6846
.LBB6_7385:                             ;   in Loop: Header=BB6_4858 Depth=2
	v_cmp_ne_u16_sdwa s40, v83, v51 src0_sel:BYTE_0 src1_sel:DWORD
	v_mov_b32_e32 v84, 0
	s_andn2_b32 s29, s29, exec_lo
	s_and_b32 s40, s40, exec_lo
	s_or_b32 s29, s29, s40
	s_or_b32 exec_lo, exec_lo, s12
	v_lshl_or_b32 v83, v83, 16, v82
	s_and_saveexec_b32 s12, s29
	s_cbranch_execnz .LBB6_6847
	s_branch .LBB6_6848
.LBB6_7386:                             ;   in Loop: Header=BB6_4858 Depth=2
	s_or_saveexec_b32 s12, s12
	v_mov_b32_e32 v82, 0x7f800001
	s_xor_b32 exec_lo, exec_lo, s12
	s_cbranch_execz .LBB6_6852
.LBB6_7387:                             ;   in Loop: Header=BB6_4858 Depth=2
	v_cmp_ne_u16_e32 vcc_lo, 0, v47
	v_mov_b32_e32 v82, 0
	s_andn2_b32 s29, s29, exec_lo
	s_and_b32 s40, vcc_lo, exec_lo
	s_or_b32 s29, s29, s40
	s_or_b32 exec_lo, exec_lo, s12
	s_and_saveexec_b32 s12, s29
	s_cbranch_execnz .LBB6_6853
	s_branch .LBB6_6854
.LBB6_7388:                             ;   in Loop: Header=BB6_4858 Depth=2
	s_or_saveexec_b32 s29, s29
	v_mov_b32_e32 v84, 0x7f800001
	s_xor_b32 exec_lo, exec_lo, s29
	s_cbranch_execz .LBB6_6866
.LBB6_7389:                             ;   in Loop: Header=BB6_4858 Depth=2
	v_cmp_ne_u16_sdwa s40, v83, v51 src0_sel:BYTE_3 src1_sel:DWORD
	v_mov_b32_e32 v84, 0
	s_andn2_b32 s12, s12, exec_lo
	s_and_b32 s40, s40, exec_lo
	s_or_b32 s12, s12, s40
	s_or_b32 exec_lo, exec_lo, s29
	s_and_saveexec_b32 s29, s12
	s_cbranch_execnz .LBB6_6867
	s_branch .LBB6_6868
.LBB6_7390:                             ;   in Loop: Header=BB6_4858 Depth=2
	s_or_saveexec_b32 s29, s29
	v_mov_b32_e32 v83, 0x7f800001
	s_xor_b32 exec_lo, exec_lo, s29
	s_cbranch_execz .LBB6_6872
.LBB6_7391:                             ;   in Loop: Header=BB6_4858 Depth=2
	v_cmp_ne_u16_sdwa s40, v11, v51 src0_sel:BYTE_3 src1_sel:DWORD
	v_mov_b32_e32 v83, 0
	s_andn2_b32 s12, s12, exec_lo
	s_and_b32 s40, s40, exec_lo
	s_or_b32 s12, s12, s40
	s_or_b32 exec_lo, exec_lo, s29
	s_and_saveexec_b32 s29, s12
	s_cbranch_execnz .LBB6_6873
	s_branch .LBB6_6874
.LBB6_7392:                             ;   in Loop: Header=BB6_4858 Depth=2
	s_or_saveexec_b32 s12, s12
	v_mov_b32_e32 v83, 0x7f800001
	s_xor_b32 exec_lo, exec_lo, s12
	s_cbranch_execz .LBB6_6886
.LBB6_7393:                             ;   in Loop: Header=BB6_4858 Depth=2
	v_cmp_ne_u16_sdwa s40, v45, v51 src0_sel:BYTE_0 src1_sel:DWORD
	v_mov_b32_e32 v83, 0
	s_andn2_b32 s29, s29, exec_lo
	s_and_b32 s40, s40, exec_lo
	s_or_b32 s29, s29, s40
	s_or_b32 exec_lo, exec_lo, s12
	s_and_saveexec_b32 s12, s29
	s_cbranch_execnz .LBB6_6887
	s_branch .LBB6_6888
.LBB6_7394:                             ;   in Loop: Header=BB6_4858 Depth=2
	s_or_saveexec_b32 s12, s12
	v_mov_b32_e32 v84, 0x7f800001
	s_xor_b32 exec_lo, exec_lo, s12
	s_cbranch_execz .LBB6_6892
.LBB6_7395:                             ;   in Loop: Header=BB6_4858 Depth=2
	v_cmp_ne_u16_sdwa s40, v12, v51 src0_sel:BYTE_0 src1_sel:DWORD
	v_mov_b32_e32 v84, 0
	s_andn2_b32 s29, s29, exec_lo
	s_and_b32 s40, s40, exec_lo
	s_or_b32 s29, s29, s40
	s_or_b32 exec_lo, exec_lo, s12
	s_and_saveexec_b32 s12, s29
	s_cbranch_execnz .LBB6_6893
	s_branch .LBB6_6894
.LBB6_7396:                             ;   in Loop: Header=BB6_4858 Depth=2
	s_or_saveexec_b32 s29, s29
	v_mov_b32_e32 v84, 0x7f800001
	s_xor_b32 exec_lo, exec_lo, s29
	s_cbranch_execz .LBB6_6906
.LBB6_7397:                             ;   in Loop: Header=BB6_4858 Depth=2
	v_cmp_ne_u16_sdwa s40, v45, v51 src0_sel:BYTE_1 src1_sel:DWORD
	v_mov_b32_e32 v84, 0
	s_andn2_b32 s12, s12, exec_lo
	s_and_b32 s40, s40, exec_lo
	s_or_b32 s12, s12, s40
	s_or_b32 exec_lo, exec_lo, s29
	s_and_saveexec_b32 s29, s12
	s_cbranch_execnz .LBB6_6907
	s_branch .LBB6_6908
.LBB6_7398:                             ;   in Loop: Header=BB6_4858 Depth=2
	s_or_saveexec_b32 s29, s29
	v_mov_b32_e32 v46, 0x7f800001
	s_xor_b32 exec_lo, exec_lo, s29
	s_cbranch_execz .LBB6_6912
.LBB6_7399:                             ;   in Loop: Header=BB6_4858 Depth=2
	v_cmp_ne_u16_sdwa s40, v12, v51 src0_sel:BYTE_1 src1_sel:DWORD
	v_mov_b32_e32 v46, 0
	s_andn2_b32 s12, s12, exec_lo
	s_and_b32 s40, s40, exec_lo
	s_or_b32 s12, s12, s40
	s_or_b32 exec_lo, exec_lo, s29
	s_and_saveexec_b32 s29, s12
	s_cbranch_execnz .LBB6_6913
	s_branch .LBB6_6914
.LBB6_7400:                             ;   in Loop: Header=BB6_4858 Depth=2
	s_or_saveexec_b32 s12, s12
	v_mov_b32_e32 v42, 0x7f800001
	s_xor_b32 exec_lo, exec_lo, s12
	s_cbranch_execz .LBB6_6926
.LBB6_7401:                             ;   in Loop: Header=BB6_4858 Depth=2
	v_cmp_ne_u16_sdwa s40, v44, v51 src0_sel:BYTE_0 src1_sel:DWORD
	v_mov_b32_e32 v42, 0
	s_andn2_b32 s29, s29, exec_lo
	s_and_b32 s40, s40, exec_lo
	s_or_b32 s29, s29, s40
	s_or_b32 exec_lo, exec_lo, s12
	v_lshl_or_b32 v44, v44, 16, v45
	s_and_saveexec_b32 s12, s29
	s_cbranch_execnz .LBB6_6927
	s_branch .LBB6_6928
.LBB6_7402:                             ;   in Loop: Header=BB6_4858 Depth=2
	s_or_saveexec_b32 s12, s12
	v_mov_b32_e32 v45, 0x7f800001
	s_xor_b32 exec_lo, exec_lo, s12
	s_cbranch_execz .LBB6_6932
.LBB6_7403:                             ;   in Loop: Header=BB6_4858 Depth=2
	v_cmp_ne_u16_e32 vcc_lo, 0, v46
	v_mov_b32_e32 v45, 0
	s_andn2_b32 s29, s29, exec_lo
	s_and_b32 s40, vcc_lo, exec_lo
	s_or_b32 s29, s29, s40
	s_or_b32 exec_lo, exec_lo, s12
	s_and_saveexec_b32 s12, s29
	s_cbranch_execnz .LBB6_6933
	s_branch .LBB6_6934
.LBB6_7404:                             ;   in Loop: Header=BB6_4858 Depth=2
	s_or_saveexec_b32 s29, s29
	v_mov_b32_e32 v45, 0x7f800001
	s_xor_b32 exec_lo, exec_lo, s29
	s_cbranch_execz .LBB6_6946
.LBB6_7405:                             ;   in Loop: Header=BB6_4858 Depth=2
	v_cmp_ne_u16_sdwa s40, v44, v51 src0_sel:BYTE_3 src1_sel:DWORD
	v_mov_b32_e32 v45, 0
	s_andn2_b32 s12, s12, exec_lo
	s_and_b32 s40, s40, exec_lo
	s_or_b32 s12, s12, s40
	s_or_b32 exec_lo, exec_lo, s29
	s_and_saveexec_b32 s29, s12
	s_cbranch_execnz .LBB6_6947
	s_branch .LBB6_6948
.LBB6_7406:                             ;   in Loop: Header=BB6_4858 Depth=2
	s_or_saveexec_b32 s29, s29
	v_mov_b32_e32 v44, 0x7f800001
	s_xor_b32 exec_lo, exec_lo, s29
	s_cbranch_execz .LBB6_6952
.LBB6_7407:                             ;   in Loop: Header=BB6_4858 Depth=2
	v_cmp_ne_u16_sdwa s40, v12, v51 src0_sel:BYTE_3 src1_sel:DWORD
	v_mov_b32_e32 v44, 0
	s_andn2_b32 s12, s12, exec_lo
	s_and_b32 s40, s40, exec_lo
	s_or_b32 s12, s12, s40
	s_or_b32 exec_lo, exec_lo, s29
	s_and_saveexec_b32 s29, s12
	s_cbranch_execnz .LBB6_6953
	s_branch .LBB6_6954
.LBB6_7408:                             ;   in Loop: Header=BB6_4858 Depth=2
	s_or_saveexec_b32 s12, s12
	v_mov_b32_e32 v118, 0x7f800001
	s_xor_b32 exec_lo, exec_lo, s12
	s_cbranch_execz .LBB6_6966
.LBB6_7409:                             ;   in Loop: Header=BB6_4858 Depth=2
	v_cmp_ne_u16_sdwa s40, v44, v51 src0_sel:BYTE_0 src1_sel:DWORD
	v_mov_b32_e32 v118, 0
	s_andn2_b32 s29, s29, exec_lo
	s_and_b32 s40, s40, exec_lo
	s_or_b32 s29, s29, s40
	s_or_b32 exec_lo, exec_lo, s12
	s_and_saveexec_b32 s12, s29
	s_cbranch_execnz .LBB6_6967
	s_branch .LBB6_6968
.LBB6_7410:                             ;   in Loop: Header=BB6_4858 Depth=2
	s_or_saveexec_b32 s12, s12
	v_mov_b32_e32 v41, 0x7f800001
	s_xor_b32 exec_lo, exec_lo, s12
	s_cbranch_execz .LBB6_6972
.LBB6_7411:                             ;   in Loop: Header=BB6_4858 Depth=2
	v_cmp_ne_u16_sdwa s40, v13, v51 src0_sel:BYTE_0 src1_sel:DWORD
	v_mov_b32_e32 v41, 0
	s_andn2_b32 s29, s29, exec_lo
	s_and_b32 s40, s40, exec_lo
	s_or_b32 s29, s29, s40
	s_or_b32 exec_lo, exec_lo, s12
	s_and_saveexec_b32 s12, s29
	s_cbranch_execnz .LBB6_6973
	s_branch .LBB6_6974
.LBB6_7412:                             ;   in Loop: Header=BB6_4858 Depth=2
	s_or_saveexec_b32 s29, s29
	v_mov_b32_e32 v41, 0x7f800001
	s_xor_b32 exec_lo, exec_lo, s29
	s_cbranch_execz .LBB6_6986
.LBB6_7413:                             ;   in Loop: Header=BB6_4858 Depth=2
	v_cmp_ne_u16_sdwa s40, v44, v51 src0_sel:BYTE_1 src1_sel:DWORD
	v_mov_b32_e32 v41, 0
	s_andn2_b32 s12, s12, exec_lo
	s_and_b32 s40, s40, exec_lo
	s_or_b32 s12, s12, s40
	s_or_b32 exec_lo, exec_lo, s29
	s_and_saveexec_b32 s29, s12
	s_cbranch_execnz .LBB6_6987
	s_branch .LBB6_6988
.LBB6_7414:                             ;   in Loop: Header=BB6_4858 Depth=2
	s_or_saveexec_b32 s29, s29
	v_mov_b32_e32 v45, 0x7f800001
	s_xor_b32 exec_lo, exec_lo, s29
	s_cbranch_execz .LBB6_6992
.LBB6_7415:                             ;   in Loop: Header=BB6_4858 Depth=2
	v_cmp_ne_u16_sdwa s40, v13, v51 src0_sel:BYTE_1 src1_sel:DWORD
	v_mov_b32_e32 v45, 0
	s_andn2_b32 s12, s12, exec_lo
	s_and_b32 s40, s40, exec_lo
	s_or_b32 s12, s12, s40
	s_or_b32 exec_lo, exec_lo, s29
	s_and_saveexec_b32 s29, s12
	s_cbranch_execnz .LBB6_6993
	s_branch .LBB6_6994
.LBB6_7416:                             ;   in Loop: Header=BB6_4858 Depth=2
	s_or_saveexec_b32 s12, s12
	v_mov_b32_e32 v40, 0x7f800001
	s_xor_b32 exec_lo, exec_lo, s12
	s_cbranch_execz .LBB6_7006
.LBB6_7417:                             ;   in Loop: Header=BB6_4858 Depth=2
	v_cmp_ne_u16_sdwa s40, v117, v51 src0_sel:BYTE_0 src1_sel:DWORD
	v_mov_b32_e32 v40, 0
	s_andn2_b32 s29, s29, exec_lo
	s_and_b32 s40, s40, exec_lo
	s_or_b32 s29, s29, s40
	s_or_b32 exec_lo, exec_lo, s12
	v_lshl_or_b32 v117, v117, 16, v44
	s_and_saveexec_b32 s12, s29
	s_cbranch_execnz .LBB6_7007
	s_branch .LBB6_7008
.LBB6_7418:                             ;   in Loop: Header=BB6_4858 Depth=2
	s_or_saveexec_b32 s12, s12
	v_mov_b32_e32 v44, 0x7f800001
	s_xor_b32 exec_lo, exec_lo, s12
	s_cbranch_execz .LBB6_7012
.LBB6_7419:                             ;   in Loop: Header=BB6_4858 Depth=2
	v_cmp_ne_u16_e32 vcc_lo, 0, v45
	v_mov_b32_e32 v44, 0
	s_andn2_b32 s29, s29, exec_lo
	s_and_b32 s40, vcc_lo, exec_lo
	s_or_b32 s29, s29, s40
	s_or_b32 exec_lo, exec_lo, s12
	s_and_saveexec_b32 s12, s29
	s_cbranch_execnz .LBB6_7013
	s_branch .LBB6_7014
.LBB6_7420:                             ;   in Loop: Header=BB6_4858 Depth=2
	s_or_saveexec_b32 s29, s29
	v_mov_b32_e32 v44, 0x7f800001
	s_xor_b32 exec_lo, exec_lo, s29
	s_cbranch_execz .LBB6_7026
.LBB6_7421:                             ;   in Loop: Header=BB6_4858 Depth=2
	v_cmp_ne_u16_sdwa s40, v117, v51 src0_sel:BYTE_3 src1_sel:DWORD
	v_mov_b32_e32 v44, 0
	s_andn2_b32 s12, s12, exec_lo
	s_and_b32 s40, s40, exec_lo
	s_or_b32 s12, s12, s40
	s_or_b32 exec_lo, exec_lo, s29
	s_and_saveexec_b32 s29, s12
	s_cbranch_execnz .LBB6_7027
	s_branch .LBB6_7028
.LBB6_7422:                             ;   in Loop: Header=BB6_4858 Depth=2
	s_or_saveexec_b32 s29, s29
	v_mov_b32_e32 v117, 0x7f800001
	s_xor_b32 exec_lo, exec_lo, s29
	s_cbranch_execz .LBB6_7032
.LBB6_7423:                             ;   in Loop: Header=BB6_4858 Depth=2
	v_cmp_ne_u16_sdwa s40, v13, v51 src0_sel:BYTE_3 src1_sel:DWORD
	v_mov_b32_e32 v117, 0
	s_andn2_b32 s12, s12, exec_lo
	s_and_b32 s40, s40, exec_lo
	s_or_b32 s12, s12, s40
	s_or_b32 exec_lo, exec_lo, s29
	s_and_saveexec_b32 s29, s12
	s_cbranch_execnz .LBB6_7033
	s_branch .LBB6_7034
.LBB6_7424:                             ;   in Loop: Header=BB6_4781 Depth=1
	s_or_b32 exec_lo, exec_lo, s25
.LBB6_7425:                             ;   in Loop: Header=BB6_4781 Depth=1
	s_or_b32 exec_lo, exec_lo, s13
	v_and_b32_e32 v4, 0x3ffff800, v50
	v_mov_b32_e32 v2, 0
	s_mov_b32 s12, 0
	s_mov_b32 s25, exec_lo
                                        ; implicit-def: $vgpr3
                                        ; implicit-def: $vgpr18
	v_cmpx_ne_u32_e64 v50, v4
	s_cbranch_execz .LBB6_8079
; %bb.7426:                             ;   in Loop: Header=BB6_4781 Depth=1
	buffer_load_dword v1, off, s[0:3], s33 offset:228 ; 4-byte Folded Reload
	v_lshlrev_b32_e32 v0, 5, v115
	v_bfe_u32 v7, v50, 9, 2
	v_and_b32_e32 v6, 0x7ff, v50
	s_mov_b32 s26, exec_lo
	s_waitcnt vmcnt(0)
	v_sub_nc_u32_e32 v0, v1, v0
	v_ashrrev_i32_e32 v1, 31, v0
	v_lshrrev_b32_e32 v1, 27, v1
	v_add_nc_u32_e32 v1, v0, v1
	v_and_b32_e32 v2, 0xffffffe0, v1
	v_sub_nc_u32_e32 v0, v0, v2
	v_ashrrev_i32_e32 v2, 5, v1
	v_and_b32_e32 v1, 0x1ff, v50
	v_lshlrev_b32_e32 v3, 4, v0
	v_cmp_lt_u32_e64 s12, 15, v1
	v_lshl_add_u32 v5, v2, 9, v3
	v_add_co_ci_u32_e64 v7, null, 0, v7, s12
	v_sub_nc_u32_e32 v3, v6, v5
	v_sub_nc_u32_e32 v2, v7, v2
	v_cmpx_lt_i32_e32 15, v3
	s_cbranch_execz .LBB6_8078
; %bb.7427:                             ;   in Loop: Header=BB6_4781 Depth=1
	s_trap 2
	ds_read_b64 v[6:7], v0
	v_add_nc_u32_e32 v4, v5, v4
	v_ashrrev_i32_e32 v5, 31, v4
	v_add_co_u32 v14, vcc_lo, v4, v64
	v_add_co_ci_u32_e64 v15, null, v5, v65, vcc_lo
	v_add_co_u32 v16, vcc_lo, v4, v66
	v_add_co_ci_u32_e64 v17, null, v5, v67, vcc_lo
	s_waitcnt lgkmcnt(0)
	v_readfirstlane_b32 s13, v6
	v_add_co_u32 v18, vcc_lo, v6, v4
	v_add_co_ci_u32_e64 v19, null, v7, v5, vcc_lo
	s_and_b32 s27, s13, 7
	s_bfe_u32 s40, s13, 0x40003
	s_flbit_i32_b32 s28, s27
	s_min_u32 s28, s28, 32
	s_sub_i32 s29, s28, 28
	s_sub_i32 s28, 29, s28
	s_lshl_b32 s29, s13, s29
	s_and_b32 s29, s29, 7
	s_cmp_eq_u32 s40, 0
	s_cselect_b32 s28, s28, s40
	s_cselect_b32 s27, s29, s27
	s_lshl_b32 s29, s13, 24
	s_lshl_b32 s28, s28, 23
	s_and_b32 s29, s29, 0x80000000
	s_add_i32 s28, s28, 0x3b800000
	s_lshl_b32 s40, s27, 20
	s_or_b32 s28, s29, s28
	s_mov_b32 s27, 0
	s_or_b32 s28, s28, s40
	s_and_b32 s29, s13, 0xff
	s_branch .LBB6_7431
.LBB6_7428:                             ;   in Loop: Header=BB6_7431 Depth=2
	s_or_b32 exec_lo, exec_lo, s13
	v_lshrrev_b32_e32 v20, 20, v20
	v_min_i32_e32 v27, 15, v13
	v_cmp_gt_i32_e32 vcc_lo, 16, v13
	v_and_b32_sdwa v8, v8, v102 dst_sel:DWORD dst_unused:UNUSED_PAD src0_sel:BYTE_3 src1_sel:DWORD
	v_lshlrev_b32_e32 v27, 3, v27
	v_cndmask_b32_e32 v20, 7, v20, vcc_lo
	v_and_b32_e32 v27, 0xf8, v27
	v_and_b32_e32 v29, 7, v20
	v_or_b32_e32 v13, v13, v20
	v_or3_b32 v8, v8, v27, v29
	v_cmp_ne_u32_e32 vcc_lo, 0, v13
	v_lshlrev_b32_e32 v8, 8, v8
	v_cndmask_b32_e32 v13, 0, v8, vcc_lo
.LBB6_7429:                             ;   in Loop: Header=BB6_7431 Depth=2
	s_or_b32 exec_lo, exec_lo, s41
.LBB6_7430:                             ;   in Loop: Header=BB6_7431 Depth=2
	s_or_b32 exec_lo, exec_lo, s40
	v_or_b32_sdwa v8, v11, v24 dst_sel:WORD_1 dst_unused:UNUSED_PAD src0_sel:DWORD src1_sel:DWORD
	v_or_b32_sdwa v10, v10, v22 dst_sel:WORD_1 dst_unused:UNUSED_PAD src0_sel:DWORD src1_sel:DWORD
	;; [unrolled: 1-line block ×4, first 2 shown]
	v_sub_nc_u32_e32 v3, v3, v97
	v_or3_b32 v8, v28, v26, v8
	v_or3_b32 v7, v7, v4, v10
	;; [unrolled: 1-line block ×4, first 2 shown]
	v_add_co_u32 v14, vcc_lo, v14, v97
	v_add_co_ci_u32_e64 v15, null, 0, v15, vcc_lo
	v_add_co_u32 v18, vcc_lo, v18, v97
	global_store_dwordx4 v[16:17], v[7:10], off glc slc
	v_add_co_ci_u32_e64 v19, null, 0, v19, vcc_lo
	v_cmp_gt_i32_e32 vcc_lo, 16, v3
	v_add_co_u32 v16, s13, v16, v97
	v_add_co_ci_u32_e64 v17, null, 0, v17, s13
	v_sub_nc_u32_e32 v2, v2, v86
	s_or_b32 s27, vcc_lo, s27
	s_andn2_b32 exec_lo, exec_lo, s27
	s_cbranch_execz .LBB6_8077
.LBB6_7431:                             ;   Parent Loop BB6_4781 Depth=1
                                        ; =>  This Inner Loop Header: Depth=2
	s_cmpk_lt_i32 s29, 0x80
	s_cbranch_scc1 .LBB6_7435
; %bb.7432:                             ;   in Loop: Header=BB6_7431 Depth=2
	s_and_b32 s13, 0xffff, s29
	s_cmpk_eq_i32 s13, 0x80
	s_mov_b32 s13, -1
	s_cbranch_scc0 .LBB6_7434
; %bb.7433:                             ;   in Loop: Header=BB6_7431 Depth=2
	s_mov_b32 s13, 0
.LBB6_7434:                             ;   in Loop: Header=BB6_7431 Depth=2
	s_mov_b32 s40, 0x7f800001
	s_branch .LBB6_7437
.LBB6_7435:                             ;   in Loop: Header=BB6_7431 Depth=2
	s_mov_b32 s13, 0
	s_mov_b32 s40, 0x7f800001
	s_cbranch_execz .LBB6_7437
; %bb.7436:                             ;   in Loop: Header=BB6_7431 Depth=2
	s_and_b32 s13, 0xffff, s29
	s_mov_b32 s40, 0
	s_cmp_lg_u32 s13, 0
	s_cselect_b32 s13, -1, 0
.LBB6_7437:                             ;   in Loop: Header=BB6_7431 Depth=2
	s_andn2_b32 vcc_lo, exec_lo, s13
	s_cbranch_vccnz .LBB6_7439
; %bb.7438:                             ;   in Loop: Header=BB6_7431 Depth=2
	s_mov_b32 s40, s28
.LBB6_7439:                             ;   in Loop: Header=BB6_7431 Depth=2
	global_load_dwordx4 v[10:13], v[14:15], off slc
	s_mov_b32 s13, 0
	s_waitcnt vmcnt(0)
	v_cmp_gt_i16_sdwa s41, v10, v101 src0_sel:BYTE_0 src1_sel:DWORD
	s_and_saveexec_b32 s42, s41
	s_xor_b32 s41, exec_lo, s42
	s_cbranch_execz .LBB6_7981
; %bb.7440:                             ;   in Loop: Header=BB6_7431 Depth=2
	v_cmp_eq_u16_sdwa s43, v10, v102 src0_sel:BYTE_0 src1_sel:DWORD
	s_mov_b32 s13, -1
	s_and_saveexec_b32 s42, s43
; %bb.7441:                             ;   in Loop: Header=BB6_7431 Depth=2
	s_xor_b32 s13, exec_lo, -1
; %bb.7442:                             ;   in Loop: Header=BB6_7431 Depth=2
	s_or_b32 exec_lo, exec_lo, s42
	s_and_b32 s13, s13, exec_lo
	s_or_saveexec_b32 s41, s41
	v_mov_b32_e32 v4, 0x7f800001
	s_xor_b32 exec_lo, exec_lo, s41
	s_cbranch_execnz .LBB6_7982
.LBB6_7443:                             ;   in Loop: Header=BB6_7431 Depth=2
	s_or_b32 exec_lo, exec_lo, s41
	s_and_saveexec_b32 s41, s13
	s_cbranch_execz .LBB6_7445
.LBB6_7444:                             ;   in Loop: Header=BB6_7431 Depth=2
	v_and_b32_e32 v4, 7, v10
	v_bfe_u32 v7, v10, 3, 4
	v_lshlrev_b32_e32 v8, 24, v10
	v_ffbh_u32_e32 v5, v4
	v_cmp_eq_u32_e32 vcc_lo, 0, v7
	v_min_u32_e32 v5, 32, v5
	v_subrev_nc_u32_e32 v6, 28, v5
	v_sub_nc_u32_e32 v5, 29, v5
	v_lshlrev_b32_e32 v6, v6, v10
	v_cndmask_b32_e32 v5, v7, v5, vcc_lo
	v_and_b32_e32 v6, 7, v6
	v_lshl_add_u32 v5, v5, 23, 0x3b800000
	v_cndmask_b32_e32 v4, v4, v6, vcc_lo
	v_and_b32_e32 v6, 0x80000000, v8
	v_lshlrev_b32_e32 v4, 20, v4
	v_or3_b32 v4, v6, v5, v4
.LBB6_7445:                             ;   in Loop: Header=BB6_7431 Depth=2
	s_or_b32 exec_lo, exec_lo, s41
	v_mul_f32_e32 v5, s40, v4
	v_and_b32_e32 v4, 0x7f800000, v5
	v_cmp_ne_u32_e32 vcc_lo, 0x7f800000, v4
	v_mov_b32_e32 v4, 0x80
	s_and_saveexec_b32 s41, vcc_lo
	s_cbranch_execz .LBB6_7453
; %bb.7446:                             ;   in Loop: Header=BB6_7431 Depth=2
	v_mov_b32_e32 v4, 0
	s_mov_b32 s42, exec_lo
	v_cmpx_ne_u32_e32 0, v5
	s_cbranch_execz .LBB6_7452
; %bb.7447:                             ;   in Loop: Header=BB6_7431 Depth=2
	v_bfe_u32 v4, v5, 23, 8
	v_and_b32_e32 v6, 0x7fffff, v5
	v_sub_nc_u32_e32 v7, 0x78, v4
	v_cmp_gt_u32_e32 vcc_lo, 0x79, v4
	v_or_b32_e32 v8, 0x800000, v6
	v_cndmask_b32_e32 v7, 0, v7, vcc_lo
	v_cmp_eq_u32_e32 vcc_lo, 0, v4
	v_add_nc_u32_e32 v4, 0xffffff89, v4
	v_cndmask_b32_e64 v7, v7, 0x77, vcc_lo
	v_cndmask_b32_e32 v6, v8, v6, vcc_lo
	v_cndmask_b32_e64 v4, v4, 0xffffff8a, vcc_lo
	v_lshl_add_u32 v8, 0x100000, v7, -1
	v_lshrrev_b32_e32 v9, v7, v6
	v_lshlrev_b32_e64 v21, v7, 0x80000
	v_add_nc_u32_e32 v7, v7, v4
	v_and_b32_e32 v6, v8, v6
	v_bfe_u32 v20, v9, 20, 1
	v_cmp_eq_u32_e64 s13, v6, v21
	v_add_nc_u32_e32 v8, -1, v20
	v_cndmask_b32_e64 v6, 0, v8, s13
	v_lshrrev_b32_e32 v8, 23, v9
	s_mov_b32 s13, exec_lo
	v_add_nc_u32_e32 v6, v6, v9
	v_xor_b32_e32 v8, 1, v8
	v_and_b32_e32 v4, 0xfffff, v6
	v_add_nc_u32_e32 v6, v4, v9
                                        ; implicit-def: $vgpr4
	v_cmpx_ne_u32_e64 v7, v8
	s_xor_b32 s13, exec_lo, s13
; %bb.7448:                             ;   in Loop: Header=BB6_7431 Depth=2
	v_cmp_lt_u32_e32 vcc_lo, 0xffffff, v6
	v_sub_nc_u32_e32 v4, v7, v8
	v_cndmask_b32_e64 v7, 0, 1, vcc_lo
	v_add_co_ci_u32_e64 v4, null, 0, v4, vcc_lo
	v_lshrrev_b32_e32 v6, v7, v6
; %bb.7449:                             ;   in Loop: Header=BB6_7431 Depth=2
	s_andn2_saveexec_b32 s13, s13
; %bb.7450:                             ;   in Loop: Header=BB6_7431 Depth=2
	v_bfe_u32 v4, v6, 23, 1
; %bb.7451:                             ;   in Loop: Header=BB6_7431 Depth=2
	s_or_b32 exec_lo, exec_lo, s13
	v_lshrrev_b32_e32 v6, 20, v6
	v_min_i32_e32 v7, 15, v4
	v_cmp_gt_i32_e32 vcc_lo, 16, v4
	v_and_b32_sdwa v5, v5, v102 dst_sel:DWORD dst_unused:UNUSED_PAD src0_sel:BYTE_3 src1_sel:DWORD
	v_lshlrev_b32_e32 v7, 3, v7
	v_cndmask_b32_e32 v6, 7, v6, vcc_lo
	v_and_b32_e32 v7, 0xf8, v7
	v_and_b32_e32 v8, 7, v6
	v_or_b32_e32 v4, v4, v6
	v_or3_b32 v5, v7, v5, v8
	v_cmp_ne_u32_e32 vcc_lo, 0, v4
	v_cndmask_b32_e32 v4, 0, v5, vcc_lo
.LBB6_7452:                             ;   in Loop: Header=BB6_7431 Depth=2
	s_or_b32 exec_lo, exec_lo, s42
.LBB6_7453:                             ;   in Loop: Header=BB6_7431 Depth=2
	s_or_b32 exec_lo, exec_lo, s41
	v_cmp_gt_i16_sdwa s41, v10, v101 src0_sel:BYTE_1 src1_sel:DWORD
	s_mov_b32 s13, 0
	s_and_saveexec_b32 s42, s41
	s_xor_b32 s41, exec_lo, s42
	s_cbranch_execz .LBB6_7983
; %bb.7454:                             ;   in Loop: Header=BB6_7431 Depth=2
	v_cmp_eq_u16_sdwa s43, v10, v102 src0_sel:BYTE_1 src1_sel:DWORD
	s_mov_b32 s13, -1
	s_and_saveexec_b32 s42, s43
; %bb.7455:                             ;   in Loop: Header=BB6_7431 Depth=2
	s_xor_b32 s13, exec_lo, -1
; %bb.7456:                             ;   in Loop: Header=BB6_7431 Depth=2
	s_or_b32 exec_lo, exec_lo, s42
	s_and_b32 s13, s13, exec_lo
	s_or_saveexec_b32 s41, s41
	v_mov_b32_e32 v5, 0x7f800001
	s_xor_b32 exec_lo, exec_lo, s41
	s_cbranch_execnz .LBB6_7984
.LBB6_7457:                             ;   in Loop: Header=BB6_7431 Depth=2
	s_or_b32 exec_lo, exec_lo, s41
	s_and_saveexec_b32 s41, s13
	s_cbranch_execz .LBB6_7459
.LBB6_7458:                             ;   in Loop: Header=BB6_7431 Depth=2
	v_and_b32_sdwa v5, v103, v10 dst_sel:DWORD dst_unused:UNUSED_PAD src0_sel:DWORD src1_sel:BYTE_1
	v_and_b32_e32 v6, 7, v5
	v_bfe_u32 v9, v5, 3, 4
	v_ffbh_u32_e32 v7, v6
	v_cmp_eq_u32_e32 vcc_lo, 0, v9
	v_min_u32_e32 v7, 32, v7
	v_subrev_nc_u32_e32 v8, 28, v7
	v_sub_nc_u32_e32 v7, 29, v7
	v_lshlrev_b32_e32 v5, v8, v5
	v_lshlrev_b32_sdwa v8, v112, v10 dst_sel:DWORD dst_unused:UNUSED_PAD src0_sel:DWORD src1_sel:BYTE_1
	v_cndmask_b32_e32 v7, v9, v7, vcc_lo
	v_and_b32_e32 v5, 7, v5
	v_lshl_add_u32 v7, v7, 23, 0x3b800000
	v_cndmask_b32_e32 v5, v6, v5, vcc_lo
	v_and_b32_e32 v6, 0x80000000, v8
	v_lshlrev_b32_e32 v5, 20, v5
	v_or3_b32 v5, v6, v7, v5
.LBB6_7459:                             ;   in Loop: Header=BB6_7431 Depth=2
	s_or_b32 exec_lo, exec_lo, s41
	v_mul_f32_e32 v5, s40, v5
	v_mov_b32_e32 v7, 0x8000
	s_mov_b32 s41, exec_lo
	v_and_b32_e32 v6, 0x7f800000, v5
	v_cmpx_ne_u32_e32 0x7f800000, v6
	s_cbranch_execz .LBB6_7467
; %bb.7460:                             ;   in Loop: Header=BB6_7431 Depth=2
	v_mov_b32_e32 v7, 0
	s_mov_b32 s42, exec_lo
	v_cmpx_ne_u32_e32 0, v5
	s_cbranch_execz .LBB6_7466
; %bb.7461:                             ;   in Loop: Header=BB6_7431 Depth=2
	v_bfe_u32 v6, v5, 23, 8
	v_and_b32_e32 v7, 0x7fffff, v5
	v_sub_nc_u32_e32 v8, 0x78, v6
	v_cmp_gt_u32_e32 vcc_lo, 0x79, v6
	v_or_b32_e32 v9, 0x800000, v7
	v_cndmask_b32_e32 v8, 0, v8, vcc_lo
	v_cmp_eq_u32_e32 vcc_lo, 0, v6
	v_add_nc_u32_e32 v6, 0xffffff89, v6
	v_cndmask_b32_e64 v8, v8, 0x77, vcc_lo
	v_cndmask_b32_e32 v7, v9, v7, vcc_lo
	v_cndmask_b32_e64 v6, v6, 0xffffff8a, vcc_lo
	v_lshl_add_u32 v9, 0x100000, v8, -1
	v_lshrrev_b32_e32 v20, v8, v7
	v_lshlrev_b32_e64 v22, v8, 0x80000
	v_add_nc_u32_e32 v8, v8, v6
	v_and_b32_e32 v7, v9, v7
	v_bfe_u32 v21, v20, 20, 1
	v_cmp_eq_u32_e64 s13, v7, v22
	v_add_nc_u32_e32 v9, -1, v21
	v_cndmask_b32_e64 v7, 0, v9, s13
	v_lshrrev_b32_e32 v9, 23, v20
	s_mov_b32 s13, exec_lo
	v_add_nc_u32_e32 v7, v7, v20
	v_xor_b32_e32 v9, 1, v9
	v_and_b32_e32 v6, 0xfffff, v7
	v_add_nc_u32_e32 v7, v6, v20
                                        ; implicit-def: $vgpr6
	v_cmpx_ne_u32_e64 v8, v9
	s_xor_b32 s13, exec_lo, s13
; %bb.7462:                             ;   in Loop: Header=BB6_7431 Depth=2
	v_cmp_lt_u32_e32 vcc_lo, 0xffffff, v7
	v_sub_nc_u32_e32 v6, v8, v9
	v_cndmask_b32_e64 v8, 0, 1, vcc_lo
	v_add_co_ci_u32_e64 v6, null, 0, v6, vcc_lo
	v_lshrrev_b32_e32 v7, v8, v7
; %bb.7463:                             ;   in Loop: Header=BB6_7431 Depth=2
	s_andn2_saveexec_b32 s13, s13
; %bb.7464:                             ;   in Loop: Header=BB6_7431 Depth=2
	v_bfe_u32 v6, v7, 23, 1
; %bb.7465:                             ;   in Loop: Header=BB6_7431 Depth=2
	s_or_b32 exec_lo, exec_lo, s13
	v_lshrrev_b32_e32 v7, 20, v7
	v_min_i32_e32 v8, 15, v6
	v_cmp_gt_i32_e32 vcc_lo, 16, v6
	v_and_b32_sdwa v5, v5, v102 dst_sel:DWORD dst_unused:UNUSED_PAD src0_sel:BYTE_3 src1_sel:DWORD
	v_lshlrev_b32_e32 v8, 3, v8
	v_cndmask_b32_e32 v7, 7, v7, vcc_lo
	v_and_b32_e32 v8, 0xf8, v8
	v_and_b32_e32 v9, 7, v7
	v_or_b32_e32 v6, v6, v7
	v_or3_b32 v5, v5, v8, v9
	v_cmp_ne_u32_e32 vcc_lo, 0, v6
	v_lshlrev_b32_e32 v5, 8, v5
	v_cndmask_b32_e32 v7, 0, v5, vcc_lo
.LBB6_7466:                             ;   in Loop: Header=BB6_7431 Depth=2
	s_or_b32 exec_lo, exec_lo, s42
.LBB6_7467:                             ;   in Loop: Header=BB6_7431 Depth=2
	s_or_b32 exec_lo, exec_lo, s41
	v_and_b32_sdwa v6, v10, v113 dst_sel:DWORD dst_unused:UNUSED_PAD src0_sel:WORD_1 src1_sel:DWORD
	s_mov_b32 s13, 0
	s_mov_b32 s41, exec_lo
	v_cmpx_lt_i16_e32 0x7f, v6
	s_xor_b32 s41, exec_lo, s41
	s_cbranch_execz .LBB6_7985
; %bb.7468:                             ;   in Loop: Header=BB6_7431 Depth=2
	s_mov_b32 s13, -1
	s_mov_b32 s42, exec_lo
	v_cmpx_eq_u16_e32 0x80, v6
; %bb.7469:                             ;   in Loop: Header=BB6_7431 Depth=2
	s_xor_b32 s13, exec_lo, -1
; %bb.7470:                             ;   in Loop: Header=BB6_7431 Depth=2
	s_or_b32 exec_lo, exec_lo, s42
	s_and_b32 s13, s13, exec_lo
                                        ; implicit-def: $vgpr6
	s_or_saveexec_b32 s41, s41
	v_mov_b32_e32 v5, 0x7f800001
	s_xor_b32 exec_lo, exec_lo, s41
	s_cbranch_execnz .LBB6_7986
.LBB6_7471:                             ;   in Loop: Header=BB6_7431 Depth=2
	s_or_b32 exec_lo, exec_lo, s41
	s_and_saveexec_b32 s41, s13
	s_cbranch_execz .LBB6_7473
.LBB6_7472:                             ;   in Loop: Header=BB6_7431 Depth=2
	v_bfe_u32 v5, v10, 16, 3
	v_bfe_u32 v9, v10, 19, 4
	v_lshlrev_b32_e32 v20, 8, v10
	v_ffbh_u32_e32 v6, v5
	v_cmp_eq_u32_e32 vcc_lo, 0, v9
	v_min_u32_e32 v6, 32, v6
	v_subrev_nc_u32_e32 v8, 28, v6
	v_sub_nc_u32_e32 v6, 29, v6
	v_lshlrev_b32_sdwa v8, v8, v10 dst_sel:DWORD dst_unused:UNUSED_PAD src0_sel:DWORD src1_sel:WORD_1
	v_cndmask_b32_e32 v6, v9, v6, vcc_lo
	v_and_b32_e32 v8, 7, v8
	v_lshl_add_u32 v6, v6, 23, 0x3b800000
	v_cndmask_b32_e32 v5, v5, v8, vcc_lo
	v_and_b32_e32 v8, 0x80000000, v20
	v_lshlrev_b32_e32 v5, 20, v5
	v_or3_b32 v5, v8, v6, v5
.LBB6_7473:                             ;   in Loop: Header=BB6_7431 Depth=2
	s_or_b32 exec_lo, exec_lo, s41
	v_mul_f32_e32 v5, s40, v5
	v_mov_b32_e32 v22, 0x80
	s_mov_b32 s41, exec_lo
	v_and_b32_e32 v6, 0x7f800000, v5
	v_cmpx_ne_u32_e32 0x7f800000, v6
	s_cbranch_execz .LBB6_7481
; %bb.7474:                             ;   in Loop: Header=BB6_7431 Depth=2
	v_mov_b32_e32 v22, 0
	s_mov_b32 s42, exec_lo
	v_cmpx_ne_u32_e32 0, v5
	s_cbranch_execz .LBB6_7480
; %bb.7475:                             ;   in Loop: Header=BB6_7431 Depth=2
	v_bfe_u32 v6, v5, 23, 8
	v_and_b32_e32 v8, 0x7fffff, v5
	v_sub_nc_u32_e32 v9, 0x78, v6
	v_cmp_gt_u32_e32 vcc_lo, 0x79, v6
	v_or_b32_e32 v20, 0x800000, v8
	v_cndmask_b32_e32 v9, 0, v9, vcc_lo
	v_cmp_eq_u32_e32 vcc_lo, 0, v6
	v_add_nc_u32_e32 v6, 0xffffff89, v6
	v_cndmask_b32_e64 v9, v9, 0x77, vcc_lo
	v_cndmask_b32_e32 v8, v20, v8, vcc_lo
	v_cndmask_b32_e64 v6, v6, 0xffffff8a, vcc_lo
	v_lshl_add_u32 v20, 0x100000, v9, -1
	v_lshrrev_b32_e32 v21, v9, v8
	v_lshlrev_b32_e64 v23, v9, 0x80000
	v_add_nc_u32_e32 v9, v9, v6
	v_and_b32_e32 v8, v20, v8
	v_bfe_u32 v22, v21, 20, 1
	v_cmp_eq_u32_e64 s13, v8, v23
	v_add_nc_u32_e32 v20, -1, v22
	v_cndmask_b32_e64 v8, 0, v20, s13
	v_lshrrev_b32_e32 v20, 23, v21
	s_mov_b32 s13, exec_lo
	v_add_nc_u32_e32 v8, v8, v21
	v_xor_b32_e32 v20, 1, v20
	v_and_b32_e32 v6, 0xfffff, v8
	v_add_nc_u32_e32 v8, v6, v21
                                        ; implicit-def: $vgpr6
	v_cmpx_ne_u32_e64 v9, v20
	s_xor_b32 s13, exec_lo, s13
; %bb.7476:                             ;   in Loop: Header=BB6_7431 Depth=2
	v_cmp_lt_u32_e32 vcc_lo, 0xffffff, v8
	v_sub_nc_u32_e32 v6, v9, v20
	v_cndmask_b32_e64 v9, 0, 1, vcc_lo
	v_add_co_ci_u32_e64 v6, null, 0, v6, vcc_lo
	v_lshrrev_b32_e32 v8, v9, v8
; %bb.7477:                             ;   in Loop: Header=BB6_7431 Depth=2
	s_andn2_saveexec_b32 s13, s13
; %bb.7478:                             ;   in Loop: Header=BB6_7431 Depth=2
	v_bfe_u32 v6, v8, 23, 1
; %bb.7479:                             ;   in Loop: Header=BB6_7431 Depth=2
	s_or_b32 exec_lo, exec_lo, s13
	v_lshrrev_b32_e32 v8, 20, v8
	v_min_i32_e32 v9, 15, v6
	v_cmp_gt_i32_e32 vcc_lo, 16, v6
	v_and_b32_sdwa v5, v5, v102 dst_sel:DWORD dst_unused:UNUSED_PAD src0_sel:BYTE_3 src1_sel:DWORD
	v_lshlrev_b32_e32 v9, 3, v9
	v_cndmask_b32_e32 v8, 7, v8, vcc_lo
	v_and_b32_e32 v9, 0xf8, v9
	v_and_b32_e32 v20, 7, v8
	v_or_b32_e32 v6, v6, v8
	v_or3_b32 v5, v9, v5, v20
	v_cmp_ne_u32_e32 vcc_lo, 0, v6
	v_cndmask_b32_e32 v22, 0, v5, vcc_lo
.LBB6_7480:                             ;   in Loop: Header=BB6_7431 Depth=2
	s_or_b32 exec_lo, exec_lo, s42
.LBB6_7481:                             ;   in Loop: Header=BB6_7431 Depth=2
	s_or_b32 exec_lo, exec_lo, s41
	v_cmp_gt_i16_sdwa s41, v10, v101 src0_sel:BYTE_3 src1_sel:DWORD
	s_mov_b32 s13, 0
	s_and_saveexec_b32 s42, s41
	s_xor_b32 s41, exec_lo, s42
	s_cbranch_execz .LBB6_7987
; %bb.7482:                             ;   in Loop: Header=BB6_7431 Depth=2
	v_cmp_eq_u16_sdwa s43, v10, v102 src0_sel:BYTE_3 src1_sel:DWORD
	s_mov_b32 s13, -1
	s_and_saveexec_b32 s42, s43
; %bb.7483:                             ;   in Loop: Header=BB6_7431 Depth=2
	s_xor_b32 s13, exec_lo, -1
; %bb.7484:                             ;   in Loop: Header=BB6_7431 Depth=2
	s_or_b32 exec_lo, exec_lo, s42
	s_and_b32 s13, s13, exec_lo
	s_or_saveexec_b32 s41, s41
	v_mov_b32_e32 v5, 0x7f800001
	s_xor_b32 exec_lo, exec_lo, s41
	s_cbranch_execnz .LBB6_7988
.LBB6_7485:                             ;   in Loop: Header=BB6_7431 Depth=2
	s_or_b32 exec_lo, exec_lo, s41
	s_and_saveexec_b32 s41, s13
	s_cbranch_execz .LBB6_7487
.LBB6_7486:                             ;   in Loop: Header=BB6_7431 Depth=2
	v_bfe_u32 v5, v10, 24, 3
	v_bfe_u32 v9, v10, 27, 4
	v_ffbh_u32_e32 v6, v5
	v_cmp_eq_u32_e32 vcc_lo, 0, v9
	v_min_u32_e32 v6, 32, v6
	v_subrev_nc_u32_e32 v8, 28, v6
	v_sub_nc_u32_e32 v6, 29, v6
	v_lshlrev_b32_sdwa v8, v8, v10 dst_sel:DWORD dst_unused:UNUSED_PAD src0_sel:DWORD src1_sel:BYTE_3
	v_cndmask_b32_e32 v6, v9, v6, vcc_lo
	v_and_b32_e32 v8, 7, v8
	v_lshl_add_u32 v6, v6, 23, 0x3b800000
	v_cndmask_b32_e32 v5, v5, v8, vcc_lo
	v_and_b32_e32 v8, 0x80000000, v10
	v_lshlrev_b32_e32 v5, 20, v5
	v_or3_b32 v5, v8, v6, v5
.LBB6_7487:                             ;   in Loop: Header=BB6_7431 Depth=2
	s_or_b32 exec_lo, exec_lo, s41
	v_mul_f32_e32 v5, s40, v5
	v_mov_b32_e32 v29, 0x8000
	s_mov_b32 s41, exec_lo
	v_and_b32_e32 v6, 0x7f800000, v5
	v_cmpx_ne_u32_e32 0x7f800000, v6
	s_cbranch_execz .LBB6_7495
; %bb.7488:                             ;   in Loop: Header=BB6_7431 Depth=2
	v_mov_b32_e32 v29, 0
	s_mov_b32 s42, exec_lo
	v_cmpx_ne_u32_e32 0, v5
	s_cbranch_execz .LBB6_7494
; %bb.7489:                             ;   in Loop: Header=BB6_7431 Depth=2
	v_bfe_u32 v6, v5, 23, 8
	v_and_b32_e32 v8, 0x7fffff, v5
	v_sub_nc_u32_e32 v9, 0x78, v6
	v_cmp_gt_u32_e32 vcc_lo, 0x79, v6
	v_or_b32_e32 v10, 0x800000, v8
	v_cndmask_b32_e32 v9, 0, v9, vcc_lo
	v_cmp_eq_u32_e32 vcc_lo, 0, v6
	v_add_nc_u32_e32 v6, 0xffffff89, v6
	v_cndmask_b32_e64 v9, v9, 0x77, vcc_lo
	v_cndmask_b32_e32 v8, v10, v8, vcc_lo
	v_cndmask_b32_e64 v6, v6, 0xffffff8a, vcc_lo
	v_lshl_add_u32 v10, 0x100000, v9, -1
	v_lshrrev_b32_e32 v20, v9, v8
	v_lshlrev_b32_e64 v23, v9, 0x80000
	v_add_nc_u32_e32 v9, v9, v6
	v_and_b32_e32 v8, v10, v8
	v_bfe_u32 v21, v20, 20, 1
	v_cmp_eq_u32_e64 s13, v8, v23
	v_add_nc_u32_e32 v10, -1, v21
	v_cndmask_b32_e64 v8, 0, v10, s13
	v_lshrrev_b32_e32 v10, 23, v20
	s_mov_b32 s13, exec_lo
	v_add_nc_u32_e32 v8, v8, v20
	v_xor_b32_e32 v10, 1, v10
	v_and_b32_e32 v6, 0xfffff, v8
	v_add_nc_u32_e32 v8, v6, v20
                                        ; implicit-def: $vgpr6
	v_cmpx_ne_u32_e64 v9, v10
	s_xor_b32 s13, exec_lo, s13
; %bb.7490:                             ;   in Loop: Header=BB6_7431 Depth=2
	v_cmp_lt_u32_e32 vcc_lo, 0xffffff, v8
	v_sub_nc_u32_e32 v6, v9, v10
	v_cndmask_b32_e64 v9, 0, 1, vcc_lo
	v_add_co_ci_u32_e64 v6, null, 0, v6, vcc_lo
	v_lshrrev_b32_e32 v8, v9, v8
; %bb.7491:                             ;   in Loop: Header=BB6_7431 Depth=2
	s_andn2_saveexec_b32 s13, s13
; %bb.7492:                             ;   in Loop: Header=BB6_7431 Depth=2
	v_bfe_u32 v6, v8, 23, 1
; %bb.7493:                             ;   in Loop: Header=BB6_7431 Depth=2
	s_or_b32 exec_lo, exec_lo, s13
	v_lshrrev_b32_e32 v8, 20, v8
	v_min_i32_e32 v9, 15, v6
	v_cmp_gt_i32_e32 vcc_lo, 16, v6
	v_and_b32_sdwa v5, v5, v102 dst_sel:DWORD dst_unused:UNUSED_PAD src0_sel:BYTE_3 src1_sel:DWORD
	v_lshlrev_b32_e32 v9, 3, v9
	v_cndmask_b32_e32 v8, 7, v8, vcc_lo
	v_and_b32_e32 v9, 0xf8, v9
	v_and_b32_e32 v10, 7, v8
	v_or_b32_e32 v6, v6, v8
	v_or3_b32 v5, v5, v9, v10
	v_cmp_ne_u32_e32 vcc_lo, 0, v6
	v_lshlrev_b32_e32 v5, 8, v5
	v_cndmask_b32_e32 v29, 0, v5, vcc_lo
.LBB6_7494:                             ;   in Loop: Header=BB6_7431 Depth=2
	s_or_b32 exec_lo, exec_lo, s42
.LBB6_7495:                             ;   in Loop: Header=BB6_7431 Depth=2
	s_or_b32 exec_lo, exec_lo, s41
	v_cmp_gt_i16_sdwa s41, v11, v101 src0_sel:BYTE_0 src1_sel:DWORD
	s_mov_b32 s13, 0
	s_and_saveexec_b32 s42, s41
	s_xor_b32 s41, exec_lo, s42
	s_cbranch_execz .LBB6_7989
; %bb.7496:                             ;   in Loop: Header=BB6_7431 Depth=2
	v_cmp_eq_u16_sdwa s43, v11, v102 src0_sel:BYTE_0 src1_sel:DWORD
	s_mov_b32 s13, -1
	s_and_saveexec_b32 s42, s43
; %bb.7497:                             ;   in Loop: Header=BB6_7431 Depth=2
	s_xor_b32 s13, exec_lo, -1
; %bb.7498:                             ;   in Loop: Header=BB6_7431 Depth=2
	s_or_b32 exec_lo, exec_lo, s42
	s_and_b32 s13, s13, exec_lo
	s_or_saveexec_b32 s41, s41
	v_mov_b32_e32 v5, 0x7f800001
	s_xor_b32 exec_lo, exec_lo, s41
	s_cbranch_execnz .LBB6_7990
.LBB6_7499:                             ;   in Loop: Header=BB6_7431 Depth=2
	s_or_b32 exec_lo, exec_lo, s41
	s_and_saveexec_b32 s41, s13
	s_cbranch_execz .LBB6_7501
.LBB6_7500:                             ;   in Loop: Header=BB6_7431 Depth=2
	v_and_b32_e32 v5, 7, v11
	v_bfe_u32 v9, v11, 3, 4
	v_lshlrev_b32_e32 v10, 24, v11
	v_ffbh_u32_e32 v6, v5
	v_cmp_eq_u32_e32 vcc_lo, 0, v9
	v_min_u32_e32 v6, 32, v6
	v_subrev_nc_u32_e32 v8, 28, v6
	v_sub_nc_u32_e32 v6, 29, v6
	v_lshlrev_b32_e32 v8, v8, v11
	v_cndmask_b32_e32 v6, v9, v6, vcc_lo
	v_and_b32_e32 v8, 7, v8
	v_lshl_add_u32 v6, v6, 23, 0x3b800000
	v_cndmask_b32_e32 v5, v5, v8, vcc_lo
	v_and_b32_e32 v8, 0x80000000, v10
	v_lshlrev_b32_e32 v5, 20, v5
	v_or3_b32 v5, v8, v6, v5
.LBB6_7501:                             ;   in Loop: Header=BB6_7431 Depth=2
	s_or_b32 exec_lo, exec_lo, s41
	v_mul_f32_e32 v5, s40, v5
	v_mov_b32_e32 v26, 0x80
	s_mov_b32 s41, exec_lo
	v_and_b32_e32 v6, 0x7f800000, v5
	v_cmpx_ne_u32_e32 0x7f800000, v6
	s_cbranch_execz .LBB6_7509
; %bb.7502:                             ;   in Loop: Header=BB6_7431 Depth=2
	v_mov_b32_e32 v26, 0
	s_mov_b32 s42, exec_lo
	v_cmpx_ne_u32_e32 0, v5
	s_cbranch_execz .LBB6_7508
; %bb.7503:                             ;   in Loop: Header=BB6_7431 Depth=2
	v_bfe_u32 v6, v5, 23, 8
	v_and_b32_e32 v8, 0x7fffff, v5
	v_sub_nc_u32_e32 v9, 0x78, v6
	v_cmp_gt_u32_e32 vcc_lo, 0x79, v6
	v_or_b32_e32 v10, 0x800000, v8
	v_cndmask_b32_e32 v9, 0, v9, vcc_lo
	v_cmp_eq_u32_e32 vcc_lo, 0, v6
	v_add_nc_u32_e32 v6, 0xffffff89, v6
	v_cndmask_b32_e64 v9, v9, 0x77, vcc_lo
	v_cndmask_b32_e32 v8, v10, v8, vcc_lo
	v_cndmask_b32_e64 v6, v6, 0xffffff8a, vcc_lo
	v_lshl_add_u32 v10, 0x100000, v9, -1
	v_lshrrev_b32_e32 v20, v9, v8
	v_lshlrev_b32_e64 v23, v9, 0x80000
	v_add_nc_u32_e32 v9, v9, v6
	v_and_b32_e32 v8, v10, v8
	v_bfe_u32 v21, v20, 20, 1
	v_cmp_eq_u32_e64 s13, v8, v23
	v_add_nc_u32_e32 v10, -1, v21
	v_cndmask_b32_e64 v8, 0, v10, s13
	v_lshrrev_b32_e32 v10, 23, v20
	s_mov_b32 s13, exec_lo
	v_add_nc_u32_e32 v8, v8, v20
	v_xor_b32_e32 v10, 1, v10
	v_and_b32_e32 v6, 0xfffff, v8
	v_add_nc_u32_e32 v8, v6, v20
                                        ; implicit-def: $vgpr6
	v_cmpx_ne_u32_e64 v9, v10
	s_xor_b32 s13, exec_lo, s13
; %bb.7504:                             ;   in Loop: Header=BB6_7431 Depth=2
	v_cmp_lt_u32_e32 vcc_lo, 0xffffff, v8
	v_sub_nc_u32_e32 v6, v9, v10
	v_cndmask_b32_e64 v9, 0, 1, vcc_lo
	v_add_co_ci_u32_e64 v6, null, 0, v6, vcc_lo
	v_lshrrev_b32_e32 v8, v9, v8
; %bb.7505:                             ;   in Loop: Header=BB6_7431 Depth=2
	s_andn2_saveexec_b32 s13, s13
; %bb.7506:                             ;   in Loop: Header=BB6_7431 Depth=2
	v_bfe_u32 v6, v8, 23, 1
; %bb.7507:                             ;   in Loop: Header=BB6_7431 Depth=2
	s_or_b32 exec_lo, exec_lo, s13
	v_lshrrev_b32_e32 v8, 20, v8
	v_min_i32_e32 v9, 15, v6
	v_cmp_gt_i32_e32 vcc_lo, 16, v6
	v_and_b32_sdwa v5, v5, v102 dst_sel:DWORD dst_unused:UNUSED_PAD src0_sel:BYTE_3 src1_sel:DWORD
	v_lshlrev_b32_e32 v9, 3, v9
	v_cndmask_b32_e32 v8, 7, v8, vcc_lo
	v_and_b32_e32 v9, 0xf8, v9
	v_and_b32_e32 v10, 7, v8
	v_or_b32_e32 v6, v6, v8
	v_or3_b32 v5, v9, v5, v10
	v_cmp_ne_u32_e32 vcc_lo, 0, v6
	v_cndmask_b32_e32 v26, 0, v5, vcc_lo
.LBB6_7508:                             ;   in Loop: Header=BB6_7431 Depth=2
	s_or_b32 exec_lo, exec_lo, s42
.LBB6_7509:                             ;   in Loop: Header=BB6_7431 Depth=2
	s_or_b32 exec_lo, exec_lo, s41
	v_cmp_gt_i16_sdwa s41, v11, v101 src0_sel:BYTE_1 src1_sel:DWORD
	s_mov_b32 s13, 0
	s_and_saveexec_b32 s42, s41
	s_xor_b32 s41, exec_lo, s42
	s_cbranch_execz .LBB6_7991
; %bb.7510:                             ;   in Loop: Header=BB6_7431 Depth=2
	v_cmp_eq_u16_sdwa s43, v11, v102 src0_sel:BYTE_1 src1_sel:DWORD
	s_mov_b32 s13, -1
	s_and_saveexec_b32 s42, s43
; %bb.7511:                             ;   in Loop: Header=BB6_7431 Depth=2
	s_xor_b32 s13, exec_lo, -1
; %bb.7512:                             ;   in Loop: Header=BB6_7431 Depth=2
	s_or_b32 exec_lo, exec_lo, s42
	s_and_b32 s13, s13, exec_lo
	s_or_saveexec_b32 s41, s41
	v_mov_b32_e32 v5, 0x7f800001
	s_xor_b32 exec_lo, exec_lo, s41
	s_cbranch_execnz .LBB6_7992
.LBB6_7513:                             ;   in Loop: Header=BB6_7431 Depth=2
	s_or_b32 exec_lo, exec_lo, s41
	s_and_saveexec_b32 s41, s13
	s_cbranch_execz .LBB6_7515
.LBB6_7514:                             ;   in Loop: Header=BB6_7431 Depth=2
	v_and_b32_sdwa v5, v103, v11 dst_sel:DWORD dst_unused:UNUSED_PAD src0_sel:DWORD src1_sel:BYTE_1
	v_and_b32_e32 v6, 7, v5
	v_bfe_u32 v10, v5, 3, 4
	v_ffbh_u32_e32 v8, v6
	v_cmp_eq_u32_e32 vcc_lo, 0, v10
	v_min_u32_e32 v8, 32, v8
	v_subrev_nc_u32_e32 v9, 28, v8
	v_sub_nc_u32_e32 v8, 29, v8
	v_lshlrev_b32_e32 v5, v9, v5
	v_lshlrev_b32_sdwa v9, v112, v11 dst_sel:DWORD dst_unused:UNUSED_PAD src0_sel:DWORD src1_sel:BYTE_1
	v_cndmask_b32_e32 v8, v10, v8, vcc_lo
	v_and_b32_e32 v5, 7, v5
	v_lshl_add_u32 v8, v8, 23, 0x3b800000
	v_cndmask_b32_e32 v5, v6, v5, vcc_lo
	v_and_b32_e32 v6, 0x80000000, v9
	v_lshlrev_b32_e32 v5, 20, v5
	v_or3_b32 v5, v6, v8, v5
.LBB6_7515:                             ;   in Loop: Header=BB6_7431 Depth=2
	s_or_b32 exec_lo, exec_lo, s41
	v_mul_f32_e32 v5, s40, v5
	v_mov_b32_e32 v28, 0x8000
	s_mov_b32 s41, exec_lo
	v_and_b32_e32 v6, 0x7f800000, v5
	v_cmpx_ne_u32_e32 0x7f800000, v6
	s_cbranch_execz .LBB6_7523
; %bb.7516:                             ;   in Loop: Header=BB6_7431 Depth=2
	v_mov_b32_e32 v28, 0
	s_mov_b32 s42, exec_lo
	v_cmpx_ne_u32_e32 0, v5
	s_cbranch_execz .LBB6_7522
; %bb.7517:                             ;   in Loop: Header=BB6_7431 Depth=2
	v_bfe_u32 v6, v5, 23, 8
	v_and_b32_e32 v8, 0x7fffff, v5
	v_sub_nc_u32_e32 v9, 0x78, v6
	v_cmp_gt_u32_e32 vcc_lo, 0x79, v6
	v_or_b32_e32 v10, 0x800000, v8
	v_cndmask_b32_e32 v9, 0, v9, vcc_lo
	v_cmp_eq_u32_e32 vcc_lo, 0, v6
	v_add_nc_u32_e32 v6, 0xffffff89, v6
	v_cndmask_b32_e64 v9, v9, 0x77, vcc_lo
	v_cndmask_b32_e32 v8, v10, v8, vcc_lo
	v_cndmask_b32_e64 v6, v6, 0xffffff8a, vcc_lo
	v_lshl_add_u32 v10, 0x100000, v9, -1
	v_lshrrev_b32_e32 v20, v9, v8
	v_lshlrev_b32_e64 v23, v9, 0x80000
	v_add_nc_u32_e32 v9, v9, v6
	v_and_b32_e32 v8, v10, v8
	v_bfe_u32 v21, v20, 20, 1
	v_cmp_eq_u32_e64 s13, v8, v23
	v_add_nc_u32_e32 v10, -1, v21
	v_cndmask_b32_e64 v8, 0, v10, s13
	v_lshrrev_b32_e32 v10, 23, v20
	s_mov_b32 s13, exec_lo
	v_add_nc_u32_e32 v8, v8, v20
	v_xor_b32_e32 v10, 1, v10
	v_and_b32_e32 v6, 0xfffff, v8
	v_add_nc_u32_e32 v8, v6, v20
                                        ; implicit-def: $vgpr6
	v_cmpx_ne_u32_e64 v9, v10
	s_xor_b32 s13, exec_lo, s13
; %bb.7518:                             ;   in Loop: Header=BB6_7431 Depth=2
	v_cmp_lt_u32_e32 vcc_lo, 0xffffff, v8
	v_sub_nc_u32_e32 v6, v9, v10
	v_cndmask_b32_e64 v9, 0, 1, vcc_lo
	v_add_co_ci_u32_e64 v6, null, 0, v6, vcc_lo
	v_lshrrev_b32_e32 v8, v9, v8
; %bb.7519:                             ;   in Loop: Header=BB6_7431 Depth=2
	s_andn2_saveexec_b32 s13, s13
; %bb.7520:                             ;   in Loop: Header=BB6_7431 Depth=2
	v_bfe_u32 v6, v8, 23, 1
; %bb.7521:                             ;   in Loop: Header=BB6_7431 Depth=2
	s_or_b32 exec_lo, exec_lo, s13
	v_lshrrev_b32_e32 v8, 20, v8
	v_min_i32_e32 v9, 15, v6
	v_cmp_gt_i32_e32 vcc_lo, 16, v6
	v_and_b32_sdwa v5, v5, v102 dst_sel:DWORD dst_unused:UNUSED_PAD src0_sel:BYTE_3 src1_sel:DWORD
	v_lshlrev_b32_e32 v9, 3, v9
	v_cndmask_b32_e32 v8, 7, v8, vcc_lo
	v_and_b32_e32 v9, 0xf8, v9
	v_and_b32_e32 v10, 7, v8
	v_or_b32_e32 v6, v6, v8
	v_or3_b32 v5, v5, v9, v10
	v_cmp_ne_u32_e32 vcc_lo, 0, v6
	v_lshlrev_b32_e32 v5, 8, v5
	v_cndmask_b32_e32 v28, 0, v5, vcc_lo
.LBB6_7522:                             ;   in Loop: Header=BB6_7431 Depth=2
	s_or_b32 exec_lo, exec_lo, s42
.LBB6_7523:                             ;   in Loop: Header=BB6_7431 Depth=2
	s_or_b32 exec_lo, exec_lo, s41
	v_and_b32_sdwa v6, v11, v113 dst_sel:DWORD dst_unused:UNUSED_PAD src0_sel:WORD_1 src1_sel:DWORD
	s_mov_b32 s13, 0
	s_mov_b32 s41, exec_lo
	v_cmpx_lt_i16_e32 0x7f, v6
	s_xor_b32 s41, exec_lo, s41
	s_cbranch_execz .LBB6_7993
; %bb.7524:                             ;   in Loop: Header=BB6_7431 Depth=2
	s_mov_b32 s13, -1
	s_mov_b32 s42, exec_lo
	v_cmpx_eq_u16_e32 0x80, v6
; %bb.7525:                             ;   in Loop: Header=BB6_7431 Depth=2
	s_xor_b32 s13, exec_lo, -1
; %bb.7526:                             ;   in Loop: Header=BB6_7431 Depth=2
	s_or_b32 exec_lo, exec_lo, s42
	s_and_b32 s13, s13, exec_lo
                                        ; implicit-def: $vgpr6
	s_or_saveexec_b32 s41, s41
	v_mov_b32_e32 v5, 0x7f800001
	s_xor_b32 exec_lo, exec_lo, s41
	s_cbranch_execnz .LBB6_7994
.LBB6_7527:                             ;   in Loop: Header=BB6_7431 Depth=2
	s_or_b32 exec_lo, exec_lo, s41
	s_and_saveexec_b32 s41, s13
	s_cbranch_execz .LBB6_7529
.LBB6_7528:                             ;   in Loop: Header=BB6_7431 Depth=2
	v_bfe_u32 v5, v11, 16, 3
	v_bfe_u32 v9, v11, 19, 4
	v_lshlrev_b32_e32 v10, 8, v11
	v_ffbh_u32_e32 v6, v5
	v_cmp_eq_u32_e32 vcc_lo, 0, v9
	v_min_u32_e32 v6, 32, v6
	v_subrev_nc_u32_e32 v8, 28, v6
	v_sub_nc_u32_e32 v6, 29, v6
	v_lshlrev_b32_sdwa v8, v8, v11 dst_sel:DWORD dst_unused:UNUSED_PAD src0_sel:DWORD src1_sel:WORD_1
	v_cndmask_b32_e32 v6, v9, v6, vcc_lo
	v_and_b32_e32 v8, 7, v8
	v_lshl_add_u32 v6, v6, 23, 0x3b800000
	v_cndmask_b32_e32 v5, v5, v8, vcc_lo
	v_and_b32_e32 v8, 0x80000000, v10
	v_lshlrev_b32_e32 v5, 20, v5
	v_or3_b32 v5, v8, v6, v5
.LBB6_7529:                             ;   in Loop: Header=BB6_7431 Depth=2
	s_or_b32 exec_lo, exec_lo, s41
	v_mul_f32_e32 v5, s40, v5
	v_mov_b32_e32 v24, 0x80
	s_mov_b32 s41, exec_lo
	v_and_b32_e32 v6, 0x7f800000, v5
	v_cmpx_ne_u32_e32 0x7f800000, v6
	s_cbranch_execz .LBB6_7537
; %bb.7530:                             ;   in Loop: Header=BB6_7431 Depth=2
	v_mov_b32_e32 v24, 0
	s_mov_b32 s42, exec_lo
	v_cmpx_ne_u32_e32 0, v5
	s_cbranch_execz .LBB6_7536
; %bb.7531:                             ;   in Loop: Header=BB6_7431 Depth=2
	v_bfe_u32 v6, v5, 23, 8
	v_and_b32_e32 v8, 0x7fffff, v5
	v_sub_nc_u32_e32 v9, 0x78, v6
	v_cmp_gt_u32_e32 vcc_lo, 0x79, v6
	v_or_b32_e32 v10, 0x800000, v8
	v_cndmask_b32_e32 v9, 0, v9, vcc_lo
	v_cmp_eq_u32_e32 vcc_lo, 0, v6
	v_add_nc_u32_e32 v6, 0xffffff89, v6
	v_cndmask_b32_e64 v9, v9, 0x77, vcc_lo
	v_cndmask_b32_e32 v8, v10, v8, vcc_lo
	v_cndmask_b32_e64 v6, v6, 0xffffff8a, vcc_lo
	v_lshl_add_u32 v10, 0x100000, v9, -1
	v_lshrrev_b32_e32 v20, v9, v8
	v_lshlrev_b32_e64 v23, v9, 0x80000
	v_add_nc_u32_e32 v9, v9, v6
	v_and_b32_e32 v8, v10, v8
	v_bfe_u32 v21, v20, 20, 1
	v_cmp_eq_u32_e64 s13, v8, v23
	v_add_nc_u32_e32 v10, -1, v21
	v_cndmask_b32_e64 v8, 0, v10, s13
	v_lshrrev_b32_e32 v10, 23, v20
	s_mov_b32 s13, exec_lo
	v_add_nc_u32_e32 v8, v8, v20
	v_xor_b32_e32 v10, 1, v10
	v_and_b32_e32 v6, 0xfffff, v8
	v_add_nc_u32_e32 v8, v6, v20
                                        ; implicit-def: $vgpr6
	v_cmpx_ne_u32_e64 v9, v10
	s_xor_b32 s13, exec_lo, s13
; %bb.7532:                             ;   in Loop: Header=BB6_7431 Depth=2
	v_cmp_lt_u32_e32 vcc_lo, 0xffffff, v8
	v_sub_nc_u32_e32 v6, v9, v10
	v_cndmask_b32_e64 v9, 0, 1, vcc_lo
	v_add_co_ci_u32_e64 v6, null, 0, v6, vcc_lo
	v_lshrrev_b32_e32 v8, v9, v8
; %bb.7533:                             ;   in Loop: Header=BB6_7431 Depth=2
	s_andn2_saveexec_b32 s13, s13
; %bb.7534:                             ;   in Loop: Header=BB6_7431 Depth=2
	v_bfe_u32 v6, v8, 23, 1
; %bb.7535:                             ;   in Loop: Header=BB6_7431 Depth=2
	s_or_b32 exec_lo, exec_lo, s13
	v_lshrrev_b32_e32 v8, 20, v8
	v_min_i32_e32 v9, 15, v6
	v_cmp_gt_i32_e32 vcc_lo, 16, v6
	v_and_b32_sdwa v5, v5, v102 dst_sel:DWORD dst_unused:UNUSED_PAD src0_sel:BYTE_3 src1_sel:DWORD
	v_lshlrev_b32_e32 v9, 3, v9
	v_cndmask_b32_e32 v8, 7, v8, vcc_lo
	v_and_b32_e32 v9, 0xf8, v9
	v_and_b32_e32 v10, 7, v8
	v_or_b32_e32 v6, v6, v8
	v_or3_b32 v5, v9, v5, v10
	v_cmp_ne_u32_e32 vcc_lo, 0, v6
	v_cndmask_b32_e32 v24, 0, v5, vcc_lo
.LBB6_7536:                             ;   in Loop: Header=BB6_7431 Depth=2
	s_or_b32 exec_lo, exec_lo, s42
.LBB6_7537:                             ;   in Loop: Header=BB6_7431 Depth=2
	s_or_b32 exec_lo, exec_lo, s41
	v_cmp_gt_i16_sdwa s41, v11, v101 src0_sel:BYTE_3 src1_sel:DWORD
	s_mov_b32 s13, 0
	s_and_saveexec_b32 s42, s41
	s_xor_b32 s41, exec_lo, s42
	s_cbranch_execz .LBB6_7995
; %bb.7538:                             ;   in Loop: Header=BB6_7431 Depth=2
	v_cmp_eq_u16_sdwa s43, v11, v102 src0_sel:BYTE_3 src1_sel:DWORD
	s_mov_b32 s13, -1
	s_and_saveexec_b32 s42, s43
; %bb.7539:                             ;   in Loop: Header=BB6_7431 Depth=2
	s_xor_b32 s13, exec_lo, -1
; %bb.7540:                             ;   in Loop: Header=BB6_7431 Depth=2
	s_or_b32 exec_lo, exec_lo, s42
	s_and_b32 s13, s13, exec_lo
	s_or_saveexec_b32 s41, s41
	v_mov_b32_e32 v5, 0x7f800001
	s_xor_b32 exec_lo, exec_lo, s41
	s_cbranch_execnz .LBB6_7996
.LBB6_7541:                             ;   in Loop: Header=BB6_7431 Depth=2
	s_or_b32 exec_lo, exec_lo, s41
	s_and_saveexec_b32 s41, s13
	s_cbranch_execz .LBB6_7543
.LBB6_7542:                             ;   in Loop: Header=BB6_7431 Depth=2
	v_bfe_u32 v5, v11, 24, 3
	v_bfe_u32 v9, v11, 27, 4
	v_ffbh_u32_e32 v6, v5
	v_cmp_eq_u32_e32 vcc_lo, 0, v9
	v_min_u32_e32 v6, 32, v6
	v_subrev_nc_u32_e32 v8, 28, v6
	v_sub_nc_u32_e32 v6, 29, v6
	v_lshlrev_b32_sdwa v8, v8, v11 dst_sel:DWORD dst_unused:UNUSED_PAD src0_sel:DWORD src1_sel:BYTE_3
	v_cndmask_b32_e32 v6, v9, v6, vcc_lo
	v_and_b32_e32 v8, 7, v8
	v_lshl_add_u32 v6, v6, 23, 0x3b800000
	v_cndmask_b32_e32 v5, v5, v8, vcc_lo
	v_and_b32_e32 v8, 0x80000000, v11
	v_lshlrev_b32_e32 v5, 20, v5
	v_or3_b32 v5, v8, v6, v5
.LBB6_7543:                             ;   in Loop: Header=BB6_7431 Depth=2
	s_or_b32 exec_lo, exec_lo, s41
	v_mul_f32_e32 v5, s40, v5
	v_mov_b32_e32 v27, 0x8000
	s_mov_b32 s41, exec_lo
	v_and_b32_e32 v6, 0x7f800000, v5
	v_cmpx_ne_u32_e32 0x7f800000, v6
	s_cbranch_execz .LBB6_7551
; %bb.7544:                             ;   in Loop: Header=BB6_7431 Depth=2
	v_mov_b32_e32 v27, 0
	s_mov_b32 s42, exec_lo
	v_cmpx_ne_u32_e32 0, v5
	s_cbranch_execz .LBB6_7550
; %bb.7545:                             ;   in Loop: Header=BB6_7431 Depth=2
	v_bfe_u32 v6, v5, 23, 8
	v_and_b32_e32 v8, 0x7fffff, v5
	v_sub_nc_u32_e32 v9, 0x78, v6
	v_cmp_gt_u32_e32 vcc_lo, 0x79, v6
	v_or_b32_e32 v10, 0x800000, v8
	v_cndmask_b32_e32 v9, 0, v9, vcc_lo
	v_cmp_eq_u32_e32 vcc_lo, 0, v6
	v_add_nc_u32_e32 v6, 0xffffff89, v6
	v_cndmask_b32_e64 v9, v9, 0x77, vcc_lo
	v_cndmask_b32_e32 v8, v10, v8, vcc_lo
	v_cndmask_b32_e64 v6, v6, 0xffffff8a, vcc_lo
	v_lshl_add_u32 v10, 0x100000, v9, -1
	v_lshrrev_b32_e32 v11, v9, v8
	v_lshlrev_b32_e64 v21, v9, 0x80000
	v_add_nc_u32_e32 v9, v9, v6
	v_and_b32_e32 v8, v10, v8
	v_bfe_u32 v20, v11, 20, 1
	v_cmp_eq_u32_e64 s13, v8, v21
	v_add_nc_u32_e32 v10, -1, v20
	v_cndmask_b32_e64 v8, 0, v10, s13
	v_lshrrev_b32_e32 v10, 23, v11
	s_mov_b32 s13, exec_lo
	v_add_nc_u32_e32 v8, v8, v11
	v_xor_b32_e32 v10, 1, v10
	v_and_b32_e32 v6, 0xfffff, v8
	v_add_nc_u32_e32 v8, v6, v11
                                        ; implicit-def: $vgpr6
	v_cmpx_ne_u32_e64 v9, v10
	s_xor_b32 s13, exec_lo, s13
; %bb.7546:                             ;   in Loop: Header=BB6_7431 Depth=2
	v_cmp_lt_u32_e32 vcc_lo, 0xffffff, v8
	v_sub_nc_u32_e32 v6, v9, v10
	v_cndmask_b32_e64 v9, 0, 1, vcc_lo
	v_add_co_ci_u32_e64 v6, null, 0, v6, vcc_lo
	v_lshrrev_b32_e32 v8, v9, v8
; %bb.7547:                             ;   in Loop: Header=BB6_7431 Depth=2
	s_andn2_saveexec_b32 s13, s13
; %bb.7548:                             ;   in Loop: Header=BB6_7431 Depth=2
	v_bfe_u32 v6, v8, 23, 1
; %bb.7549:                             ;   in Loop: Header=BB6_7431 Depth=2
	s_or_b32 exec_lo, exec_lo, s13
	v_lshrrev_b32_e32 v8, 20, v8
	v_min_i32_e32 v9, 15, v6
	v_cmp_gt_i32_e32 vcc_lo, 16, v6
	v_and_b32_sdwa v5, v5, v102 dst_sel:DWORD dst_unused:UNUSED_PAD src0_sel:BYTE_3 src1_sel:DWORD
	v_lshlrev_b32_e32 v9, 3, v9
	v_cndmask_b32_e32 v8, 7, v8, vcc_lo
	v_and_b32_e32 v9, 0xf8, v9
	v_and_b32_e32 v10, 7, v8
	v_or_b32_e32 v6, v6, v8
	v_or3_b32 v5, v5, v9, v10
	v_cmp_ne_u32_e32 vcc_lo, 0, v6
	v_lshlrev_b32_e32 v5, 8, v5
	v_cndmask_b32_e32 v27, 0, v5, vcc_lo
.LBB6_7550:                             ;   in Loop: Header=BB6_7431 Depth=2
	s_or_b32 exec_lo, exec_lo, s42
.LBB6_7551:                             ;   in Loop: Header=BB6_7431 Depth=2
	s_or_b32 exec_lo, exec_lo, s41
	v_cmp_gt_i16_sdwa s41, v12, v101 src0_sel:BYTE_0 src1_sel:DWORD
	s_mov_b32 s13, 0
	s_and_saveexec_b32 s42, s41
	s_xor_b32 s41, exec_lo, s42
	s_cbranch_execz .LBB6_7997
; %bb.7552:                             ;   in Loop: Header=BB6_7431 Depth=2
	v_cmp_eq_u16_sdwa s43, v12, v102 src0_sel:BYTE_0 src1_sel:DWORD
	s_mov_b32 s13, -1
	s_and_saveexec_b32 s42, s43
; %bb.7553:                             ;   in Loop: Header=BB6_7431 Depth=2
	s_xor_b32 s13, exec_lo, -1
; %bb.7554:                             ;   in Loop: Header=BB6_7431 Depth=2
	s_or_b32 exec_lo, exec_lo, s42
	s_and_b32 s13, s13, exec_lo
	s_or_saveexec_b32 s41, s41
	v_mov_b32_e32 v5, 0x7f800001
	s_xor_b32 exec_lo, exec_lo, s41
	s_cbranch_execnz .LBB6_7998
.LBB6_7555:                             ;   in Loop: Header=BB6_7431 Depth=2
	s_or_b32 exec_lo, exec_lo, s41
	s_and_saveexec_b32 s41, s13
	s_cbranch_execz .LBB6_7557
.LBB6_7556:                             ;   in Loop: Header=BB6_7431 Depth=2
	v_and_b32_e32 v5, 7, v12
	v_bfe_u32 v9, v12, 3, 4
	v_lshlrev_b32_e32 v10, 24, v12
	v_ffbh_u32_e32 v6, v5
	v_cmp_eq_u32_e32 vcc_lo, 0, v9
	v_min_u32_e32 v6, 32, v6
	v_subrev_nc_u32_e32 v8, 28, v6
	v_sub_nc_u32_e32 v6, 29, v6
	v_lshlrev_b32_e32 v8, v8, v12
	v_cndmask_b32_e32 v6, v9, v6, vcc_lo
	v_and_b32_e32 v8, 7, v8
	v_lshl_add_u32 v6, v6, 23, 0x3b800000
	v_cndmask_b32_e32 v5, v5, v8, vcc_lo
	v_and_b32_e32 v8, 0x80000000, v10
	v_lshlrev_b32_e32 v5, 20, v5
	v_or3_b32 v5, v8, v6, v5
.LBB6_7557:                             ;   in Loop: Header=BB6_7431 Depth=2
	s_or_b32 exec_lo, exec_lo, s41
	v_mul_f32_e32 v5, s40, v5
	v_mov_b32_e32 v21, 0x80
	s_mov_b32 s41, exec_lo
	v_and_b32_e32 v6, 0x7f800000, v5
	v_cmpx_ne_u32_e32 0x7f800000, v6
	s_cbranch_execz .LBB6_7565
; %bb.7558:                             ;   in Loop: Header=BB6_7431 Depth=2
	v_mov_b32_e32 v21, 0
	s_mov_b32 s42, exec_lo
	v_cmpx_ne_u32_e32 0, v5
	s_cbranch_execz .LBB6_7564
; %bb.7559:                             ;   in Loop: Header=BB6_7431 Depth=2
	v_bfe_u32 v6, v5, 23, 8
	v_and_b32_e32 v8, 0x7fffff, v5
	v_sub_nc_u32_e32 v9, 0x78, v6
	v_cmp_gt_u32_e32 vcc_lo, 0x79, v6
	v_or_b32_e32 v10, 0x800000, v8
	v_cndmask_b32_e32 v9, 0, v9, vcc_lo
	v_cmp_eq_u32_e32 vcc_lo, 0, v6
	v_add_nc_u32_e32 v6, 0xffffff89, v6
	v_cndmask_b32_e64 v9, v9, 0x77, vcc_lo
	v_cndmask_b32_e32 v8, v10, v8, vcc_lo
	v_cndmask_b32_e64 v6, v6, 0xffffff8a, vcc_lo
	v_lshl_add_u32 v10, 0x100000, v9, -1
	v_lshrrev_b32_e32 v11, v9, v8
	v_lshlrev_b32_e64 v21, v9, 0x80000
	v_add_nc_u32_e32 v9, v9, v6
	v_and_b32_e32 v8, v10, v8
	v_bfe_u32 v20, v11, 20, 1
	v_cmp_eq_u32_e64 s13, v8, v21
	v_add_nc_u32_e32 v10, -1, v20
	v_cndmask_b32_e64 v8, 0, v10, s13
	v_lshrrev_b32_e32 v10, 23, v11
	s_mov_b32 s13, exec_lo
	v_add_nc_u32_e32 v8, v8, v11
	v_xor_b32_e32 v10, 1, v10
	v_and_b32_e32 v6, 0xfffff, v8
	v_add_nc_u32_e32 v8, v6, v11
                                        ; implicit-def: $vgpr6
	v_cmpx_ne_u32_e64 v9, v10
	s_xor_b32 s13, exec_lo, s13
; %bb.7560:                             ;   in Loop: Header=BB6_7431 Depth=2
	v_cmp_lt_u32_e32 vcc_lo, 0xffffff, v8
	v_sub_nc_u32_e32 v6, v9, v10
	v_cndmask_b32_e64 v9, 0, 1, vcc_lo
	v_add_co_ci_u32_e64 v6, null, 0, v6, vcc_lo
	v_lshrrev_b32_e32 v8, v9, v8
; %bb.7561:                             ;   in Loop: Header=BB6_7431 Depth=2
	s_andn2_saveexec_b32 s13, s13
; %bb.7562:                             ;   in Loop: Header=BB6_7431 Depth=2
	v_bfe_u32 v6, v8, 23, 1
; %bb.7563:                             ;   in Loop: Header=BB6_7431 Depth=2
	s_or_b32 exec_lo, exec_lo, s13
	v_lshrrev_b32_e32 v8, 20, v8
	v_min_i32_e32 v9, 15, v6
	v_cmp_gt_i32_e32 vcc_lo, 16, v6
	v_and_b32_sdwa v5, v5, v102 dst_sel:DWORD dst_unused:UNUSED_PAD src0_sel:BYTE_3 src1_sel:DWORD
	v_lshlrev_b32_e32 v9, 3, v9
	v_cndmask_b32_e32 v8, 7, v8, vcc_lo
	v_and_b32_e32 v9, 0xf8, v9
	v_and_b32_e32 v10, 7, v8
	v_or_b32_e32 v6, v6, v8
	v_or3_b32 v5, v9, v5, v10
	v_cmp_ne_u32_e32 vcc_lo, 0, v6
	v_cndmask_b32_e32 v21, 0, v5, vcc_lo
.LBB6_7564:                             ;   in Loop: Header=BB6_7431 Depth=2
	s_or_b32 exec_lo, exec_lo, s42
.LBB6_7565:                             ;   in Loop: Header=BB6_7431 Depth=2
	s_or_b32 exec_lo, exec_lo, s41
	v_cmp_gt_i16_sdwa s41, v12, v101 src0_sel:BYTE_1 src1_sel:DWORD
	s_mov_b32 s13, 0
	s_and_saveexec_b32 s42, s41
	s_xor_b32 s41, exec_lo, s42
	s_cbranch_execz .LBB6_7999
; %bb.7566:                             ;   in Loop: Header=BB6_7431 Depth=2
	v_cmp_eq_u16_sdwa s43, v12, v102 src0_sel:BYTE_1 src1_sel:DWORD
	s_mov_b32 s13, -1
	s_and_saveexec_b32 s42, s43
; %bb.7567:                             ;   in Loop: Header=BB6_7431 Depth=2
	s_xor_b32 s13, exec_lo, -1
; %bb.7568:                             ;   in Loop: Header=BB6_7431 Depth=2
	s_or_b32 exec_lo, exec_lo, s42
	s_and_b32 s13, s13, exec_lo
	s_or_saveexec_b32 s41, s41
	v_mov_b32_e32 v5, 0x7f800001
	s_xor_b32 exec_lo, exec_lo, s41
	s_cbranch_execnz .LBB6_8000
.LBB6_7569:                             ;   in Loop: Header=BB6_7431 Depth=2
	s_or_b32 exec_lo, exec_lo, s41
	s_and_saveexec_b32 s41, s13
	s_cbranch_execz .LBB6_7571
.LBB6_7570:                             ;   in Loop: Header=BB6_7431 Depth=2
	v_and_b32_sdwa v5, v103, v12 dst_sel:DWORD dst_unused:UNUSED_PAD src0_sel:DWORD src1_sel:BYTE_1
	v_and_b32_e32 v6, 7, v5
	v_bfe_u32 v10, v5, 3, 4
	v_ffbh_u32_e32 v8, v6
	v_cmp_eq_u32_e32 vcc_lo, 0, v10
	v_min_u32_e32 v8, 32, v8
	v_subrev_nc_u32_e32 v9, 28, v8
	v_sub_nc_u32_e32 v8, 29, v8
	v_lshlrev_b32_e32 v5, v9, v5
	v_lshlrev_b32_sdwa v9, v112, v12 dst_sel:DWORD dst_unused:UNUSED_PAD src0_sel:DWORD src1_sel:BYTE_1
	v_cndmask_b32_e32 v8, v10, v8, vcc_lo
	v_and_b32_e32 v5, 7, v5
	v_lshl_add_u32 v8, v8, 23, 0x3b800000
	v_cndmask_b32_e32 v5, v6, v5, vcc_lo
	v_and_b32_e32 v6, 0x80000000, v9
	v_lshlrev_b32_e32 v5, 20, v5
	v_or3_b32 v5, v6, v8, v5
.LBB6_7571:                             ;   in Loop: Header=BB6_7431 Depth=2
	s_or_b32 exec_lo, exec_lo, s41
	v_mul_f32_e32 v5, s40, v5
	v_mov_b32_e32 v25, 0x8000
	s_mov_b32 s41, exec_lo
	v_and_b32_e32 v6, 0x7f800000, v5
	v_cmpx_ne_u32_e32 0x7f800000, v6
	s_cbranch_execz .LBB6_7579
; %bb.7572:                             ;   in Loop: Header=BB6_7431 Depth=2
	v_mov_b32_e32 v25, 0
	s_mov_b32 s42, exec_lo
	v_cmpx_ne_u32_e32 0, v5
	s_cbranch_execz .LBB6_7578
; %bb.7573:                             ;   in Loop: Header=BB6_7431 Depth=2
	v_bfe_u32 v6, v5, 23, 8
	v_and_b32_e32 v8, 0x7fffff, v5
	v_sub_nc_u32_e32 v9, 0x78, v6
	v_cmp_gt_u32_e32 vcc_lo, 0x79, v6
	v_or_b32_e32 v10, 0x800000, v8
	v_cndmask_b32_e32 v9, 0, v9, vcc_lo
	v_cmp_eq_u32_e32 vcc_lo, 0, v6
	v_add_nc_u32_e32 v6, 0xffffff89, v6
	v_cndmask_b32_e64 v9, v9, 0x77, vcc_lo
	v_cndmask_b32_e32 v8, v10, v8, vcc_lo
	v_cndmask_b32_e64 v6, v6, 0xffffff8a, vcc_lo
	v_lshl_add_u32 v10, 0x100000, v9, -1
	v_lshrrev_b32_e32 v11, v9, v8
	v_lshlrev_b32_e64 v23, v9, 0x80000
	v_add_nc_u32_e32 v9, v9, v6
	v_and_b32_e32 v8, v10, v8
	v_bfe_u32 v20, v11, 20, 1
	v_cmp_eq_u32_e64 s13, v8, v23
	v_add_nc_u32_e32 v10, -1, v20
	v_cndmask_b32_e64 v8, 0, v10, s13
	v_lshrrev_b32_e32 v10, 23, v11
	s_mov_b32 s13, exec_lo
	v_add_nc_u32_e32 v8, v8, v11
	v_xor_b32_e32 v10, 1, v10
	v_and_b32_e32 v6, 0xfffff, v8
	v_add_nc_u32_e32 v8, v6, v11
                                        ; implicit-def: $vgpr6
	v_cmpx_ne_u32_e64 v9, v10
	s_xor_b32 s13, exec_lo, s13
; %bb.7574:                             ;   in Loop: Header=BB6_7431 Depth=2
	v_cmp_lt_u32_e32 vcc_lo, 0xffffff, v8
	v_sub_nc_u32_e32 v6, v9, v10
	v_cndmask_b32_e64 v9, 0, 1, vcc_lo
	v_add_co_ci_u32_e64 v6, null, 0, v6, vcc_lo
	v_lshrrev_b32_e32 v8, v9, v8
; %bb.7575:                             ;   in Loop: Header=BB6_7431 Depth=2
	s_andn2_saveexec_b32 s13, s13
; %bb.7576:                             ;   in Loop: Header=BB6_7431 Depth=2
	v_bfe_u32 v6, v8, 23, 1
; %bb.7577:                             ;   in Loop: Header=BB6_7431 Depth=2
	s_or_b32 exec_lo, exec_lo, s13
	v_lshrrev_b32_e32 v8, 20, v8
	v_min_i32_e32 v9, 15, v6
	v_cmp_gt_i32_e32 vcc_lo, 16, v6
	v_and_b32_sdwa v5, v5, v102 dst_sel:DWORD dst_unused:UNUSED_PAD src0_sel:BYTE_3 src1_sel:DWORD
	v_lshlrev_b32_e32 v9, 3, v9
	v_cndmask_b32_e32 v8, 7, v8, vcc_lo
	v_and_b32_e32 v9, 0xf8, v9
	v_and_b32_e32 v10, 7, v8
	v_or_b32_e32 v6, v6, v8
	v_or3_b32 v5, v5, v9, v10
	v_cmp_ne_u32_e32 vcc_lo, 0, v6
	v_lshlrev_b32_e32 v5, 8, v5
	v_cndmask_b32_e32 v25, 0, v5, vcc_lo
.LBB6_7578:                             ;   in Loop: Header=BB6_7431 Depth=2
	s_or_b32 exec_lo, exec_lo, s42
.LBB6_7579:                             ;   in Loop: Header=BB6_7431 Depth=2
	s_or_b32 exec_lo, exec_lo, s41
	v_and_b32_sdwa v6, v12, v113 dst_sel:DWORD dst_unused:UNUSED_PAD src0_sel:WORD_1 src1_sel:DWORD
	s_mov_b32 s13, 0
	s_mov_b32 s41, exec_lo
	v_cmpx_lt_i16_e32 0x7f, v6
	s_xor_b32 s41, exec_lo, s41
	s_cbranch_execz .LBB6_8001
; %bb.7580:                             ;   in Loop: Header=BB6_7431 Depth=2
	s_mov_b32 s13, -1
	s_mov_b32 s42, exec_lo
	v_cmpx_eq_u16_e32 0x80, v6
; %bb.7581:                             ;   in Loop: Header=BB6_7431 Depth=2
	s_xor_b32 s13, exec_lo, -1
; %bb.7582:                             ;   in Loop: Header=BB6_7431 Depth=2
	s_or_b32 exec_lo, exec_lo, s42
	s_and_b32 s13, s13, exec_lo
                                        ; implicit-def: $vgpr6
	s_or_saveexec_b32 s41, s41
	v_mov_b32_e32 v5, 0x7f800001
	s_xor_b32 exec_lo, exec_lo, s41
	s_cbranch_execnz .LBB6_8002
.LBB6_7583:                             ;   in Loop: Header=BB6_7431 Depth=2
	s_or_b32 exec_lo, exec_lo, s41
	s_and_saveexec_b32 s41, s13
	s_cbranch_execz .LBB6_7585
.LBB6_7584:                             ;   in Loop: Header=BB6_7431 Depth=2
	v_bfe_u32 v5, v12, 16, 3
	v_bfe_u32 v9, v12, 19, 4
	v_lshlrev_b32_e32 v10, 8, v12
	v_ffbh_u32_e32 v6, v5
	v_cmp_eq_u32_e32 vcc_lo, 0, v9
	v_min_u32_e32 v6, 32, v6
	v_subrev_nc_u32_e32 v8, 28, v6
	v_sub_nc_u32_e32 v6, 29, v6
	v_lshlrev_b32_sdwa v8, v8, v12 dst_sel:DWORD dst_unused:UNUSED_PAD src0_sel:DWORD src1_sel:WORD_1
	v_cndmask_b32_e32 v6, v9, v6, vcc_lo
	v_and_b32_e32 v8, 7, v8
	v_lshl_add_u32 v6, v6, 23, 0x3b800000
	v_cndmask_b32_e32 v5, v5, v8, vcc_lo
	v_and_b32_e32 v8, 0x80000000, v10
	v_lshlrev_b32_e32 v5, 20, v5
	v_or3_b32 v5, v8, v6, v5
.LBB6_7585:                             ;   in Loop: Header=BB6_7431 Depth=2
	s_or_b32 exec_lo, exec_lo, s41
	v_mul_f32_e32 v5, s40, v5
	v_mov_b32_e32 v9, 0x80
	s_mov_b32 s41, exec_lo
	v_and_b32_e32 v6, 0x7f800000, v5
	v_cmpx_ne_u32_e32 0x7f800000, v6
	s_cbranch_execz .LBB6_7593
; %bb.7586:                             ;   in Loop: Header=BB6_7431 Depth=2
	v_mov_b32_e32 v9, 0
	s_mov_b32 s42, exec_lo
	v_cmpx_ne_u32_e32 0, v5
	s_cbranch_execz .LBB6_7592
; %bb.7587:                             ;   in Loop: Header=BB6_7431 Depth=2
	v_bfe_u32 v6, v5, 23, 8
	v_and_b32_e32 v8, 0x7fffff, v5
	v_sub_nc_u32_e32 v9, 0x78, v6
	v_cmp_gt_u32_e32 vcc_lo, 0x79, v6
	v_or_b32_e32 v10, 0x800000, v8
	v_cndmask_b32_e32 v9, 0, v9, vcc_lo
	v_cmp_eq_u32_e32 vcc_lo, 0, v6
	v_add_nc_u32_e32 v6, 0xffffff89, v6
	v_cndmask_b32_e64 v9, v9, 0x77, vcc_lo
	v_cndmask_b32_e32 v8, v10, v8, vcc_lo
	v_cndmask_b32_e64 v6, v6, 0xffffff8a, vcc_lo
	v_lshl_add_u32 v10, 0x100000, v9, -1
	v_lshrrev_b32_e32 v11, v9, v8
	v_lshlrev_b32_e64 v23, v9, 0x80000
	v_add_nc_u32_e32 v9, v9, v6
	v_and_b32_e32 v8, v10, v8
	v_bfe_u32 v20, v11, 20, 1
	v_cmp_eq_u32_e64 s13, v8, v23
	v_add_nc_u32_e32 v10, -1, v20
	v_cndmask_b32_e64 v8, 0, v10, s13
	v_lshrrev_b32_e32 v10, 23, v11
	s_mov_b32 s13, exec_lo
	v_add_nc_u32_e32 v8, v8, v11
	v_xor_b32_e32 v10, 1, v10
	v_and_b32_e32 v6, 0xfffff, v8
	v_add_nc_u32_e32 v8, v6, v11
                                        ; implicit-def: $vgpr6
	v_cmpx_ne_u32_e64 v9, v10
	s_xor_b32 s13, exec_lo, s13
; %bb.7588:                             ;   in Loop: Header=BB6_7431 Depth=2
	v_cmp_lt_u32_e32 vcc_lo, 0xffffff, v8
	v_sub_nc_u32_e32 v6, v9, v10
	v_cndmask_b32_e64 v9, 0, 1, vcc_lo
	v_add_co_ci_u32_e64 v6, null, 0, v6, vcc_lo
	v_lshrrev_b32_e32 v8, v9, v8
; %bb.7589:                             ;   in Loop: Header=BB6_7431 Depth=2
	s_andn2_saveexec_b32 s13, s13
; %bb.7590:                             ;   in Loop: Header=BB6_7431 Depth=2
	v_bfe_u32 v6, v8, 23, 1
; %bb.7591:                             ;   in Loop: Header=BB6_7431 Depth=2
	s_or_b32 exec_lo, exec_lo, s13
	v_lshrrev_b32_e32 v8, 20, v8
	v_min_i32_e32 v9, 15, v6
	v_cmp_gt_i32_e32 vcc_lo, 16, v6
	v_and_b32_sdwa v5, v5, v102 dst_sel:DWORD dst_unused:UNUSED_PAD src0_sel:BYTE_3 src1_sel:DWORD
	v_lshlrev_b32_e32 v9, 3, v9
	v_cndmask_b32_e32 v8, 7, v8, vcc_lo
	v_and_b32_e32 v9, 0xf8, v9
	v_and_b32_e32 v10, 7, v8
	v_or_b32_e32 v6, v6, v8
	v_or3_b32 v5, v9, v5, v10
	v_cmp_ne_u32_e32 vcc_lo, 0, v6
	v_cndmask_b32_e32 v9, 0, v5, vcc_lo
.LBB6_7592:                             ;   in Loop: Header=BB6_7431 Depth=2
	s_or_b32 exec_lo, exec_lo, s42
.LBB6_7593:                             ;   in Loop: Header=BB6_7431 Depth=2
	s_or_b32 exec_lo, exec_lo, s41
	v_cmp_gt_i16_sdwa s41, v12, v101 src0_sel:BYTE_3 src1_sel:DWORD
	s_mov_b32 s13, 0
	s_and_saveexec_b32 s42, s41
	s_xor_b32 s41, exec_lo, s42
	s_cbranch_execz .LBB6_8003
; %bb.7594:                             ;   in Loop: Header=BB6_7431 Depth=2
	v_cmp_eq_u16_sdwa s43, v12, v102 src0_sel:BYTE_3 src1_sel:DWORD
	s_mov_b32 s13, -1
	s_and_saveexec_b32 s42, s43
; %bb.7595:                             ;   in Loop: Header=BB6_7431 Depth=2
	s_xor_b32 s13, exec_lo, -1
; %bb.7596:                             ;   in Loop: Header=BB6_7431 Depth=2
	s_or_b32 exec_lo, exec_lo, s42
	s_and_b32 s13, s13, exec_lo
	s_or_saveexec_b32 s41, s41
	v_mov_b32_e32 v5, 0x7f800001
	s_xor_b32 exec_lo, exec_lo, s41
	s_cbranch_execnz .LBB6_8004
.LBB6_7597:                             ;   in Loop: Header=BB6_7431 Depth=2
	s_or_b32 exec_lo, exec_lo, s41
	s_and_saveexec_b32 s41, s13
	s_cbranch_execz .LBB6_7599
.LBB6_7598:                             ;   in Loop: Header=BB6_7431 Depth=2
	v_bfe_u32 v5, v12, 24, 3
	v_bfe_u32 v10, v12, 27, 4
	v_ffbh_u32_e32 v6, v5
	v_cmp_eq_u32_e32 vcc_lo, 0, v10
	v_min_u32_e32 v6, 32, v6
	v_subrev_nc_u32_e32 v8, 28, v6
	v_sub_nc_u32_e32 v6, 29, v6
	v_lshlrev_b32_sdwa v8, v8, v12 dst_sel:DWORD dst_unused:UNUSED_PAD src0_sel:DWORD src1_sel:BYTE_3
	v_cndmask_b32_e32 v6, v10, v6, vcc_lo
	v_and_b32_e32 v8, 7, v8
	v_lshl_add_u32 v6, v6, 23, 0x3b800000
	v_cndmask_b32_e32 v5, v5, v8, vcc_lo
	v_and_b32_e32 v8, 0x80000000, v12
	v_lshlrev_b32_e32 v5, 20, v5
	v_or3_b32 v5, v8, v6, v5
.LBB6_7599:                             ;   in Loop: Header=BB6_7431 Depth=2
	s_or_b32 exec_lo, exec_lo, s41
	v_mul_f32_e32 v5, s40, v5
	v_mov_b32_e32 v23, 0x8000
	s_mov_b32 s41, exec_lo
	v_and_b32_e32 v6, 0x7f800000, v5
	v_cmpx_ne_u32_e32 0x7f800000, v6
	s_cbranch_execz .LBB6_7607
; %bb.7600:                             ;   in Loop: Header=BB6_7431 Depth=2
	v_mov_b32_e32 v23, 0
	s_mov_b32 s42, exec_lo
	v_cmpx_ne_u32_e32 0, v5
	s_cbranch_execz .LBB6_7606
; %bb.7601:                             ;   in Loop: Header=BB6_7431 Depth=2
	v_bfe_u32 v6, v5, 23, 8
	v_and_b32_e32 v8, 0x7fffff, v5
	v_sub_nc_u32_e32 v10, 0x78, v6
	v_cmp_gt_u32_e32 vcc_lo, 0x79, v6
	v_or_b32_e32 v11, 0x800000, v8
	v_cndmask_b32_e32 v10, 0, v10, vcc_lo
	v_cmp_eq_u32_e32 vcc_lo, 0, v6
	v_add_nc_u32_e32 v6, 0xffffff89, v6
	v_cndmask_b32_e64 v10, v10, 0x77, vcc_lo
	v_cndmask_b32_e32 v8, v11, v8, vcc_lo
	v_cndmask_b32_e64 v6, v6, 0xffffff8a, vcc_lo
	v_lshl_add_u32 v11, 0x100000, v10, -1
	v_lshrrev_b32_e32 v12, v10, v8
	v_lshlrev_b32_e64 v23, v10, 0x80000
	v_add_nc_u32_e32 v10, v10, v6
	v_and_b32_e32 v8, v11, v8
	v_bfe_u32 v20, v12, 20, 1
	v_cmp_eq_u32_e64 s13, v8, v23
	v_add_nc_u32_e32 v11, -1, v20
	v_cndmask_b32_e64 v8, 0, v11, s13
	v_lshrrev_b32_e32 v11, 23, v12
	s_mov_b32 s13, exec_lo
	v_add_nc_u32_e32 v8, v8, v12
	v_xor_b32_e32 v11, 1, v11
	v_and_b32_e32 v6, 0xfffff, v8
	v_add_nc_u32_e32 v8, v6, v12
                                        ; implicit-def: $vgpr6
	v_cmpx_ne_u32_e64 v10, v11
	s_xor_b32 s13, exec_lo, s13
; %bb.7602:                             ;   in Loop: Header=BB6_7431 Depth=2
	v_cmp_lt_u32_e32 vcc_lo, 0xffffff, v8
	v_sub_nc_u32_e32 v6, v10, v11
	v_cndmask_b32_e64 v10, 0, 1, vcc_lo
	v_add_co_ci_u32_e64 v6, null, 0, v6, vcc_lo
	v_lshrrev_b32_e32 v8, v10, v8
; %bb.7603:                             ;   in Loop: Header=BB6_7431 Depth=2
	s_andn2_saveexec_b32 s13, s13
; %bb.7604:                             ;   in Loop: Header=BB6_7431 Depth=2
	v_bfe_u32 v6, v8, 23, 1
; %bb.7605:                             ;   in Loop: Header=BB6_7431 Depth=2
	s_or_b32 exec_lo, exec_lo, s13
	v_lshrrev_b32_e32 v8, 20, v8
	v_min_i32_e32 v10, 15, v6
	v_cmp_gt_i32_e32 vcc_lo, 16, v6
	v_and_b32_sdwa v5, v5, v102 dst_sel:DWORD dst_unused:UNUSED_PAD src0_sel:BYTE_3 src1_sel:DWORD
	v_lshlrev_b32_e32 v10, 3, v10
	v_cndmask_b32_e32 v8, 7, v8, vcc_lo
	v_and_b32_e32 v10, 0xf8, v10
	v_and_b32_e32 v11, 7, v8
	v_or_b32_e32 v6, v6, v8
	v_or3_b32 v5, v5, v10, v11
	v_cmp_ne_u32_e32 vcc_lo, 0, v6
	v_lshlrev_b32_e32 v5, 8, v5
	v_cndmask_b32_e32 v23, 0, v5, vcc_lo
.LBB6_7606:                             ;   in Loop: Header=BB6_7431 Depth=2
	s_or_b32 exec_lo, exec_lo, s42
.LBB6_7607:                             ;   in Loop: Header=BB6_7431 Depth=2
	s_or_b32 exec_lo, exec_lo, s41
	v_cmp_gt_i16_sdwa s41, v13, v101 src0_sel:BYTE_0 src1_sel:DWORD
	s_mov_b32 s13, 0
	s_and_saveexec_b32 s42, s41
	s_xor_b32 s41, exec_lo, s42
	s_cbranch_execz .LBB6_8005
; %bb.7608:                             ;   in Loop: Header=BB6_7431 Depth=2
	v_cmp_eq_u16_sdwa s43, v13, v102 src0_sel:BYTE_0 src1_sel:DWORD
	s_mov_b32 s13, -1
	s_and_saveexec_b32 s42, s43
; %bb.7609:                             ;   in Loop: Header=BB6_7431 Depth=2
	s_xor_b32 s13, exec_lo, -1
; %bb.7610:                             ;   in Loop: Header=BB6_7431 Depth=2
	s_or_b32 exec_lo, exec_lo, s42
	s_and_b32 s13, s13, exec_lo
	s_or_saveexec_b32 s41, s41
	v_mov_b32_e32 v5, 0x7f800001
	s_xor_b32 exec_lo, exec_lo, s41
	s_cbranch_execnz .LBB6_8006
.LBB6_7611:                             ;   in Loop: Header=BB6_7431 Depth=2
	s_or_b32 exec_lo, exec_lo, s41
	s_and_saveexec_b32 s41, s13
	s_cbranch_execz .LBB6_7613
.LBB6_7612:                             ;   in Loop: Header=BB6_7431 Depth=2
	v_and_b32_e32 v5, 7, v13
	v_bfe_u32 v10, v13, 3, 4
	v_lshlrev_b32_e32 v11, 24, v13
	v_ffbh_u32_e32 v6, v5
	v_cmp_eq_u32_e32 vcc_lo, 0, v10
	v_min_u32_e32 v6, 32, v6
	v_subrev_nc_u32_e32 v8, 28, v6
	v_sub_nc_u32_e32 v6, 29, v6
	v_lshlrev_b32_e32 v8, v8, v13
	v_cndmask_b32_e32 v6, v10, v6, vcc_lo
	v_and_b32_e32 v8, 7, v8
	v_lshl_add_u32 v6, v6, 23, 0x3b800000
	v_cndmask_b32_e32 v5, v5, v8, vcc_lo
	v_and_b32_e32 v8, 0x80000000, v11
	v_lshlrev_b32_e32 v5, 20, v5
	v_or3_b32 v5, v8, v6, v5
.LBB6_7613:                             ;   in Loop: Header=BB6_7431 Depth=2
	s_or_b32 exec_lo, exec_lo, s41
	v_mul_f32_e32 v5, s40, v5
	v_and_b32_e32 v6, 0x7f800000, v5
	v_cmp_ne_u32_e32 vcc_lo, 0x7f800000, v6
	v_mov_b32_e32 v6, 0x80
	s_and_saveexec_b32 s41, vcc_lo
	s_cbranch_execz .LBB6_7621
; %bb.7614:                             ;   in Loop: Header=BB6_7431 Depth=2
	v_mov_b32_e32 v6, 0
	s_mov_b32 s42, exec_lo
	v_cmpx_ne_u32_e32 0, v5
	s_cbranch_execz .LBB6_7620
; %bb.7615:                             ;   in Loop: Header=BB6_7431 Depth=2
	v_bfe_u32 v6, v5, 23, 8
	v_and_b32_e32 v8, 0x7fffff, v5
	v_sub_nc_u32_e32 v10, 0x78, v6
	v_cmp_gt_u32_e32 vcc_lo, 0x79, v6
	v_or_b32_e32 v11, 0x800000, v8
	v_cndmask_b32_e32 v10, 0, v10, vcc_lo
	v_cmp_eq_u32_e32 vcc_lo, 0, v6
	v_add_nc_u32_e32 v6, 0xffffff89, v6
	v_cndmask_b32_e64 v10, v10, 0x77, vcc_lo
	v_cndmask_b32_e32 v8, v11, v8, vcc_lo
	v_cndmask_b32_e64 v6, v6, 0xffffff8a, vcc_lo
	v_lshl_add_u32 v11, 0x100000, v10, -1
	v_lshrrev_b32_e32 v12, v10, v8
	v_lshlrev_b32_e64 v30, v10, 0x80000
	v_add_nc_u32_e32 v10, v10, v6
	v_and_b32_e32 v8, v11, v8
	v_bfe_u32 v20, v12, 20, 1
	v_cmp_eq_u32_e64 s13, v8, v30
	v_add_nc_u32_e32 v11, -1, v20
	v_cndmask_b32_e64 v8, 0, v11, s13
	v_lshrrev_b32_e32 v11, 23, v12
	s_mov_b32 s13, exec_lo
	v_add_nc_u32_e32 v8, v8, v12
	v_xor_b32_e32 v11, 1, v11
	v_and_b32_e32 v6, 0xfffff, v8
	v_add_nc_u32_e32 v8, v6, v12
                                        ; implicit-def: $vgpr6
	v_cmpx_ne_u32_e64 v10, v11
	s_xor_b32 s13, exec_lo, s13
; %bb.7616:                             ;   in Loop: Header=BB6_7431 Depth=2
	v_cmp_lt_u32_e32 vcc_lo, 0xffffff, v8
	v_sub_nc_u32_e32 v6, v10, v11
	v_cndmask_b32_e64 v10, 0, 1, vcc_lo
	v_add_co_ci_u32_e64 v6, null, 0, v6, vcc_lo
	v_lshrrev_b32_e32 v8, v10, v8
; %bb.7617:                             ;   in Loop: Header=BB6_7431 Depth=2
	s_andn2_saveexec_b32 s13, s13
; %bb.7618:                             ;   in Loop: Header=BB6_7431 Depth=2
	v_bfe_u32 v6, v8, 23, 1
; %bb.7619:                             ;   in Loop: Header=BB6_7431 Depth=2
	s_or_b32 exec_lo, exec_lo, s13
	v_lshrrev_b32_e32 v8, 20, v8
	v_min_i32_e32 v10, 15, v6
	v_cmp_gt_i32_e32 vcc_lo, 16, v6
	v_and_b32_sdwa v5, v5, v102 dst_sel:DWORD dst_unused:UNUSED_PAD src0_sel:BYTE_3 src1_sel:DWORD
	v_lshlrev_b32_e32 v10, 3, v10
	v_cndmask_b32_e32 v8, 7, v8, vcc_lo
	v_and_b32_e32 v10, 0xf8, v10
	v_and_b32_e32 v11, 7, v8
	v_or_b32_e32 v6, v6, v8
	v_or3_b32 v5, v10, v5, v11
	v_cmp_ne_u32_e32 vcc_lo, 0, v6
	v_cndmask_b32_e32 v6, 0, v5, vcc_lo
.LBB6_7620:                             ;   in Loop: Header=BB6_7431 Depth=2
	s_or_b32 exec_lo, exec_lo, s42
.LBB6_7621:                             ;   in Loop: Header=BB6_7431 Depth=2
	s_or_b32 exec_lo, exec_lo, s41
	v_cmp_gt_i16_sdwa s41, v13, v101 src0_sel:BYTE_1 src1_sel:DWORD
	s_mov_b32 s13, 0
	s_and_saveexec_b32 s42, s41
	s_xor_b32 s41, exec_lo, s42
	s_cbranch_execz .LBB6_8007
; %bb.7622:                             ;   in Loop: Header=BB6_7431 Depth=2
	v_cmp_eq_u16_sdwa s43, v13, v102 src0_sel:BYTE_1 src1_sel:DWORD
	s_mov_b32 s13, -1
	s_and_saveexec_b32 s42, s43
; %bb.7623:                             ;   in Loop: Header=BB6_7431 Depth=2
	s_xor_b32 s13, exec_lo, -1
; %bb.7624:                             ;   in Loop: Header=BB6_7431 Depth=2
	s_or_b32 exec_lo, exec_lo, s42
	s_and_b32 s13, s13, exec_lo
	s_or_saveexec_b32 s41, s41
	v_mov_b32_e32 v5, 0x7f800001
	s_xor_b32 exec_lo, exec_lo, s41
	s_cbranch_execnz .LBB6_8008
.LBB6_7625:                             ;   in Loop: Header=BB6_7431 Depth=2
	s_or_b32 exec_lo, exec_lo, s41
	s_and_saveexec_b32 s41, s13
	s_cbranch_execz .LBB6_7627
.LBB6_7626:                             ;   in Loop: Header=BB6_7431 Depth=2
	v_and_b32_sdwa v5, v103, v13 dst_sel:DWORD dst_unused:UNUSED_PAD src0_sel:DWORD src1_sel:BYTE_1
	v_and_b32_e32 v8, 7, v5
	v_bfe_u32 v12, v5, 3, 4
	v_ffbh_u32_e32 v10, v8
	v_cmp_eq_u32_e32 vcc_lo, 0, v12
	v_min_u32_e32 v10, 32, v10
	v_subrev_nc_u32_e32 v11, 28, v10
	v_sub_nc_u32_e32 v10, 29, v10
	v_lshlrev_b32_e32 v5, v11, v5
	v_lshlrev_b32_sdwa v11, v112, v13 dst_sel:DWORD dst_unused:UNUSED_PAD src0_sel:DWORD src1_sel:BYTE_1
	v_cndmask_b32_e32 v10, v12, v10, vcc_lo
	v_and_b32_e32 v5, 7, v5
	v_lshl_add_u32 v10, v10, 23, 0x3b800000
	v_cndmask_b32_e32 v5, v8, v5, vcc_lo
	v_and_b32_e32 v8, 0x80000000, v11
	v_lshlrev_b32_e32 v5, 20, v5
	v_or3_b32 v5, v8, v10, v5
.LBB6_7627:                             ;   in Loop: Header=BB6_7431 Depth=2
	s_or_b32 exec_lo, exec_lo, s41
	v_mul_f32_e32 v5, s40, v5
	v_mov_b32_e32 v20, 0x8000
	s_mov_b32 s41, exec_lo
	v_and_b32_e32 v8, 0x7f800000, v5
	v_cmpx_ne_u32_e32 0x7f800000, v8
	s_cbranch_execz .LBB6_7635
; %bb.7628:                             ;   in Loop: Header=BB6_7431 Depth=2
	v_mov_b32_e32 v20, 0
	s_mov_b32 s42, exec_lo
	v_cmpx_ne_u32_e32 0, v5
	s_cbranch_execz .LBB6_7634
; %bb.7629:                             ;   in Loop: Header=BB6_7431 Depth=2
	v_bfe_u32 v8, v5, 23, 8
	v_and_b32_e32 v10, 0x7fffff, v5
	v_sub_nc_u32_e32 v11, 0x78, v8
	v_cmp_gt_u32_e32 vcc_lo, 0x79, v8
	v_or_b32_e32 v12, 0x800000, v10
	v_cndmask_b32_e32 v11, 0, v11, vcc_lo
	v_cmp_eq_u32_e32 vcc_lo, 0, v8
	v_add_nc_u32_e32 v8, 0xffffff89, v8
	v_cndmask_b32_e64 v11, v11, 0x77, vcc_lo
	v_cndmask_b32_e32 v10, v12, v10, vcc_lo
	v_cndmask_b32_e64 v8, v8, 0xffffff8a, vcc_lo
	v_lshl_add_u32 v12, 0x100000, v11, -1
	v_lshrrev_b32_e32 v20, v11, v10
	v_lshlrev_b32_e64 v31, v11, 0x80000
	v_add_nc_u32_e32 v11, v11, v8
	v_and_b32_e32 v10, v12, v10
	v_bfe_u32 v30, v20, 20, 1
	v_cmp_eq_u32_e64 s13, v10, v31
	v_add_nc_u32_e32 v12, -1, v30
	v_cndmask_b32_e64 v10, 0, v12, s13
	v_lshrrev_b32_e32 v12, 23, v20
	s_mov_b32 s13, exec_lo
	v_add_nc_u32_e32 v10, v10, v20
	v_xor_b32_e32 v12, 1, v12
	v_and_b32_e32 v8, 0xfffff, v10
	v_add_nc_u32_e32 v10, v8, v20
                                        ; implicit-def: $vgpr8
	v_cmpx_ne_u32_e64 v11, v12
	s_xor_b32 s13, exec_lo, s13
; %bb.7630:                             ;   in Loop: Header=BB6_7431 Depth=2
	v_cmp_lt_u32_e32 vcc_lo, 0xffffff, v10
	v_sub_nc_u32_e32 v8, v11, v12
	v_cndmask_b32_e64 v11, 0, 1, vcc_lo
	v_add_co_ci_u32_e64 v8, null, 0, v8, vcc_lo
	v_lshrrev_b32_e32 v10, v11, v10
; %bb.7631:                             ;   in Loop: Header=BB6_7431 Depth=2
	s_andn2_saveexec_b32 s13, s13
; %bb.7632:                             ;   in Loop: Header=BB6_7431 Depth=2
	v_bfe_u32 v8, v10, 23, 1
; %bb.7633:                             ;   in Loop: Header=BB6_7431 Depth=2
	s_or_b32 exec_lo, exec_lo, s13
	v_lshrrev_b32_e32 v10, 20, v10
	v_min_i32_e32 v11, 15, v8
	v_cmp_gt_i32_e32 vcc_lo, 16, v8
	v_and_b32_sdwa v5, v5, v102 dst_sel:DWORD dst_unused:UNUSED_PAD src0_sel:BYTE_3 src1_sel:DWORD
	v_lshlrev_b32_e32 v11, 3, v11
	v_cndmask_b32_e32 v10, 7, v10, vcc_lo
	v_and_b32_e32 v11, 0xf8, v11
	v_and_b32_e32 v12, 7, v10
	v_or_b32_e32 v8, v8, v10
	v_or3_b32 v5, v5, v11, v12
	v_cmp_ne_u32_e32 vcc_lo, 0, v8
	v_lshlrev_b32_e32 v5, 8, v5
	v_cndmask_b32_e32 v20, 0, v5, vcc_lo
.LBB6_7634:                             ;   in Loop: Header=BB6_7431 Depth=2
	s_or_b32 exec_lo, exec_lo, s42
.LBB6_7635:                             ;   in Loop: Header=BB6_7431 Depth=2
	s_or_b32 exec_lo, exec_lo, s41
	v_and_b32_sdwa v8, v13, v113 dst_sel:DWORD dst_unused:UNUSED_PAD src0_sel:WORD_1 src1_sel:DWORD
	s_mov_b32 s13, 0
	s_mov_b32 s41, exec_lo
	v_cmpx_lt_i16_e32 0x7f, v8
	s_xor_b32 s41, exec_lo, s41
	s_cbranch_execz .LBB6_8009
; %bb.7636:                             ;   in Loop: Header=BB6_7431 Depth=2
	s_mov_b32 s13, -1
	s_mov_b32 s42, exec_lo
	v_cmpx_eq_u16_e32 0x80, v8
; %bb.7637:                             ;   in Loop: Header=BB6_7431 Depth=2
	s_xor_b32 s13, exec_lo, -1
; %bb.7638:                             ;   in Loop: Header=BB6_7431 Depth=2
	s_or_b32 exec_lo, exec_lo, s42
	s_and_b32 s13, s13, exec_lo
                                        ; implicit-def: $vgpr8
	s_or_saveexec_b32 s41, s41
	v_mov_b32_e32 v5, 0x7f800001
	s_xor_b32 exec_lo, exec_lo, s41
	s_cbranch_execnz .LBB6_8010
.LBB6_7639:                             ;   in Loop: Header=BB6_7431 Depth=2
	s_or_b32 exec_lo, exec_lo, s41
	s_and_saveexec_b32 s41, s13
	s_cbranch_execz .LBB6_7641
.LBB6_7640:                             ;   in Loop: Header=BB6_7431 Depth=2
	v_bfe_u32 v5, v13, 16, 3
	v_bfe_u32 v11, v13, 19, 4
	v_lshlrev_b32_e32 v12, 8, v13
	v_ffbh_u32_e32 v8, v5
	v_cmp_eq_u32_e32 vcc_lo, 0, v11
	v_min_u32_e32 v8, 32, v8
	v_subrev_nc_u32_e32 v10, 28, v8
	v_sub_nc_u32_e32 v8, 29, v8
	v_lshlrev_b32_sdwa v10, v10, v13 dst_sel:DWORD dst_unused:UNUSED_PAD src0_sel:DWORD src1_sel:WORD_1
	v_cndmask_b32_e32 v8, v11, v8, vcc_lo
	v_and_b32_e32 v10, 7, v10
	v_lshl_add_u32 v8, v8, 23, 0x3b800000
	v_cndmask_b32_e32 v5, v5, v10, vcc_lo
	v_and_b32_e32 v10, 0x80000000, v12
	v_lshlrev_b32_e32 v5, 20, v5
	v_or3_b32 v5, v10, v8, v5
.LBB6_7641:                             ;   in Loop: Header=BB6_7431 Depth=2
	s_or_b32 exec_lo, exec_lo, s41
	v_mul_f32_e32 v8, s40, v5
	v_and_b32_e32 v5, 0x7f800000, v8
	v_cmp_ne_u32_e32 vcc_lo, 0x7f800000, v5
	v_mov_b32_e32 v5, 0x80
	s_and_saveexec_b32 s41, vcc_lo
	s_cbranch_execz .LBB6_7649
; %bb.7642:                             ;   in Loop: Header=BB6_7431 Depth=2
	v_mov_b32_e32 v5, 0
	s_mov_b32 s42, exec_lo
	v_cmpx_ne_u32_e32 0, v8
	s_cbranch_execz .LBB6_7648
; %bb.7643:                             ;   in Loop: Header=BB6_7431 Depth=2
	v_bfe_u32 v5, v8, 23, 8
	v_and_b32_e32 v10, 0x7fffff, v8
	v_sub_nc_u32_e32 v11, 0x78, v5
	v_cmp_gt_u32_e32 vcc_lo, 0x79, v5
	v_or_b32_e32 v12, 0x800000, v10
	v_cndmask_b32_e32 v11, 0, v11, vcc_lo
	v_cmp_eq_u32_e32 vcc_lo, 0, v5
	v_add_nc_u32_e32 v5, 0xffffff89, v5
	v_cndmask_b32_e64 v11, v11, 0x77, vcc_lo
	v_cndmask_b32_e32 v10, v12, v10, vcc_lo
	v_cndmask_b32_e64 v5, v5, 0xffffff8a, vcc_lo
	v_lshl_add_u32 v12, 0x100000, v11, -1
	v_lshrrev_b32_e32 v30, v11, v10
	v_lshlrev_b32_e64 v32, v11, 0x80000
	v_add_nc_u32_e32 v11, v11, v5
	v_and_b32_e32 v10, v12, v10
	v_bfe_u32 v31, v30, 20, 1
	v_cmp_eq_u32_e64 s13, v10, v32
	v_add_nc_u32_e32 v12, -1, v31
	v_cndmask_b32_e64 v10, 0, v12, s13
	v_lshrrev_b32_e32 v12, 23, v30
	s_mov_b32 s13, exec_lo
	v_add_nc_u32_e32 v10, v10, v30
	v_xor_b32_e32 v12, 1, v12
	v_and_b32_e32 v5, 0xfffff, v10
	v_add_nc_u32_e32 v10, v5, v30
                                        ; implicit-def: $vgpr5
	v_cmpx_ne_u32_e64 v11, v12
	s_xor_b32 s13, exec_lo, s13
; %bb.7644:                             ;   in Loop: Header=BB6_7431 Depth=2
	v_cmp_lt_u32_e32 vcc_lo, 0xffffff, v10
	v_sub_nc_u32_e32 v5, v11, v12
	v_cndmask_b32_e64 v11, 0, 1, vcc_lo
	v_add_co_ci_u32_e64 v5, null, 0, v5, vcc_lo
	v_lshrrev_b32_e32 v10, v11, v10
; %bb.7645:                             ;   in Loop: Header=BB6_7431 Depth=2
	s_andn2_saveexec_b32 s13, s13
; %bb.7646:                             ;   in Loop: Header=BB6_7431 Depth=2
	v_bfe_u32 v5, v10, 23, 1
; %bb.7647:                             ;   in Loop: Header=BB6_7431 Depth=2
	s_or_b32 exec_lo, exec_lo, s13
	v_lshrrev_b32_e32 v10, 20, v10
	v_min_i32_e32 v11, 15, v5
	v_cmp_gt_i32_e32 vcc_lo, 16, v5
	v_and_b32_sdwa v8, v8, v102 dst_sel:DWORD dst_unused:UNUSED_PAD src0_sel:BYTE_3 src1_sel:DWORD
	v_lshlrev_b32_e32 v11, 3, v11
	v_cndmask_b32_e32 v10, 7, v10, vcc_lo
	v_and_b32_e32 v11, 0xf8, v11
	v_and_b32_e32 v12, 7, v10
	v_or_b32_e32 v5, v5, v10
	v_or3_b32 v8, v11, v8, v12
	v_cmp_ne_u32_e32 vcc_lo, 0, v5
	v_cndmask_b32_e32 v5, 0, v8, vcc_lo
.LBB6_7648:                             ;   in Loop: Header=BB6_7431 Depth=2
	s_or_b32 exec_lo, exec_lo, s42
.LBB6_7649:                             ;   in Loop: Header=BB6_7431 Depth=2
	s_or_b32 exec_lo, exec_lo, s41
	v_cmp_gt_i16_sdwa s41, v13, v101 src0_sel:BYTE_3 src1_sel:DWORD
	s_mov_b32 s13, 0
	s_and_saveexec_b32 s42, s41
	s_xor_b32 s41, exec_lo, s42
	s_cbranch_execz .LBB6_8011
; %bb.7650:                             ;   in Loop: Header=BB6_7431 Depth=2
	v_cmp_eq_u16_sdwa s43, v13, v102 src0_sel:BYTE_3 src1_sel:DWORD
	s_mov_b32 s13, -1
	s_and_saveexec_b32 s42, s43
; %bb.7651:                             ;   in Loop: Header=BB6_7431 Depth=2
	s_xor_b32 s13, exec_lo, -1
; %bb.7652:                             ;   in Loop: Header=BB6_7431 Depth=2
	s_or_b32 exec_lo, exec_lo, s42
	s_and_b32 s13, s13, exec_lo
	s_or_saveexec_b32 s41, s41
	v_mov_b32_e32 v8, 0x7f800001
	s_xor_b32 exec_lo, exec_lo, s41
	s_cbranch_execnz .LBB6_8012
.LBB6_7653:                             ;   in Loop: Header=BB6_7431 Depth=2
	s_or_b32 exec_lo, exec_lo, s41
	s_and_saveexec_b32 s41, s13
	s_cbranch_execz .LBB6_7655
.LBB6_7654:                             ;   in Loop: Header=BB6_7431 Depth=2
	v_bfe_u32 v8, v13, 24, 3
	v_bfe_u32 v12, v13, 27, 4
	v_ffbh_u32_e32 v10, v8
	v_cmp_eq_u32_e32 vcc_lo, 0, v12
	v_min_u32_e32 v10, 32, v10
	v_subrev_nc_u32_e32 v11, 28, v10
	v_sub_nc_u32_e32 v10, 29, v10
	v_lshlrev_b32_sdwa v11, v11, v13 dst_sel:DWORD dst_unused:UNUSED_PAD src0_sel:DWORD src1_sel:BYTE_3
	v_cndmask_b32_e32 v10, v12, v10, vcc_lo
	v_and_b32_e32 v11, 7, v11
	v_lshl_add_u32 v10, v10, 23, 0x3b800000
	v_cndmask_b32_e32 v8, v8, v11, vcc_lo
	v_and_b32_e32 v11, 0x80000000, v13
	v_lshlrev_b32_e32 v8, 20, v8
	v_or3_b32 v8, v11, v10, v8
.LBB6_7655:                             ;   in Loop: Header=BB6_7431 Depth=2
	s_or_b32 exec_lo, exec_lo, s41
	v_mul_f32_e32 v10, s40, v8
	v_and_b32_e32 v8, 0x7f800000, v10
	v_cmp_ne_u32_e32 vcc_lo, 0x7f800000, v8
	v_mov_b32_e32 v8, 0x8000
	s_and_saveexec_b32 s40, vcc_lo
	s_cbranch_execz .LBB6_7663
; %bb.7656:                             ;   in Loop: Header=BB6_7431 Depth=2
	v_mov_b32_e32 v8, 0
	s_mov_b32 s41, exec_lo
	v_cmpx_ne_u32_e32 0, v10
	s_cbranch_execz .LBB6_7662
; %bb.7657:                             ;   in Loop: Header=BB6_7431 Depth=2
	v_bfe_u32 v8, v10, 23, 8
	v_and_b32_e32 v11, 0x7fffff, v10
	v_sub_nc_u32_e32 v12, 0x78, v8
	v_cmp_gt_u32_e32 vcc_lo, 0x79, v8
	v_or_b32_e32 v13, 0x800000, v11
	v_cndmask_b32_e32 v12, 0, v12, vcc_lo
	v_cmp_eq_u32_e32 vcc_lo, 0, v8
	v_add_nc_u32_e32 v8, 0xffffff89, v8
	v_cndmask_b32_e64 v12, v12, 0x77, vcc_lo
	v_cndmask_b32_e32 v11, v13, v11, vcc_lo
	v_cndmask_b32_e64 v8, v8, 0xffffff8a, vcc_lo
	v_lshl_add_u32 v13, 0x100000, v12, -1
	v_lshrrev_b32_e32 v30, v12, v11
	v_lshlrev_b32_e64 v32, v12, 0x80000
	v_add_nc_u32_e32 v12, v12, v8
	v_and_b32_e32 v11, v13, v11
	v_bfe_u32 v31, v30, 20, 1
	v_cmp_eq_u32_e64 s13, v11, v32
	v_add_nc_u32_e32 v13, -1, v31
	v_cndmask_b32_e64 v11, 0, v13, s13
	v_lshrrev_b32_e32 v13, 23, v30
	s_mov_b32 s13, exec_lo
	v_add_nc_u32_e32 v11, v11, v30
	v_xor_b32_e32 v13, 1, v13
	v_and_b32_e32 v8, 0xfffff, v11
	v_add_nc_u32_e32 v11, v8, v30
                                        ; implicit-def: $vgpr8
	v_cmpx_ne_u32_e64 v12, v13
	s_xor_b32 s13, exec_lo, s13
; %bb.7658:                             ;   in Loop: Header=BB6_7431 Depth=2
	v_cmp_lt_u32_e32 vcc_lo, 0xffffff, v11
	v_sub_nc_u32_e32 v8, v12, v13
	v_cndmask_b32_e64 v12, 0, 1, vcc_lo
	v_add_co_ci_u32_e64 v8, null, 0, v8, vcc_lo
	v_lshrrev_b32_e32 v11, v12, v11
; %bb.7659:                             ;   in Loop: Header=BB6_7431 Depth=2
	s_andn2_saveexec_b32 s13, s13
; %bb.7660:                             ;   in Loop: Header=BB6_7431 Depth=2
	v_bfe_u32 v8, v11, 23, 1
; %bb.7661:                             ;   in Loop: Header=BB6_7431 Depth=2
	s_or_b32 exec_lo, exec_lo, s13
	v_lshrrev_b32_e32 v11, 20, v11
	v_min_i32_e32 v12, 15, v8
	v_cmp_gt_i32_e32 vcc_lo, 16, v8
	v_and_b32_sdwa v10, v10, v102 dst_sel:DWORD dst_unused:UNUSED_PAD src0_sel:BYTE_3 src1_sel:DWORD
	v_lshlrev_b32_e32 v12, 3, v12
	v_cndmask_b32_e32 v11, 7, v11, vcc_lo
	v_and_b32_e32 v12, 0xf8, v12
	v_and_b32_e32 v13, 7, v11
	v_or_b32_e32 v8, v8, v11
	v_or3_b32 v10, v10, v12, v13
	v_cmp_ne_u32_e32 vcc_lo, 0, v8
	v_lshlrev_b32_e32 v10, 8, v10
	v_cndmask_b32_e32 v8, 0, v10, vcc_lo
.LBB6_7662:                             ;   in Loop: Header=BB6_7431 Depth=2
	s_or_b32 exec_lo, exec_lo, s41
.LBB6_7663:                             ;   in Loop: Header=BB6_7431 Depth=2
	s_or_b32 exec_lo, exec_lo, s40
	global_load_dwordx4 v[10:13], v[18:19], off slc
	v_or_b32_e32 v30, v7, v4
	s_mov_b32 s13, 0
	v_cmp_gt_i16_sdwa s40, v30, v101 src0_sel:BYTE_0 src1_sel:DWORD
	s_and_saveexec_b32 s41, s40
	s_xor_b32 s40, exec_lo, s41
	s_cbranch_execz .LBB6_8013
; %bb.7664:                             ;   in Loop: Header=BB6_7431 Depth=2
	v_cmp_eq_u16_sdwa s42, v30, v102 src0_sel:BYTE_0 src1_sel:DWORD
	s_mov_b32 s13, -1
	s_and_saveexec_b32 s41, s42
; %bb.7665:                             ;   in Loop: Header=BB6_7431 Depth=2
	s_xor_b32 s13, exec_lo, -1
; %bb.7666:                             ;   in Loop: Header=BB6_7431 Depth=2
	s_or_b32 exec_lo, exec_lo, s41
	s_and_b32 s13, s13, exec_lo
	s_or_saveexec_b32 s40, s40
	v_mov_b32_e32 v4, 0x7f800001
	s_xor_b32 exec_lo, exec_lo, s40
	s_cbranch_execnz .LBB6_8014
.LBB6_7667:                             ;   in Loop: Header=BB6_7431 Depth=2
	s_or_b32 exec_lo, exec_lo, s40
	s_and_saveexec_b32 s40, s13
	s_cbranch_execz .LBB6_7669
.LBB6_7668:                             ;   in Loop: Header=BB6_7431 Depth=2
	v_and_b32_e32 v4, 7, v30
	v_bfe_u32 v32, v30, 3, 4
	v_lshlrev_b32_e32 v33, 24, v30
	v_ffbh_u32_e32 v7, v4
	v_cmp_eq_u32_e32 vcc_lo, 0, v32
	v_min_u32_e32 v7, 32, v7
	v_subrev_nc_u32_e32 v31, 28, v7
	v_sub_nc_u32_e32 v7, 29, v7
	v_lshlrev_b32_e32 v31, v31, v30
	v_cndmask_b32_e32 v7, v32, v7, vcc_lo
	v_and_b32_e32 v31, 7, v31
	v_lshl_add_u32 v7, v7, 23, 0x3b800000
	v_cndmask_b32_e32 v4, v4, v31, vcc_lo
	v_and_b32_e32 v31, 0x80000000, v33
	v_lshlrev_b32_e32 v4, 20, v4
	v_or3_b32 v4, v31, v7, v4
.LBB6_7669:                             ;   in Loop: Header=BB6_7431 Depth=2
	s_or_b32 exec_lo, exec_lo, s40
	s_waitcnt vmcnt(0)
	v_cmp_gt_i16_sdwa s40, v10, v101 src0_sel:BYTE_0 src1_sel:DWORD
	s_mov_b32 s13, 0
	s_and_saveexec_b32 s41, s40
	s_xor_b32 s40, exec_lo, s41
	s_cbranch_execz .LBB6_8015
; %bb.7670:                             ;   in Loop: Header=BB6_7431 Depth=2
	v_cmp_eq_u16_sdwa s42, v10, v102 src0_sel:BYTE_0 src1_sel:DWORD
	s_mov_b32 s13, -1
	s_and_saveexec_b32 s41, s42
; %bb.7671:                             ;   in Loop: Header=BB6_7431 Depth=2
	s_xor_b32 s13, exec_lo, -1
; %bb.7672:                             ;   in Loop: Header=BB6_7431 Depth=2
	s_or_b32 exec_lo, exec_lo, s41
	s_and_b32 s13, s13, exec_lo
	s_or_saveexec_b32 s40, s40
	v_mov_b32_e32 v7, 0x7f800001
	s_xor_b32 exec_lo, exec_lo, s40
	s_cbranch_execnz .LBB6_8016
.LBB6_7673:                             ;   in Loop: Header=BB6_7431 Depth=2
	s_or_b32 exec_lo, exec_lo, s40
	s_and_saveexec_b32 s40, s13
	s_cbranch_execz .LBB6_7675
.LBB6_7674:                             ;   in Loop: Header=BB6_7431 Depth=2
	v_and_b32_e32 v7, 7, v10
	v_bfe_u32 v33, v10, 3, 4
	v_lshlrev_b32_e32 v34, 24, v10
	v_ffbh_u32_e32 v31, v7
	v_cmp_eq_u32_e32 vcc_lo, 0, v33
	v_min_u32_e32 v31, 32, v31
	v_subrev_nc_u32_e32 v32, 28, v31
	v_sub_nc_u32_e32 v31, 29, v31
	v_lshlrev_b32_e32 v32, v32, v10
	v_cndmask_b32_e32 v31, v33, v31, vcc_lo
	v_and_b32_e32 v32, 7, v32
	v_lshl_add_u32 v31, v31, 23, 0x3b800000
	v_cndmask_b32_e32 v7, v7, v32, vcc_lo
	v_and_b32_e32 v32, 0x80000000, v34
	v_lshlrev_b32_e32 v7, 20, v7
	v_or3_b32 v7, v32, v31, v7
.LBB6_7675:                             ;   in Loop: Header=BB6_7431 Depth=2
	s_or_b32 exec_lo, exec_lo, s40
	v_add_f32_e32 v7, v4, v7
	v_and_b32_e32 v4, 0x7f800000, v7
	v_cmp_ne_u32_e32 vcc_lo, 0x7f800000, v4
	v_mov_b32_e32 v4, 0x80
	s_and_saveexec_b32 s40, vcc_lo
	s_cbranch_execz .LBB6_7683
; %bb.7676:                             ;   in Loop: Header=BB6_7431 Depth=2
	v_mov_b32_e32 v4, 0
	s_mov_b32 s41, exec_lo
	v_cmpx_ne_u32_e32 0, v7
	s_cbranch_execz .LBB6_7682
; %bb.7677:                             ;   in Loop: Header=BB6_7431 Depth=2
	v_bfe_u32 v4, v7, 23, 8
	v_and_b32_e32 v31, 0x7fffff, v7
	v_sub_nc_u32_e32 v32, 0x78, v4
	v_cmp_gt_u32_e32 vcc_lo, 0x79, v4
	v_or_b32_e32 v33, 0x800000, v31
	v_cndmask_b32_e32 v32, 0, v32, vcc_lo
	v_cmp_eq_u32_e32 vcc_lo, 0, v4
	v_add_nc_u32_e32 v4, 0xffffff89, v4
	v_cndmask_b32_e64 v32, v32, 0x77, vcc_lo
	v_cndmask_b32_e32 v31, v33, v31, vcc_lo
	v_cndmask_b32_e64 v4, v4, 0xffffff8a, vcc_lo
	v_lshl_add_u32 v33, 0x100000, v32, -1
	v_lshrrev_b32_e32 v34, v32, v31
	v_lshlrev_b32_e64 v36, v32, 0x80000
	v_add_nc_u32_e32 v32, v32, v4
	v_and_b32_e32 v31, v33, v31
	v_bfe_u32 v35, v34, 20, 1
	v_cmp_eq_u32_e64 s13, v31, v36
	v_add_nc_u32_e32 v33, -1, v35
	v_cndmask_b32_e64 v31, 0, v33, s13
	v_lshrrev_b32_e32 v33, 23, v34
	s_mov_b32 s13, exec_lo
	v_add_nc_u32_e32 v31, v31, v34
	v_xor_b32_e32 v33, 1, v33
	v_and_b32_e32 v4, 0xfffff, v31
	v_add_nc_u32_e32 v31, v4, v34
                                        ; implicit-def: $vgpr4
	v_cmpx_ne_u32_e64 v32, v33
	s_xor_b32 s13, exec_lo, s13
; %bb.7678:                             ;   in Loop: Header=BB6_7431 Depth=2
	v_cmp_lt_u32_e32 vcc_lo, 0xffffff, v31
	v_sub_nc_u32_e32 v4, v32, v33
	v_cndmask_b32_e64 v32, 0, 1, vcc_lo
	v_add_co_ci_u32_e64 v4, null, 0, v4, vcc_lo
	v_lshrrev_b32_e32 v31, v32, v31
; %bb.7679:                             ;   in Loop: Header=BB6_7431 Depth=2
	s_andn2_saveexec_b32 s13, s13
; %bb.7680:                             ;   in Loop: Header=BB6_7431 Depth=2
	v_bfe_u32 v4, v31, 23, 1
; %bb.7681:                             ;   in Loop: Header=BB6_7431 Depth=2
	s_or_b32 exec_lo, exec_lo, s13
	v_lshrrev_b32_e32 v31, 20, v31
	v_min_i32_e32 v32, 15, v4
	v_cmp_gt_i32_e32 vcc_lo, 16, v4
	v_and_b32_sdwa v7, v7, v102 dst_sel:DWORD dst_unused:UNUSED_PAD src0_sel:BYTE_3 src1_sel:DWORD
	v_lshlrev_b32_e32 v32, 3, v32
	v_cndmask_b32_e32 v31, 7, v31, vcc_lo
	v_and_b32_e32 v32, 0xf8, v32
	v_and_b32_e32 v33, 7, v31
	v_or_b32_e32 v4, v4, v31
	v_or3_b32 v7, v32, v7, v33
	v_cmp_ne_u32_e32 vcc_lo, 0, v4
	v_cndmask_b32_e32 v4, 0, v7, vcc_lo
.LBB6_7682:                             ;   in Loop: Header=BB6_7431 Depth=2
	s_or_b32 exec_lo, exec_lo, s41
.LBB6_7683:                             ;   in Loop: Header=BB6_7431 Depth=2
	s_or_b32 exec_lo, exec_lo, s40
	v_cmp_gt_i16_sdwa s40, v30, v101 src0_sel:BYTE_1 src1_sel:DWORD
	s_mov_b32 s13, 0
	s_and_saveexec_b32 s41, s40
	s_xor_b32 s40, exec_lo, s41
	s_cbranch_execz .LBB6_8017
; %bb.7684:                             ;   in Loop: Header=BB6_7431 Depth=2
	v_cmp_eq_u16_sdwa s42, v30, v102 src0_sel:BYTE_1 src1_sel:DWORD
	s_mov_b32 s13, -1
	s_and_saveexec_b32 s41, s42
; %bb.7685:                             ;   in Loop: Header=BB6_7431 Depth=2
	s_xor_b32 s13, exec_lo, -1
; %bb.7686:                             ;   in Loop: Header=BB6_7431 Depth=2
	s_or_b32 exec_lo, exec_lo, s41
	s_and_b32 s13, s13, exec_lo
	s_or_saveexec_b32 s40, s40
	v_mov_b32_e32 v7, 0x7f800001
	s_xor_b32 exec_lo, exec_lo, s40
	s_cbranch_execnz .LBB6_8018
.LBB6_7687:                             ;   in Loop: Header=BB6_7431 Depth=2
	s_or_b32 exec_lo, exec_lo, s40
	s_and_saveexec_b32 s40, s13
	s_cbranch_execz .LBB6_7689
.LBB6_7688:                             ;   in Loop: Header=BB6_7431 Depth=2
	v_and_b32_sdwa v7, v103, v30 dst_sel:DWORD dst_unused:UNUSED_PAD src0_sel:DWORD src1_sel:BYTE_1
	v_and_b32_e32 v31, 7, v7
	v_bfe_u32 v34, v7, 3, 4
	v_ffbh_u32_e32 v32, v31
	v_cmp_eq_u32_e32 vcc_lo, 0, v34
	v_min_u32_e32 v32, 32, v32
	v_subrev_nc_u32_e32 v33, 28, v32
	v_sub_nc_u32_e32 v32, 29, v32
	v_lshlrev_b32_e32 v7, v33, v7
	v_lshlrev_b32_sdwa v33, v112, v30 dst_sel:DWORD dst_unused:UNUSED_PAD src0_sel:DWORD src1_sel:BYTE_1
	v_cndmask_b32_e32 v32, v34, v32, vcc_lo
	v_and_b32_e32 v7, 7, v7
	v_lshl_add_u32 v32, v32, 23, 0x3b800000
	v_cndmask_b32_e32 v7, v31, v7, vcc_lo
	v_and_b32_e32 v31, 0x80000000, v33
	v_lshlrev_b32_e32 v7, 20, v7
	v_or3_b32 v7, v31, v32, v7
.LBB6_7689:                             ;   in Loop: Header=BB6_7431 Depth=2
	s_or_b32 exec_lo, exec_lo, s40
	v_cmp_gt_i16_sdwa s40, v10, v101 src0_sel:BYTE_1 src1_sel:DWORD
	s_mov_b32 s13, 0
	s_and_saveexec_b32 s41, s40
	s_xor_b32 s40, exec_lo, s41
	s_cbranch_execz .LBB6_8019
; %bb.7690:                             ;   in Loop: Header=BB6_7431 Depth=2
	v_cmp_eq_u16_sdwa s42, v10, v102 src0_sel:BYTE_1 src1_sel:DWORD
	s_mov_b32 s13, -1
	s_and_saveexec_b32 s41, s42
; %bb.7691:                             ;   in Loop: Header=BB6_7431 Depth=2
	s_xor_b32 s13, exec_lo, -1
; %bb.7692:                             ;   in Loop: Header=BB6_7431 Depth=2
	s_or_b32 exec_lo, exec_lo, s41
	s_and_b32 s13, s13, exec_lo
	s_or_saveexec_b32 s40, s40
	v_mov_b32_e32 v31, 0x7f800001
	s_xor_b32 exec_lo, exec_lo, s40
	s_cbranch_execnz .LBB6_8020
.LBB6_7693:                             ;   in Loop: Header=BB6_7431 Depth=2
	s_or_b32 exec_lo, exec_lo, s40
	s_and_saveexec_b32 s40, s13
	s_cbranch_execz .LBB6_7695
.LBB6_7694:                             ;   in Loop: Header=BB6_7431 Depth=2
	v_and_b32_sdwa v31, v103, v10 dst_sel:DWORD dst_unused:UNUSED_PAD src0_sel:DWORD src1_sel:BYTE_1
	v_and_b32_e32 v32, 7, v31
	v_bfe_u32 v35, v31, 3, 4
	v_ffbh_u32_e32 v33, v32
	v_cmp_eq_u32_e32 vcc_lo, 0, v35
	v_min_u32_e32 v33, 32, v33
	v_subrev_nc_u32_e32 v34, 28, v33
	v_sub_nc_u32_e32 v33, 29, v33
	v_lshlrev_b32_e32 v31, v34, v31
	v_lshlrev_b32_sdwa v34, v112, v10 dst_sel:DWORD dst_unused:UNUSED_PAD src0_sel:DWORD src1_sel:BYTE_1
	v_cndmask_b32_e32 v33, v35, v33, vcc_lo
	v_and_b32_e32 v31, 7, v31
	v_lshl_add_u32 v33, v33, 23, 0x3b800000
	v_cndmask_b32_e32 v31, v32, v31, vcc_lo
	v_and_b32_e32 v32, 0x80000000, v34
	v_lshlrev_b32_e32 v31, 20, v31
	v_or3_b32 v31, v32, v33, v31
.LBB6_7695:                             ;   in Loop: Header=BB6_7431 Depth=2
	s_or_b32 exec_lo, exec_lo, s40
	v_add_f32_e32 v31, v7, v31
	v_and_b32_e32 v7, 0x7f800000, v31
	v_cmp_ne_u32_e32 vcc_lo, 0x7f800000, v7
	v_mov_b32_e32 v7, 0x8000
	s_and_saveexec_b32 s40, vcc_lo
	s_cbranch_execz .LBB6_7703
; %bb.7696:                             ;   in Loop: Header=BB6_7431 Depth=2
	v_mov_b32_e32 v7, 0
	s_mov_b32 s41, exec_lo
	v_cmpx_ne_u32_e32 0, v31
	s_cbranch_execz .LBB6_7702
; %bb.7697:                             ;   in Loop: Header=BB6_7431 Depth=2
	v_bfe_u32 v7, v31, 23, 8
	v_and_b32_e32 v32, 0x7fffff, v31
	v_sub_nc_u32_e32 v33, 0x78, v7
	v_cmp_gt_u32_e32 vcc_lo, 0x79, v7
	v_or_b32_e32 v34, 0x800000, v32
	v_cndmask_b32_e32 v33, 0, v33, vcc_lo
	v_cmp_eq_u32_e32 vcc_lo, 0, v7
	v_add_nc_u32_e32 v7, 0xffffff89, v7
	v_cndmask_b32_e64 v33, v33, 0x77, vcc_lo
	v_cndmask_b32_e32 v32, v34, v32, vcc_lo
	v_cndmask_b32_e64 v7, v7, 0xffffff8a, vcc_lo
	v_lshl_add_u32 v34, 0x100000, v33, -1
	v_lshrrev_b32_e32 v35, v33, v32
	v_lshlrev_b32_e64 v37, v33, 0x80000
	v_add_nc_u32_e32 v33, v33, v7
	v_and_b32_e32 v32, v34, v32
	v_bfe_u32 v36, v35, 20, 1
	v_cmp_eq_u32_e64 s13, v32, v37
	v_add_nc_u32_e32 v34, -1, v36
	v_cndmask_b32_e64 v32, 0, v34, s13
	v_lshrrev_b32_e32 v34, 23, v35
	s_mov_b32 s13, exec_lo
	v_add_nc_u32_e32 v32, v32, v35
	v_xor_b32_e32 v34, 1, v34
	v_and_b32_e32 v7, 0xfffff, v32
	v_add_nc_u32_e32 v32, v7, v35
                                        ; implicit-def: $vgpr7
	v_cmpx_ne_u32_e64 v33, v34
	s_xor_b32 s13, exec_lo, s13
; %bb.7698:                             ;   in Loop: Header=BB6_7431 Depth=2
	v_cmp_lt_u32_e32 vcc_lo, 0xffffff, v32
	v_sub_nc_u32_e32 v7, v33, v34
	v_cndmask_b32_e64 v33, 0, 1, vcc_lo
	v_add_co_ci_u32_e64 v7, null, 0, v7, vcc_lo
	v_lshrrev_b32_e32 v32, v33, v32
; %bb.7699:                             ;   in Loop: Header=BB6_7431 Depth=2
	s_andn2_saveexec_b32 s13, s13
; %bb.7700:                             ;   in Loop: Header=BB6_7431 Depth=2
	v_bfe_u32 v7, v32, 23, 1
; %bb.7701:                             ;   in Loop: Header=BB6_7431 Depth=2
	s_or_b32 exec_lo, exec_lo, s13
	v_lshrrev_b32_e32 v32, 20, v32
	v_min_i32_e32 v33, 15, v7
	v_cmp_gt_i32_e32 vcc_lo, 16, v7
	v_and_b32_sdwa v31, v31, v102 dst_sel:DWORD dst_unused:UNUSED_PAD src0_sel:BYTE_3 src1_sel:DWORD
	v_lshlrev_b32_e32 v33, 3, v33
	v_cndmask_b32_e32 v32, 7, v32, vcc_lo
	v_and_b32_e32 v33, 0xf8, v33
	v_and_b32_e32 v34, 7, v32
	v_or_b32_e32 v7, v7, v32
	v_or3_b32 v31, v31, v33, v34
	v_cmp_ne_u32_e32 vcc_lo, 0, v7
	v_lshlrev_b32_e32 v31, 8, v31
	v_cndmask_b32_e32 v7, 0, v31, vcc_lo
.LBB6_7702:                             ;   in Loop: Header=BB6_7431 Depth=2
	s_or_b32 exec_lo, exec_lo, s41
.LBB6_7703:                             ;   in Loop: Header=BB6_7431 Depth=2
	s_or_b32 exec_lo, exec_lo, s40
	v_or_b32_e32 v29, v29, v22
	s_mov_b32 s13, 0
	v_cmp_gt_i16_sdwa s40, v29, v101 src0_sel:BYTE_0 src1_sel:DWORD
	s_and_saveexec_b32 s41, s40
	s_xor_b32 s40, exec_lo, s41
	s_cbranch_execz .LBB6_8021
; %bb.7704:                             ;   in Loop: Header=BB6_7431 Depth=2
	v_cmp_eq_u16_sdwa s42, v29, v102 src0_sel:BYTE_0 src1_sel:DWORD
	s_mov_b32 s13, -1
	s_and_saveexec_b32 s41, s42
; %bb.7705:                             ;   in Loop: Header=BB6_7431 Depth=2
	s_xor_b32 s13, exec_lo, -1
; %bb.7706:                             ;   in Loop: Header=BB6_7431 Depth=2
	s_or_b32 exec_lo, exec_lo, s41
	s_and_b32 s13, s13, exec_lo
	s_or_saveexec_b32 s40, s40
	v_mov_b32_e32 v22, 0x7f800001
	s_xor_b32 exec_lo, exec_lo, s40
	s_cbranch_execnz .LBB6_8022
.LBB6_7707:                             ;   in Loop: Header=BB6_7431 Depth=2
	s_or_b32 exec_lo, exec_lo, s40
	v_lshl_or_b32 v29, v29, 16, v30
	s_and_saveexec_b32 s40, s13
	s_cbranch_execz .LBB6_7709
.LBB6_7708:                             ;   in Loop: Header=BB6_7431 Depth=2
	v_bfe_u32 v22, v29, 16, 3
	v_bfe_u32 v32, v29, 19, 4
	v_lshlrev_b32_e32 v33, 8, v29
	v_ffbh_u32_e32 v30, v22
	v_cmp_eq_u32_e32 vcc_lo, 0, v32
	v_min_u32_e32 v30, 32, v30
	v_subrev_nc_u32_e32 v31, 28, v30
	v_sub_nc_u32_e32 v30, 29, v30
	v_lshlrev_b32_sdwa v31, v31, v29 dst_sel:DWORD dst_unused:UNUSED_PAD src0_sel:DWORD src1_sel:WORD_1
	v_cndmask_b32_e32 v30, v32, v30, vcc_lo
	v_and_b32_e32 v31, 7, v31
	v_lshl_add_u32 v30, v30, 23, 0x3b800000
	v_cndmask_b32_e32 v22, v22, v31, vcc_lo
	v_and_b32_e32 v31, 0x80000000, v33
	v_lshlrev_b32_e32 v22, 20, v22
	v_or3_b32 v22, v31, v30, v22
.LBB6_7709:                             ;   in Loop: Header=BB6_7431 Depth=2
	s_or_b32 exec_lo, exec_lo, s40
	v_and_b32_sdwa v31, v10, v113 dst_sel:DWORD dst_unused:UNUSED_PAD src0_sel:WORD_1 src1_sel:DWORD
	s_mov_b32 s13, 0
	s_mov_b32 s40, exec_lo
	v_cmpx_lt_i16_e32 0x7f, v31
	s_xor_b32 s40, exec_lo, s40
	s_cbranch_execz .LBB6_8023
; %bb.7710:                             ;   in Loop: Header=BB6_7431 Depth=2
	s_mov_b32 s13, -1
	s_mov_b32 s41, exec_lo
	v_cmpx_eq_u16_e32 0x80, v31
; %bb.7711:                             ;   in Loop: Header=BB6_7431 Depth=2
	s_xor_b32 s13, exec_lo, -1
; %bb.7712:                             ;   in Loop: Header=BB6_7431 Depth=2
	s_or_b32 exec_lo, exec_lo, s41
	s_and_b32 s13, s13, exec_lo
                                        ; implicit-def: $vgpr31
	s_or_saveexec_b32 s40, s40
	v_mov_b32_e32 v30, 0x7f800001
	s_xor_b32 exec_lo, exec_lo, s40
	s_cbranch_execnz .LBB6_8024
.LBB6_7713:                             ;   in Loop: Header=BB6_7431 Depth=2
	s_or_b32 exec_lo, exec_lo, s40
	s_and_saveexec_b32 s40, s13
	s_cbranch_execz .LBB6_7715
.LBB6_7714:                             ;   in Loop: Header=BB6_7431 Depth=2
	v_and_b32_sdwa v30, v10, v114 dst_sel:DWORD dst_unused:UNUSED_PAD src0_sel:WORD_1 src1_sel:DWORD
	v_bfe_u32 v33, v10, 19, 4
	v_lshlrev_b32_sdwa v34, v112, v10 dst_sel:DWORD dst_unused:UNUSED_PAD src0_sel:DWORD src1_sel:WORD_1
	v_ffbh_u32_e32 v31, v30
	v_cmp_eq_u32_e32 vcc_lo, 0, v33
	v_min_u32_e32 v31, 32, v31
	v_subrev_nc_u32_e32 v32, 28, v31
	v_sub_nc_u32_e32 v31, 29, v31
	v_lshlrev_b32_sdwa v32, v32, v10 dst_sel:DWORD dst_unused:UNUSED_PAD src0_sel:DWORD src1_sel:WORD_1
	v_cndmask_b32_e32 v31, v33, v31, vcc_lo
	v_and_b32_e32 v32, 7, v32
	v_lshl_add_u32 v31, v31, 23, 0x3b800000
	v_cndmask_b32_e32 v30, v30, v32, vcc_lo
	v_and_b32_e32 v32, 0x80000000, v34
	v_lshlrev_b32_e32 v30, 20, v30
	v_or3_b32 v30, v32, v31, v30
.LBB6_7715:                             ;   in Loop: Header=BB6_7431 Depth=2
	s_or_b32 exec_lo, exec_lo, s40
	v_add_f32_e32 v30, v22, v30
	v_and_b32_e32 v22, 0x7f800000, v30
	v_cmp_ne_u32_e32 vcc_lo, 0x7f800000, v22
	v_mov_b32_e32 v22, 0x80
	s_and_saveexec_b32 s40, vcc_lo
	s_cbranch_execz .LBB6_7723
; %bb.7716:                             ;   in Loop: Header=BB6_7431 Depth=2
	v_mov_b32_e32 v22, 0
	s_mov_b32 s41, exec_lo
	v_cmpx_ne_u32_e32 0, v30
	s_cbranch_execz .LBB6_7722
; %bb.7717:                             ;   in Loop: Header=BB6_7431 Depth=2
	v_bfe_u32 v22, v30, 23, 8
	v_and_b32_e32 v31, 0x7fffff, v30
	v_sub_nc_u32_e32 v32, 0x78, v22
	v_cmp_gt_u32_e32 vcc_lo, 0x79, v22
	v_or_b32_e32 v33, 0x800000, v31
	v_cndmask_b32_e32 v32, 0, v32, vcc_lo
	v_cmp_eq_u32_e32 vcc_lo, 0, v22
	v_add_nc_u32_e32 v22, 0xffffff89, v22
	v_cndmask_b32_e64 v32, v32, 0x77, vcc_lo
	v_cndmask_b32_e32 v31, v33, v31, vcc_lo
	v_cndmask_b32_e64 v22, v22, 0xffffff8a, vcc_lo
	v_lshl_add_u32 v33, 0x100000, v32, -1
	v_lshrrev_b32_e32 v34, v32, v31
	v_lshlrev_b32_e64 v36, v32, 0x80000
	v_add_nc_u32_e32 v32, v32, v22
	v_and_b32_e32 v31, v33, v31
	v_bfe_u32 v35, v34, 20, 1
	v_cmp_eq_u32_e64 s13, v31, v36
	v_add_nc_u32_e32 v33, -1, v35
	v_cndmask_b32_e64 v31, 0, v33, s13
	v_lshrrev_b32_e32 v33, 23, v34
	s_mov_b32 s13, exec_lo
	v_add_nc_u32_e32 v31, v31, v34
	v_xor_b32_e32 v33, 1, v33
	v_and_b32_e32 v22, 0xfffff, v31
	v_add_nc_u32_e32 v31, v22, v34
                                        ; implicit-def: $vgpr22
	v_cmpx_ne_u32_e64 v32, v33
	s_xor_b32 s13, exec_lo, s13
; %bb.7718:                             ;   in Loop: Header=BB6_7431 Depth=2
	v_cmp_lt_u32_e32 vcc_lo, 0xffffff, v31
	v_sub_nc_u32_e32 v22, v32, v33
	v_cndmask_b32_e64 v32, 0, 1, vcc_lo
	v_add_co_ci_u32_e64 v22, null, 0, v22, vcc_lo
	v_lshrrev_b32_e32 v31, v32, v31
; %bb.7719:                             ;   in Loop: Header=BB6_7431 Depth=2
	s_andn2_saveexec_b32 s13, s13
; %bb.7720:                             ;   in Loop: Header=BB6_7431 Depth=2
	v_bfe_u32 v22, v31, 23, 1
; %bb.7721:                             ;   in Loop: Header=BB6_7431 Depth=2
	s_or_b32 exec_lo, exec_lo, s13
	v_lshrrev_b32_e32 v31, 20, v31
	v_min_i32_e32 v32, 15, v22
	v_cmp_gt_i32_e32 vcc_lo, 16, v22
	v_and_b32_sdwa v30, v30, v102 dst_sel:DWORD dst_unused:UNUSED_PAD src0_sel:BYTE_3 src1_sel:DWORD
	v_lshlrev_b32_e32 v32, 3, v32
	v_cndmask_b32_e32 v31, 7, v31, vcc_lo
	v_and_b32_e32 v32, 0xf8, v32
	v_and_b32_e32 v33, 7, v31
	v_or_b32_e32 v22, v22, v31
	v_or3_b32 v30, v32, v30, v33
	v_cmp_ne_u32_e32 vcc_lo, 0, v22
	v_cndmask_b32_e32 v22, 0, v30, vcc_lo
.LBB6_7722:                             ;   in Loop: Header=BB6_7431 Depth=2
	s_or_b32 exec_lo, exec_lo, s41
.LBB6_7723:                             ;   in Loop: Header=BB6_7431 Depth=2
	s_or_b32 exec_lo, exec_lo, s40
	v_cmp_gt_i16_sdwa s40, v29, v101 src0_sel:BYTE_3 src1_sel:DWORD
	s_mov_b32 s13, 0
	s_and_saveexec_b32 s41, s40
	s_xor_b32 s40, exec_lo, s41
	s_cbranch_execz .LBB6_8025
; %bb.7724:                             ;   in Loop: Header=BB6_7431 Depth=2
	v_cmp_eq_u16_sdwa s42, v29, v102 src0_sel:BYTE_3 src1_sel:DWORD
	s_mov_b32 s13, -1
	s_and_saveexec_b32 s41, s42
; %bb.7725:                             ;   in Loop: Header=BB6_7431 Depth=2
	s_xor_b32 s13, exec_lo, -1
; %bb.7726:                             ;   in Loop: Header=BB6_7431 Depth=2
	s_or_b32 exec_lo, exec_lo, s41
	s_and_b32 s13, s13, exec_lo
	s_or_saveexec_b32 s40, s40
	v_mov_b32_e32 v30, 0x7f800001
	s_xor_b32 exec_lo, exec_lo, s40
	s_cbranch_execnz .LBB6_8026
.LBB6_7727:                             ;   in Loop: Header=BB6_7431 Depth=2
	s_or_b32 exec_lo, exec_lo, s40
	s_and_saveexec_b32 s40, s13
	s_cbranch_execz .LBB6_7729
.LBB6_7728:                             ;   in Loop: Header=BB6_7431 Depth=2
	v_bfe_u32 v30, v29, 24, 3
	v_bfe_u32 v33, v29, 27, 4
	v_ffbh_u32_e32 v31, v30
	v_cmp_eq_u32_e32 vcc_lo, 0, v33
	v_min_u32_e32 v31, 32, v31
	v_subrev_nc_u32_e32 v32, 28, v31
	v_sub_nc_u32_e32 v31, 29, v31
	v_lshlrev_b32_sdwa v32, v32, v29 dst_sel:DWORD dst_unused:UNUSED_PAD src0_sel:DWORD src1_sel:BYTE_3
	v_cndmask_b32_e32 v31, v33, v31, vcc_lo
	v_and_b32_e32 v29, 0x80000000, v29
	v_and_b32_e32 v32, 7, v32
	v_lshl_add_u32 v31, v31, 23, 0x3b800000
	v_cndmask_b32_e32 v30, v30, v32, vcc_lo
	v_lshlrev_b32_e32 v30, 20, v30
	v_or3_b32 v30, v29, v31, v30
.LBB6_7729:                             ;   in Loop: Header=BB6_7431 Depth=2
	s_or_b32 exec_lo, exec_lo, s40
	v_cmp_gt_i16_sdwa s40, v10, v101 src0_sel:BYTE_3 src1_sel:DWORD
	s_mov_b32 s13, 0
	s_and_saveexec_b32 s41, s40
	s_xor_b32 s40, exec_lo, s41
	s_cbranch_execz .LBB6_8027
; %bb.7730:                             ;   in Loop: Header=BB6_7431 Depth=2
	v_cmp_eq_u16_sdwa s42, v10, v102 src0_sel:BYTE_3 src1_sel:DWORD
	s_mov_b32 s13, -1
	s_and_saveexec_b32 s41, s42
; %bb.7731:                             ;   in Loop: Header=BB6_7431 Depth=2
	s_xor_b32 s13, exec_lo, -1
; %bb.7732:                             ;   in Loop: Header=BB6_7431 Depth=2
	s_or_b32 exec_lo, exec_lo, s41
	s_and_b32 s13, s13, exec_lo
	s_or_saveexec_b32 s40, s40
	v_mov_b32_e32 v29, 0x7f800001
	s_xor_b32 exec_lo, exec_lo, s40
	s_cbranch_execnz .LBB6_8028
.LBB6_7733:                             ;   in Loop: Header=BB6_7431 Depth=2
	s_or_b32 exec_lo, exec_lo, s40
	s_and_saveexec_b32 s40, s13
	s_cbranch_execz .LBB6_7735
.LBB6_7734:                             ;   in Loop: Header=BB6_7431 Depth=2
	v_and_b32_sdwa v29, v10, v114 dst_sel:DWORD dst_unused:UNUSED_PAD src0_sel:BYTE_3 src1_sel:DWORD
	v_bfe_u32 v33, v10, 27, 4
	v_ffbh_u32_e32 v31, v29
	v_cmp_eq_u32_e32 vcc_lo, 0, v33
	v_min_u32_e32 v31, 32, v31
	v_subrev_nc_u32_e32 v32, 28, v31
	v_sub_nc_u32_e32 v31, 29, v31
	v_lshlrev_b32_sdwa v32, v32, v10 dst_sel:DWORD dst_unused:UNUSED_PAD src0_sel:DWORD src1_sel:BYTE_3
	v_cndmask_b32_e32 v31, v33, v31, vcc_lo
	v_and_b32_e32 v10, 0x80000000, v10
	v_and_b32_e32 v32, 7, v32
	v_lshl_add_u32 v31, v31, 23, 0x3b800000
	v_cndmask_b32_e32 v29, v29, v32, vcc_lo
	v_lshlrev_b32_e32 v29, 20, v29
	v_or3_b32 v29, v10, v31, v29
.LBB6_7735:                             ;   in Loop: Header=BB6_7431 Depth=2
	s_or_b32 exec_lo, exec_lo, s40
	v_add_f32_e32 v29, v30, v29
	v_and_b32_e32 v10, 0x7f800000, v29
	v_cmp_ne_u32_e32 vcc_lo, 0x7f800000, v10
	v_mov_b32_e32 v10, 0x8000
	s_and_saveexec_b32 s40, vcc_lo
	s_cbranch_execz .LBB6_7743
; %bb.7736:                             ;   in Loop: Header=BB6_7431 Depth=2
	v_mov_b32_e32 v10, 0
	s_mov_b32 s41, exec_lo
	v_cmpx_ne_u32_e32 0, v29
	s_cbranch_execz .LBB6_7742
; %bb.7737:                             ;   in Loop: Header=BB6_7431 Depth=2
	v_bfe_u32 v10, v29, 23, 8
	v_and_b32_e32 v30, 0x7fffff, v29
	v_sub_nc_u32_e32 v31, 0x78, v10
	v_cmp_gt_u32_e32 vcc_lo, 0x79, v10
	v_or_b32_e32 v32, 0x800000, v30
	v_cndmask_b32_e32 v31, 0, v31, vcc_lo
	v_cmp_eq_u32_e32 vcc_lo, 0, v10
	v_add_nc_u32_e32 v10, 0xffffff89, v10
	v_cndmask_b32_e64 v31, v31, 0x77, vcc_lo
	v_cndmask_b32_e32 v30, v32, v30, vcc_lo
	v_cndmask_b32_e64 v10, v10, 0xffffff8a, vcc_lo
	v_lshl_add_u32 v32, 0x100000, v31, -1
	v_lshrrev_b32_e32 v33, v31, v30
	v_lshlrev_b32_e64 v35, v31, 0x80000
	v_add_nc_u32_e32 v31, v31, v10
	v_and_b32_e32 v30, v32, v30
	v_bfe_u32 v34, v33, 20, 1
	v_cmp_eq_u32_e64 s13, v30, v35
	v_add_nc_u32_e32 v32, -1, v34
	v_cndmask_b32_e64 v30, 0, v32, s13
	v_lshrrev_b32_e32 v32, 23, v33
	s_mov_b32 s13, exec_lo
	v_add_nc_u32_e32 v30, v30, v33
	v_xor_b32_e32 v32, 1, v32
	v_and_b32_e32 v10, 0xfffff, v30
	v_add_nc_u32_e32 v30, v10, v33
                                        ; implicit-def: $vgpr10
	v_cmpx_ne_u32_e64 v31, v32
	s_xor_b32 s13, exec_lo, s13
; %bb.7738:                             ;   in Loop: Header=BB6_7431 Depth=2
	v_cmp_lt_u32_e32 vcc_lo, 0xffffff, v30
	v_sub_nc_u32_e32 v10, v31, v32
	v_cndmask_b32_e64 v31, 0, 1, vcc_lo
	v_add_co_ci_u32_e64 v10, null, 0, v10, vcc_lo
	v_lshrrev_b32_e32 v30, v31, v30
; %bb.7739:                             ;   in Loop: Header=BB6_7431 Depth=2
	s_andn2_saveexec_b32 s13, s13
; %bb.7740:                             ;   in Loop: Header=BB6_7431 Depth=2
	v_bfe_u32 v10, v30, 23, 1
; %bb.7741:                             ;   in Loop: Header=BB6_7431 Depth=2
	s_or_b32 exec_lo, exec_lo, s13
	v_lshrrev_b32_e32 v30, 20, v30
	v_min_i32_e32 v31, 15, v10
	v_cmp_gt_i32_e32 vcc_lo, 16, v10
	v_and_b32_sdwa v29, v29, v102 dst_sel:DWORD dst_unused:UNUSED_PAD src0_sel:BYTE_3 src1_sel:DWORD
	v_lshlrev_b32_e32 v31, 3, v31
	v_cndmask_b32_e32 v30, 7, v30, vcc_lo
	v_and_b32_e32 v31, 0xf8, v31
	v_and_b32_e32 v32, 7, v30
	v_or_b32_e32 v10, v10, v30
	v_or3_b32 v29, v29, v31, v32
	v_cmp_ne_u32_e32 vcc_lo, 0, v10
	v_lshlrev_b32_e32 v29, 8, v29
	v_cndmask_b32_e32 v10, 0, v29, vcc_lo
.LBB6_7742:                             ;   in Loop: Header=BB6_7431 Depth=2
	s_or_b32 exec_lo, exec_lo, s41
.LBB6_7743:                             ;   in Loop: Header=BB6_7431 Depth=2
	s_or_b32 exec_lo, exec_lo, s40
	v_or_b32_e32 v29, v28, v26
	s_mov_b32 s13, 0
	v_cmp_gt_i16_sdwa s40, v29, v101 src0_sel:BYTE_0 src1_sel:DWORD
	s_and_saveexec_b32 s41, s40
	s_xor_b32 s40, exec_lo, s41
	s_cbranch_execz .LBB6_8029
; %bb.7744:                             ;   in Loop: Header=BB6_7431 Depth=2
	v_cmp_eq_u16_sdwa s42, v29, v102 src0_sel:BYTE_0 src1_sel:DWORD
	s_mov_b32 s13, -1
	s_and_saveexec_b32 s41, s42
; %bb.7745:                             ;   in Loop: Header=BB6_7431 Depth=2
	s_xor_b32 s13, exec_lo, -1
; %bb.7746:                             ;   in Loop: Header=BB6_7431 Depth=2
	s_or_b32 exec_lo, exec_lo, s41
	s_and_b32 s13, s13, exec_lo
	s_or_saveexec_b32 s40, s40
	v_mov_b32_e32 v26, 0x7f800001
	s_xor_b32 exec_lo, exec_lo, s40
	s_cbranch_execnz .LBB6_8030
.LBB6_7747:                             ;   in Loop: Header=BB6_7431 Depth=2
	s_or_b32 exec_lo, exec_lo, s40
	s_and_saveexec_b32 s40, s13
	s_cbranch_execz .LBB6_7749
.LBB6_7748:                             ;   in Loop: Header=BB6_7431 Depth=2
	v_and_b32_e32 v26, 7, v29
	v_bfe_u32 v31, v29, 3, 4
	v_lshlrev_b32_e32 v32, 24, v29
	v_ffbh_u32_e32 v28, v26
	v_cmp_eq_u32_e32 vcc_lo, 0, v31
	v_min_u32_e32 v28, 32, v28
	v_subrev_nc_u32_e32 v30, 28, v28
	v_sub_nc_u32_e32 v28, 29, v28
	v_lshlrev_b32_e32 v30, v30, v29
	v_cndmask_b32_e32 v28, v31, v28, vcc_lo
	v_and_b32_e32 v30, 7, v30
	v_lshl_add_u32 v28, v28, 23, 0x3b800000
	v_cndmask_b32_e32 v26, v26, v30, vcc_lo
	v_and_b32_e32 v30, 0x80000000, v32
	v_lshlrev_b32_e32 v26, 20, v26
	v_or3_b32 v26, v30, v28, v26
.LBB6_7749:                             ;   in Loop: Header=BB6_7431 Depth=2
	s_or_b32 exec_lo, exec_lo, s40
	v_cmp_gt_i16_sdwa s40, v11, v101 src0_sel:BYTE_0 src1_sel:DWORD
	s_mov_b32 s13, 0
	s_and_saveexec_b32 s41, s40
	s_xor_b32 s40, exec_lo, s41
	s_cbranch_execz .LBB6_8031
; %bb.7750:                             ;   in Loop: Header=BB6_7431 Depth=2
	v_cmp_eq_u16_sdwa s42, v11, v102 src0_sel:BYTE_0 src1_sel:DWORD
	s_mov_b32 s13, -1
	s_and_saveexec_b32 s41, s42
; %bb.7751:                             ;   in Loop: Header=BB6_7431 Depth=2
	s_xor_b32 s13, exec_lo, -1
; %bb.7752:                             ;   in Loop: Header=BB6_7431 Depth=2
	s_or_b32 exec_lo, exec_lo, s41
	s_and_b32 s13, s13, exec_lo
	s_or_saveexec_b32 s40, s40
	v_mov_b32_e32 v28, 0x7f800001
	s_xor_b32 exec_lo, exec_lo, s40
	s_cbranch_execnz .LBB6_8032
.LBB6_7753:                             ;   in Loop: Header=BB6_7431 Depth=2
	s_or_b32 exec_lo, exec_lo, s40
	s_and_saveexec_b32 s40, s13
	s_cbranch_execz .LBB6_7755
.LBB6_7754:                             ;   in Loop: Header=BB6_7431 Depth=2
	v_and_b32_e32 v28, 7, v11
	v_bfe_u32 v32, v11, 3, 4
	v_lshlrev_b32_e32 v33, 24, v11
	v_ffbh_u32_e32 v30, v28
	v_cmp_eq_u32_e32 vcc_lo, 0, v32
	v_min_u32_e32 v30, 32, v30
	v_subrev_nc_u32_e32 v31, 28, v30
	v_sub_nc_u32_e32 v30, 29, v30
	v_lshlrev_b32_e32 v31, v31, v11
	v_cndmask_b32_e32 v30, v32, v30, vcc_lo
	v_and_b32_e32 v31, 7, v31
	v_lshl_add_u32 v30, v30, 23, 0x3b800000
	v_cndmask_b32_e32 v28, v28, v31, vcc_lo
	v_and_b32_e32 v31, 0x80000000, v33
	v_lshlrev_b32_e32 v28, 20, v28
	v_or3_b32 v28, v31, v30, v28
.LBB6_7755:                             ;   in Loop: Header=BB6_7431 Depth=2
	s_or_b32 exec_lo, exec_lo, s40
	v_add_f32_e32 v28, v26, v28
	v_and_b32_e32 v26, 0x7f800000, v28
	v_cmp_ne_u32_e32 vcc_lo, 0x7f800000, v26
	v_mov_b32_e32 v26, 0x80
	s_and_saveexec_b32 s40, vcc_lo
	s_cbranch_execz .LBB6_7763
; %bb.7756:                             ;   in Loop: Header=BB6_7431 Depth=2
	v_mov_b32_e32 v26, 0
	s_mov_b32 s41, exec_lo
	v_cmpx_ne_u32_e32 0, v28
	s_cbranch_execz .LBB6_7762
; %bb.7757:                             ;   in Loop: Header=BB6_7431 Depth=2
	v_bfe_u32 v26, v28, 23, 8
	v_and_b32_e32 v30, 0x7fffff, v28
	v_sub_nc_u32_e32 v31, 0x78, v26
	v_cmp_gt_u32_e32 vcc_lo, 0x79, v26
	v_or_b32_e32 v32, 0x800000, v30
	v_cndmask_b32_e32 v31, 0, v31, vcc_lo
	v_cmp_eq_u32_e32 vcc_lo, 0, v26
	v_add_nc_u32_e32 v26, 0xffffff89, v26
	v_cndmask_b32_e64 v31, v31, 0x77, vcc_lo
	v_cndmask_b32_e32 v30, v32, v30, vcc_lo
	v_cndmask_b32_e64 v26, v26, 0xffffff8a, vcc_lo
	v_lshl_add_u32 v32, 0x100000, v31, -1
	v_lshrrev_b32_e32 v33, v31, v30
	v_lshlrev_b32_e64 v35, v31, 0x80000
	v_add_nc_u32_e32 v31, v31, v26
	v_and_b32_e32 v30, v32, v30
	v_bfe_u32 v34, v33, 20, 1
	v_cmp_eq_u32_e64 s13, v30, v35
	v_add_nc_u32_e32 v32, -1, v34
	v_cndmask_b32_e64 v30, 0, v32, s13
	v_lshrrev_b32_e32 v32, 23, v33
	s_mov_b32 s13, exec_lo
	v_add_nc_u32_e32 v30, v30, v33
	v_xor_b32_e32 v32, 1, v32
	v_and_b32_e32 v26, 0xfffff, v30
	v_add_nc_u32_e32 v30, v26, v33
                                        ; implicit-def: $vgpr26
	v_cmpx_ne_u32_e64 v31, v32
	s_xor_b32 s13, exec_lo, s13
; %bb.7758:                             ;   in Loop: Header=BB6_7431 Depth=2
	v_cmp_lt_u32_e32 vcc_lo, 0xffffff, v30
	v_sub_nc_u32_e32 v26, v31, v32
	v_cndmask_b32_e64 v31, 0, 1, vcc_lo
	v_add_co_ci_u32_e64 v26, null, 0, v26, vcc_lo
	v_lshrrev_b32_e32 v30, v31, v30
; %bb.7759:                             ;   in Loop: Header=BB6_7431 Depth=2
	s_andn2_saveexec_b32 s13, s13
; %bb.7760:                             ;   in Loop: Header=BB6_7431 Depth=2
	v_bfe_u32 v26, v30, 23, 1
; %bb.7761:                             ;   in Loop: Header=BB6_7431 Depth=2
	s_or_b32 exec_lo, exec_lo, s13
	v_lshrrev_b32_e32 v30, 20, v30
	v_min_i32_e32 v31, 15, v26
	v_cmp_gt_i32_e32 vcc_lo, 16, v26
	v_and_b32_sdwa v28, v28, v102 dst_sel:DWORD dst_unused:UNUSED_PAD src0_sel:BYTE_3 src1_sel:DWORD
	v_lshlrev_b32_e32 v31, 3, v31
	v_cndmask_b32_e32 v30, 7, v30, vcc_lo
	v_and_b32_e32 v31, 0xf8, v31
	v_and_b32_e32 v32, 7, v30
	v_or_b32_e32 v26, v26, v30
	v_or3_b32 v28, v31, v28, v32
	v_cmp_ne_u32_e32 vcc_lo, 0, v26
	v_cndmask_b32_e32 v26, 0, v28, vcc_lo
.LBB6_7762:                             ;   in Loop: Header=BB6_7431 Depth=2
	s_or_b32 exec_lo, exec_lo, s41
.LBB6_7763:                             ;   in Loop: Header=BB6_7431 Depth=2
	s_or_b32 exec_lo, exec_lo, s40
	v_cmp_gt_i16_sdwa s40, v29, v101 src0_sel:BYTE_1 src1_sel:DWORD
	s_mov_b32 s13, 0
	s_and_saveexec_b32 s41, s40
	s_xor_b32 s40, exec_lo, s41
	s_cbranch_execz .LBB6_8033
; %bb.7764:                             ;   in Loop: Header=BB6_7431 Depth=2
	v_cmp_eq_u16_sdwa s42, v29, v102 src0_sel:BYTE_1 src1_sel:DWORD
	s_mov_b32 s13, -1
	s_and_saveexec_b32 s41, s42
; %bb.7765:                             ;   in Loop: Header=BB6_7431 Depth=2
	s_xor_b32 s13, exec_lo, -1
; %bb.7766:                             ;   in Loop: Header=BB6_7431 Depth=2
	s_or_b32 exec_lo, exec_lo, s41
	s_and_b32 s13, s13, exec_lo
	s_or_saveexec_b32 s40, s40
	v_mov_b32_e32 v28, 0x7f800001
	s_xor_b32 exec_lo, exec_lo, s40
	s_cbranch_execnz .LBB6_8034
.LBB6_7767:                             ;   in Loop: Header=BB6_7431 Depth=2
	s_or_b32 exec_lo, exec_lo, s40
	s_and_saveexec_b32 s40, s13
	s_cbranch_execz .LBB6_7769
.LBB6_7768:                             ;   in Loop: Header=BB6_7431 Depth=2
	v_and_b32_sdwa v28, v103, v29 dst_sel:DWORD dst_unused:UNUSED_PAD src0_sel:DWORD src1_sel:BYTE_1
	v_and_b32_e32 v30, 7, v28
	v_bfe_u32 v33, v28, 3, 4
	v_ffbh_u32_e32 v31, v30
	v_cmp_eq_u32_e32 vcc_lo, 0, v33
	v_min_u32_e32 v31, 32, v31
	v_subrev_nc_u32_e32 v32, 28, v31
	v_sub_nc_u32_e32 v31, 29, v31
	v_lshlrev_b32_e32 v28, v32, v28
	v_lshlrev_b32_sdwa v32, v112, v29 dst_sel:DWORD dst_unused:UNUSED_PAD src0_sel:DWORD src1_sel:BYTE_1
	v_cndmask_b32_e32 v31, v33, v31, vcc_lo
	v_and_b32_e32 v28, 7, v28
	v_lshl_add_u32 v31, v31, 23, 0x3b800000
	v_cndmask_b32_e32 v28, v30, v28, vcc_lo
	v_and_b32_e32 v30, 0x80000000, v32
	v_lshlrev_b32_e32 v28, 20, v28
	v_or3_b32 v28, v30, v31, v28
.LBB6_7769:                             ;   in Loop: Header=BB6_7431 Depth=2
	s_or_b32 exec_lo, exec_lo, s40
	v_cmp_gt_i16_sdwa s40, v11, v101 src0_sel:BYTE_1 src1_sel:DWORD
	s_mov_b32 s13, 0
	s_and_saveexec_b32 s41, s40
	s_xor_b32 s40, exec_lo, s41
	s_cbranch_execz .LBB6_8035
; %bb.7770:                             ;   in Loop: Header=BB6_7431 Depth=2
	v_cmp_eq_u16_sdwa s42, v11, v102 src0_sel:BYTE_1 src1_sel:DWORD
	s_mov_b32 s13, -1
	s_and_saveexec_b32 s41, s42
; %bb.7771:                             ;   in Loop: Header=BB6_7431 Depth=2
	s_xor_b32 s13, exec_lo, -1
; %bb.7772:                             ;   in Loop: Header=BB6_7431 Depth=2
	s_or_b32 exec_lo, exec_lo, s41
	s_and_b32 s13, s13, exec_lo
	s_or_saveexec_b32 s40, s40
	v_mov_b32_e32 v30, 0x7f800001
	s_xor_b32 exec_lo, exec_lo, s40
	s_cbranch_execnz .LBB6_8036
.LBB6_7773:                             ;   in Loop: Header=BB6_7431 Depth=2
	s_or_b32 exec_lo, exec_lo, s40
	s_and_saveexec_b32 s40, s13
	s_cbranch_execz .LBB6_7775
.LBB6_7774:                             ;   in Loop: Header=BB6_7431 Depth=2
	v_and_b32_sdwa v30, v103, v11 dst_sel:DWORD dst_unused:UNUSED_PAD src0_sel:DWORD src1_sel:BYTE_1
	v_and_b32_e32 v31, 7, v30
	v_bfe_u32 v34, v30, 3, 4
	v_ffbh_u32_e32 v32, v31
	v_cmp_eq_u32_e32 vcc_lo, 0, v34
	v_min_u32_e32 v32, 32, v32
	v_subrev_nc_u32_e32 v33, 28, v32
	v_sub_nc_u32_e32 v32, 29, v32
	v_lshlrev_b32_e32 v30, v33, v30
	v_lshlrev_b32_sdwa v33, v112, v11 dst_sel:DWORD dst_unused:UNUSED_PAD src0_sel:DWORD src1_sel:BYTE_1
	v_cndmask_b32_e32 v32, v34, v32, vcc_lo
	v_and_b32_e32 v30, 7, v30
	v_lshl_add_u32 v32, v32, 23, 0x3b800000
	v_cndmask_b32_e32 v30, v31, v30, vcc_lo
	v_and_b32_e32 v31, 0x80000000, v33
	v_lshlrev_b32_e32 v30, 20, v30
	v_or3_b32 v30, v31, v32, v30
.LBB6_7775:                             ;   in Loop: Header=BB6_7431 Depth=2
	s_or_b32 exec_lo, exec_lo, s40
	v_add_f32_e32 v30, v28, v30
	v_and_b32_e32 v28, 0x7f800000, v30
	v_cmp_ne_u32_e32 vcc_lo, 0x7f800000, v28
	v_mov_b32_e32 v28, 0x8000
	s_and_saveexec_b32 s40, vcc_lo
	s_cbranch_execz .LBB6_7783
; %bb.7776:                             ;   in Loop: Header=BB6_7431 Depth=2
	v_mov_b32_e32 v28, 0
	s_mov_b32 s41, exec_lo
	v_cmpx_ne_u32_e32 0, v30
	s_cbranch_execz .LBB6_7782
; %bb.7777:                             ;   in Loop: Header=BB6_7431 Depth=2
	v_bfe_u32 v28, v30, 23, 8
	v_and_b32_e32 v31, 0x7fffff, v30
	v_sub_nc_u32_e32 v32, 0x78, v28
	v_cmp_gt_u32_e32 vcc_lo, 0x79, v28
	v_or_b32_e32 v33, 0x800000, v31
	v_cndmask_b32_e32 v32, 0, v32, vcc_lo
	v_cmp_eq_u32_e32 vcc_lo, 0, v28
	v_add_nc_u32_e32 v28, 0xffffff89, v28
	v_cndmask_b32_e64 v32, v32, 0x77, vcc_lo
	v_cndmask_b32_e32 v31, v33, v31, vcc_lo
	v_cndmask_b32_e64 v28, v28, 0xffffff8a, vcc_lo
	v_lshl_add_u32 v33, 0x100000, v32, -1
	v_lshrrev_b32_e32 v34, v32, v31
	v_lshlrev_b32_e64 v36, v32, 0x80000
	v_add_nc_u32_e32 v32, v32, v28
	v_and_b32_e32 v31, v33, v31
	v_bfe_u32 v35, v34, 20, 1
	v_cmp_eq_u32_e64 s13, v31, v36
	v_add_nc_u32_e32 v33, -1, v35
	v_cndmask_b32_e64 v31, 0, v33, s13
	v_lshrrev_b32_e32 v33, 23, v34
	s_mov_b32 s13, exec_lo
	v_add_nc_u32_e32 v31, v31, v34
	v_xor_b32_e32 v33, 1, v33
	v_and_b32_e32 v28, 0xfffff, v31
	v_add_nc_u32_e32 v31, v28, v34
                                        ; implicit-def: $vgpr28
	v_cmpx_ne_u32_e64 v32, v33
	s_xor_b32 s13, exec_lo, s13
; %bb.7778:                             ;   in Loop: Header=BB6_7431 Depth=2
	v_cmp_lt_u32_e32 vcc_lo, 0xffffff, v31
	v_sub_nc_u32_e32 v28, v32, v33
	v_cndmask_b32_e64 v32, 0, 1, vcc_lo
	v_add_co_ci_u32_e64 v28, null, 0, v28, vcc_lo
	v_lshrrev_b32_e32 v31, v32, v31
; %bb.7779:                             ;   in Loop: Header=BB6_7431 Depth=2
	s_andn2_saveexec_b32 s13, s13
; %bb.7780:                             ;   in Loop: Header=BB6_7431 Depth=2
	v_bfe_u32 v28, v31, 23, 1
; %bb.7781:                             ;   in Loop: Header=BB6_7431 Depth=2
	s_or_b32 exec_lo, exec_lo, s13
	v_lshrrev_b32_e32 v31, 20, v31
	v_min_i32_e32 v32, 15, v28
	v_cmp_gt_i32_e32 vcc_lo, 16, v28
	v_and_b32_sdwa v30, v30, v102 dst_sel:DWORD dst_unused:UNUSED_PAD src0_sel:BYTE_3 src1_sel:DWORD
	v_lshlrev_b32_e32 v32, 3, v32
	v_cndmask_b32_e32 v31, 7, v31, vcc_lo
	v_and_b32_e32 v32, 0xf8, v32
	v_and_b32_e32 v33, 7, v31
	v_or_b32_e32 v28, v28, v31
	v_or3_b32 v30, v30, v32, v33
	v_cmp_ne_u32_e32 vcc_lo, 0, v28
	v_lshlrev_b32_e32 v30, 8, v30
	v_cndmask_b32_e32 v28, 0, v30, vcc_lo
.LBB6_7782:                             ;   in Loop: Header=BB6_7431 Depth=2
	s_or_b32 exec_lo, exec_lo, s41
.LBB6_7783:                             ;   in Loop: Header=BB6_7431 Depth=2
	s_or_b32 exec_lo, exec_lo, s40
	v_or_b32_e32 v27, v27, v24
	s_mov_b32 s13, 0
	v_cmp_gt_i16_sdwa s40, v27, v101 src0_sel:BYTE_0 src1_sel:DWORD
	s_and_saveexec_b32 s41, s40
	s_xor_b32 s40, exec_lo, s41
	s_cbranch_execz .LBB6_8037
; %bb.7784:                             ;   in Loop: Header=BB6_7431 Depth=2
	v_cmp_eq_u16_sdwa s42, v27, v102 src0_sel:BYTE_0 src1_sel:DWORD
	s_mov_b32 s13, -1
	s_and_saveexec_b32 s41, s42
; %bb.7785:                             ;   in Loop: Header=BB6_7431 Depth=2
	s_xor_b32 s13, exec_lo, -1
; %bb.7786:                             ;   in Loop: Header=BB6_7431 Depth=2
	s_or_b32 exec_lo, exec_lo, s41
	s_and_b32 s13, s13, exec_lo
	s_or_saveexec_b32 s40, s40
	v_mov_b32_e32 v24, 0x7f800001
	s_xor_b32 exec_lo, exec_lo, s40
	s_cbranch_execnz .LBB6_8038
.LBB6_7787:                             ;   in Loop: Header=BB6_7431 Depth=2
	s_or_b32 exec_lo, exec_lo, s40
	v_lshl_or_b32 v27, v27, 16, v29
	s_and_saveexec_b32 s40, s13
	s_cbranch_execz .LBB6_7789
.LBB6_7788:                             ;   in Loop: Header=BB6_7431 Depth=2
	v_bfe_u32 v24, v27, 16, 3
	v_bfe_u32 v31, v27, 19, 4
	v_lshlrev_b32_e32 v32, 8, v27
	v_ffbh_u32_e32 v29, v24
	v_cmp_eq_u32_e32 vcc_lo, 0, v31
	v_min_u32_e32 v29, 32, v29
	v_subrev_nc_u32_e32 v30, 28, v29
	v_sub_nc_u32_e32 v29, 29, v29
	v_lshlrev_b32_sdwa v30, v30, v27 dst_sel:DWORD dst_unused:UNUSED_PAD src0_sel:DWORD src1_sel:WORD_1
	v_cndmask_b32_e32 v29, v31, v29, vcc_lo
	v_and_b32_e32 v30, 7, v30
	v_lshl_add_u32 v29, v29, 23, 0x3b800000
	v_cndmask_b32_e32 v24, v24, v30, vcc_lo
	v_and_b32_e32 v30, 0x80000000, v32
	v_lshlrev_b32_e32 v24, 20, v24
	v_or3_b32 v24, v30, v29, v24
.LBB6_7789:                             ;   in Loop: Header=BB6_7431 Depth=2
	s_or_b32 exec_lo, exec_lo, s40
	v_and_b32_sdwa v30, v11, v113 dst_sel:DWORD dst_unused:UNUSED_PAD src0_sel:WORD_1 src1_sel:DWORD
	s_mov_b32 s13, 0
	s_mov_b32 s40, exec_lo
	v_cmpx_lt_i16_e32 0x7f, v30
	s_xor_b32 s40, exec_lo, s40
	s_cbranch_execz .LBB6_8039
; %bb.7790:                             ;   in Loop: Header=BB6_7431 Depth=2
	s_mov_b32 s13, -1
	s_mov_b32 s41, exec_lo
	v_cmpx_eq_u16_e32 0x80, v30
; %bb.7791:                             ;   in Loop: Header=BB6_7431 Depth=2
	s_xor_b32 s13, exec_lo, -1
; %bb.7792:                             ;   in Loop: Header=BB6_7431 Depth=2
	s_or_b32 exec_lo, exec_lo, s41
	s_and_b32 s13, s13, exec_lo
                                        ; implicit-def: $vgpr30
	s_or_saveexec_b32 s40, s40
	v_mov_b32_e32 v29, 0x7f800001
	s_xor_b32 exec_lo, exec_lo, s40
	s_cbranch_execnz .LBB6_8040
.LBB6_7793:                             ;   in Loop: Header=BB6_7431 Depth=2
	s_or_b32 exec_lo, exec_lo, s40
	s_and_saveexec_b32 s40, s13
	s_cbranch_execz .LBB6_7795
.LBB6_7794:                             ;   in Loop: Header=BB6_7431 Depth=2
	v_and_b32_sdwa v29, v11, v114 dst_sel:DWORD dst_unused:UNUSED_PAD src0_sel:WORD_1 src1_sel:DWORD
	v_bfe_u32 v32, v11, 19, 4
	v_lshlrev_b32_sdwa v33, v112, v11 dst_sel:DWORD dst_unused:UNUSED_PAD src0_sel:DWORD src1_sel:WORD_1
	v_ffbh_u32_e32 v30, v29
	v_cmp_eq_u32_e32 vcc_lo, 0, v32
	v_min_u32_e32 v30, 32, v30
	v_subrev_nc_u32_e32 v31, 28, v30
	v_sub_nc_u32_e32 v30, 29, v30
	v_lshlrev_b32_sdwa v31, v31, v11 dst_sel:DWORD dst_unused:UNUSED_PAD src0_sel:DWORD src1_sel:WORD_1
	v_cndmask_b32_e32 v30, v32, v30, vcc_lo
	v_and_b32_e32 v31, 7, v31
	v_lshl_add_u32 v30, v30, 23, 0x3b800000
	v_cndmask_b32_e32 v29, v29, v31, vcc_lo
	v_and_b32_e32 v31, 0x80000000, v33
	v_lshlrev_b32_e32 v29, 20, v29
	v_or3_b32 v29, v31, v30, v29
.LBB6_7795:                             ;   in Loop: Header=BB6_7431 Depth=2
	s_or_b32 exec_lo, exec_lo, s40
	v_add_f32_e32 v29, v24, v29
	v_and_b32_e32 v24, 0x7f800000, v29
	v_cmp_ne_u32_e32 vcc_lo, 0x7f800000, v24
	v_mov_b32_e32 v24, 0x80
	s_and_saveexec_b32 s40, vcc_lo
	s_cbranch_execz .LBB6_7803
; %bb.7796:                             ;   in Loop: Header=BB6_7431 Depth=2
	v_mov_b32_e32 v24, 0
	s_mov_b32 s41, exec_lo
	v_cmpx_ne_u32_e32 0, v29
	s_cbranch_execz .LBB6_7802
; %bb.7797:                             ;   in Loop: Header=BB6_7431 Depth=2
	v_bfe_u32 v24, v29, 23, 8
	v_and_b32_e32 v30, 0x7fffff, v29
	v_sub_nc_u32_e32 v31, 0x78, v24
	v_cmp_gt_u32_e32 vcc_lo, 0x79, v24
	v_or_b32_e32 v32, 0x800000, v30
	v_cndmask_b32_e32 v31, 0, v31, vcc_lo
	v_cmp_eq_u32_e32 vcc_lo, 0, v24
	v_add_nc_u32_e32 v24, 0xffffff89, v24
	v_cndmask_b32_e64 v31, v31, 0x77, vcc_lo
	v_cndmask_b32_e32 v30, v32, v30, vcc_lo
	v_cndmask_b32_e64 v24, v24, 0xffffff8a, vcc_lo
	v_lshl_add_u32 v32, 0x100000, v31, -1
	v_lshrrev_b32_e32 v33, v31, v30
	v_lshlrev_b32_e64 v35, v31, 0x80000
	v_add_nc_u32_e32 v31, v31, v24
	v_and_b32_e32 v30, v32, v30
	v_bfe_u32 v34, v33, 20, 1
	v_cmp_eq_u32_e64 s13, v30, v35
	v_add_nc_u32_e32 v32, -1, v34
	v_cndmask_b32_e64 v30, 0, v32, s13
	v_lshrrev_b32_e32 v32, 23, v33
	s_mov_b32 s13, exec_lo
	v_add_nc_u32_e32 v30, v30, v33
	v_xor_b32_e32 v32, 1, v32
	v_and_b32_e32 v24, 0xfffff, v30
	v_add_nc_u32_e32 v30, v24, v33
                                        ; implicit-def: $vgpr24
	v_cmpx_ne_u32_e64 v31, v32
	s_xor_b32 s13, exec_lo, s13
; %bb.7798:                             ;   in Loop: Header=BB6_7431 Depth=2
	v_cmp_lt_u32_e32 vcc_lo, 0xffffff, v30
	v_sub_nc_u32_e32 v24, v31, v32
	v_cndmask_b32_e64 v31, 0, 1, vcc_lo
	v_add_co_ci_u32_e64 v24, null, 0, v24, vcc_lo
	v_lshrrev_b32_e32 v30, v31, v30
; %bb.7799:                             ;   in Loop: Header=BB6_7431 Depth=2
	s_andn2_saveexec_b32 s13, s13
; %bb.7800:                             ;   in Loop: Header=BB6_7431 Depth=2
	v_bfe_u32 v24, v30, 23, 1
; %bb.7801:                             ;   in Loop: Header=BB6_7431 Depth=2
	s_or_b32 exec_lo, exec_lo, s13
	v_lshrrev_b32_e32 v30, 20, v30
	v_min_i32_e32 v31, 15, v24
	v_cmp_gt_i32_e32 vcc_lo, 16, v24
	v_and_b32_sdwa v29, v29, v102 dst_sel:DWORD dst_unused:UNUSED_PAD src0_sel:BYTE_3 src1_sel:DWORD
	v_lshlrev_b32_e32 v31, 3, v31
	v_cndmask_b32_e32 v30, 7, v30, vcc_lo
	v_and_b32_e32 v31, 0xf8, v31
	v_and_b32_e32 v32, 7, v30
	v_or_b32_e32 v24, v24, v30
	v_or3_b32 v29, v31, v29, v32
	v_cmp_ne_u32_e32 vcc_lo, 0, v24
	v_cndmask_b32_e32 v24, 0, v29, vcc_lo
.LBB6_7802:                             ;   in Loop: Header=BB6_7431 Depth=2
	s_or_b32 exec_lo, exec_lo, s41
.LBB6_7803:                             ;   in Loop: Header=BB6_7431 Depth=2
	s_or_b32 exec_lo, exec_lo, s40
	v_cmp_gt_i16_sdwa s40, v27, v101 src0_sel:BYTE_3 src1_sel:DWORD
	s_mov_b32 s13, 0
	s_and_saveexec_b32 s41, s40
	s_xor_b32 s40, exec_lo, s41
	s_cbranch_execz .LBB6_8041
; %bb.7804:                             ;   in Loop: Header=BB6_7431 Depth=2
	v_cmp_eq_u16_sdwa s42, v27, v102 src0_sel:BYTE_3 src1_sel:DWORD
	s_mov_b32 s13, -1
	s_and_saveexec_b32 s41, s42
; %bb.7805:                             ;   in Loop: Header=BB6_7431 Depth=2
	s_xor_b32 s13, exec_lo, -1
; %bb.7806:                             ;   in Loop: Header=BB6_7431 Depth=2
	s_or_b32 exec_lo, exec_lo, s41
	s_and_b32 s13, s13, exec_lo
	s_or_saveexec_b32 s40, s40
	v_mov_b32_e32 v29, 0x7f800001
	s_xor_b32 exec_lo, exec_lo, s40
	s_cbranch_execnz .LBB6_8042
.LBB6_7807:                             ;   in Loop: Header=BB6_7431 Depth=2
	s_or_b32 exec_lo, exec_lo, s40
	s_and_saveexec_b32 s40, s13
	s_cbranch_execz .LBB6_7809
.LBB6_7808:                             ;   in Loop: Header=BB6_7431 Depth=2
	v_bfe_u32 v29, v27, 24, 3
	v_bfe_u32 v32, v27, 27, 4
	v_ffbh_u32_e32 v30, v29
	v_cmp_eq_u32_e32 vcc_lo, 0, v32
	v_min_u32_e32 v30, 32, v30
	v_subrev_nc_u32_e32 v31, 28, v30
	v_sub_nc_u32_e32 v30, 29, v30
	v_lshlrev_b32_sdwa v31, v31, v27 dst_sel:DWORD dst_unused:UNUSED_PAD src0_sel:DWORD src1_sel:BYTE_3
	v_cndmask_b32_e32 v30, v32, v30, vcc_lo
	v_and_b32_e32 v27, 0x80000000, v27
	v_and_b32_e32 v31, 7, v31
	v_lshl_add_u32 v30, v30, 23, 0x3b800000
	v_cndmask_b32_e32 v29, v29, v31, vcc_lo
	v_lshlrev_b32_e32 v29, 20, v29
	v_or3_b32 v29, v27, v30, v29
.LBB6_7809:                             ;   in Loop: Header=BB6_7431 Depth=2
	s_or_b32 exec_lo, exec_lo, s40
	v_cmp_gt_i16_sdwa s40, v11, v101 src0_sel:BYTE_3 src1_sel:DWORD
	s_mov_b32 s13, 0
	s_and_saveexec_b32 s41, s40
	s_xor_b32 s40, exec_lo, s41
	s_cbranch_execz .LBB6_8043
; %bb.7810:                             ;   in Loop: Header=BB6_7431 Depth=2
	v_cmp_eq_u16_sdwa s42, v11, v102 src0_sel:BYTE_3 src1_sel:DWORD
	s_mov_b32 s13, -1
	s_and_saveexec_b32 s41, s42
; %bb.7811:                             ;   in Loop: Header=BB6_7431 Depth=2
	s_xor_b32 s13, exec_lo, -1
; %bb.7812:                             ;   in Loop: Header=BB6_7431 Depth=2
	s_or_b32 exec_lo, exec_lo, s41
	s_and_b32 s13, s13, exec_lo
	s_or_saveexec_b32 s40, s40
	v_mov_b32_e32 v27, 0x7f800001
	s_xor_b32 exec_lo, exec_lo, s40
	s_cbranch_execnz .LBB6_8044
.LBB6_7813:                             ;   in Loop: Header=BB6_7431 Depth=2
	s_or_b32 exec_lo, exec_lo, s40
	s_and_saveexec_b32 s40, s13
	s_cbranch_execz .LBB6_7815
.LBB6_7814:                             ;   in Loop: Header=BB6_7431 Depth=2
	v_and_b32_sdwa v27, v11, v114 dst_sel:DWORD dst_unused:UNUSED_PAD src0_sel:BYTE_3 src1_sel:DWORD
	v_bfe_u32 v32, v11, 27, 4
	v_ffbh_u32_e32 v30, v27
	v_cmp_eq_u32_e32 vcc_lo, 0, v32
	v_min_u32_e32 v30, 32, v30
	v_subrev_nc_u32_e32 v31, 28, v30
	v_sub_nc_u32_e32 v30, 29, v30
	v_lshlrev_b32_sdwa v31, v31, v11 dst_sel:DWORD dst_unused:UNUSED_PAD src0_sel:DWORD src1_sel:BYTE_3
	v_cndmask_b32_e32 v30, v32, v30, vcc_lo
	v_and_b32_e32 v11, 0x80000000, v11
	v_and_b32_e32 v31, 7, v31
	v_lshl_add_u32 v30, v30, 23, 0x3b800000
	v_cndmask_b32_e32 v27, v27, v31, vcc_lo
	v_lshlrev_b32_e32 v27, 20, v27
	v_or3_b32 v27, v11, v30, v27
.LBB6_7815:                             ;   in Loop: Header=BB6_7431 Depth=2
	s_or_b32 exec_lo, exec_lo, s40
	v_add_f32_e32 v27, v29, v27
	v_and_b32_e32 v11, 0x7f800000, v27
	v_cmp_ne_u32_e32 vcc_lo, 0x7f800000, v11
	v_mov_b32_e32 v11, 0x8000
	s_and_saveexec_b32 s40, vcc_lo
	s_cbranch_execz .LBB6_7823
; %bb.7816:                             ;   in Loop: Header=BB6_7431 Depth=2
	v_mov_b32_e32 v11, 0
	s_mov_b32 s41, exec_lo
	v_cmpx_ne_u32_e32 0, v27
	s_cbranch_execz .LBB6_7822
; %bb.7817:                             ;   in Loop: Header=BB6_7431 Depth=2
	v_bfe_u32 v11, v27, 23, 8
	v_and_b32_e32 v29, 0x7fffff, v27
	v_sub_nc_u32_e32 v30, 0x78, v11
	v_cmp_gt_u32_e32 vcc_lo, 0x79, v11
	v_or_b32_e32 v31, 0x800000, v29
	v_cndmask_b32_e32 v30, 0, v30, vcc_lo
	v_cmp_eq_u32_e32 vcc_lo, 0, v11
	v_add_nc_u32_e32 v11, 0xffffff89, v11
	v_cndmask_b32_e64 v30, v30, 0x77, vcc_lo
	v_cndmask_b32_e32 v29, v31, v29, vcc_lo
	v_cndmask_b32_e64 v11, v11, 0xffffff8a, vcc_lo
	v_lshl_add_u32 v31, 0x100000, v30, -1
	v_lshrrev_b32_e32 v32, v30, v29
	v_lshlrev_b32_e64 v34, v30, 0x80000
	v_add_nc_u32_e32 v30, v30, v11
	v_and_b32_e32 v29, v31, v29
	v_bfe_u32 v33, v32, 20, 1
	v_cmp_eq_u32_e64 s13, v29, v34
	v_add_nc_u32_e32 v31, -1, v33
	v_cndmask_b32_e64 v29, 0, v31, s13
	v_lshrrev_b32_e32 v31, 23, v32
	s_mov_b32 s13, exec_lo
	v_add_nc_u32_e32 v29, v29, v32
	v_xor_b32_e32 v31, 1, v31
	v_and_b32_e32 v11, 0xfffff, v29
	v_add_nc_u32_e32 v29, v11, v32
                                        ; implicit-def: $vgpr11
	v_cmpx_ne_u32_e64 v30, v31
	s_xor_b32 s13, exec_lo, s13
; %bb.7818:                             ;   in Loop: Header=BB6_7431 Depth=2
	v_cmp_lt_u32_e32 vcc_lo, 0xffffff, v29
	v_sub_nc_u32_e32 v11, v30, v31
	v_cndmask_b32_e64 v30, 0, 1, vcc_lo
	v_add_co_ci_u32_e64 v11, null, 0, v11, vcc_lo
	v_lshrrev_b32_e32 v29, v30, v29
; %bb.7819:                             ;   in Loop: Header=BB6_7431 Depth=2
	s_andn2_saveexec_b32 s13, s13
; %bb.7820:                             ;   in Loop: Header=BB6_7431 Depth=2
	v_bfe_u32 v11, v29, 23, 1
; %bb.7821:                             ;   in Loop: Header=BB6_7431 Depth=2
	s_or_b32 exec_lo, exec_lo, s13
	v_lshrrev_b32_e32 v29, 20, v29
	v_min_i32_e32 v30, 15, v11
	v_cmp_gt_i32_e32 vcc_lo, 16, v11
	v_and_b32_sdwa v27, v27, v102 dst_sel:DWORD dst_unused:UNUSED_PAD src0_sel:BYTE_3 src1_sel:DWORD
	v_lshlrev_b32_e32 v30, 3, v30
	v_cndmask_b32_e32 v29, 7, v29, vcc_lo
	v_and_b32_e32 v30, 0xf8, v30
	v_and_b32_e32 v31, 7, v29
	v_or_b32_e32 v11, v11, v29
	v_or3_b32 v27, v27, v30, v31
	v_cmp_ne_u32_e32 vcc_lo, 0, v11
	v_lshlrev_b32_e32 v27, 8, v27
	v_cndmask_b32_e32 v11, 0, v27, vcc_lo
.LBB6_7822:                             ;   in Loop: Header=BB6_7431 Depth=2
	s_or_b32 exec_lo, exec_lo, s41
.LBB6_7823:                             ;   in Loop: Header=BB6_7431 Depth=2
	s_or_b32 exec_lo, exec_lo, s40
	v_or_b32_e32 v27, v25, v21
	s_mov_b32 s13, 0
	v_cmp_gt_i16_sdwa s40, v27, v101 src0_sel:BYTE_0 src1_sel:DWORD
	s_and_saveexec_b32 s41, s40
	s_xor_b32 s40, exec_lo, s41
	s_cbranch_execz .LBB6_8045
; %bb.7824:                             ;   in Loop: Header=BB6_7431 Depth=2
	v_cmp_eq_u16_sdwa s42, v27, v102 src0_sel:BYTE_0 src1_sel:DWORD
	s_mov_b32 s13, -1
	s_and_saveexec_b32 s41, s42
; %bb.7825:                             ;   in Loop: Header=BB6_7431 Depth=2
	s_xor_b32 s13, exec_lo, -1
; %bb.7826:                             ;   in Loop: Header=BB6_7431 Depth=2
	s_or_b32 exec_lo, exec_lo, s41
	s_and_b32 s13, s13, exec_lo
	s_or_saveexec_b32 s40, s40
	v_mov_b32_e32 v21, 0x7f800001
	s_xor_b32 exec_lo, exec_lo, s40
	s_cbranch_execnz .LBB6_8046
.LBB6_7827:                             ;   in Loop: Header=BB6_7431 Depth=2
	s_or_b32 exec_lo, exec_lo, s40
	s_and_saveexec_b32 s40, s13
	s_cbranch_execz .LBB6_7829
.LBB6_7828:                             ;   in Loop: Header=BB6_7431 Depth=2
	v_and_b32_e32 v21, 7, v27
	v_bfe_u32 v30, v27, 3, 4
	v_lshlrev_b32_e32 v31, 24, v27
	v_ffbh_u32_e32 v25, v21
	v_cmp_eq_u32_e32 vcc_lo, 0, v30
	v_min_u32_e32 v25, 32, v25
	v_subrev_nc_u32_e32 v29, 28, v25
	v_sub_nc_u32_e32 v25, 29, v25
	v_lshlrev_b32_e32 v29, v29, v27
	v_cndmask_b32_e32 v25, v30, v25, vcc_lo
	v_and_b32_e32 v29, 7, v29
	v_lshl_add_u32 v25, v25, 23, 0x3b800000
	v_cndmask_b32_e32 v21, v21, v29, vcc_lo
	v_and_b32_e32 v29, 0x80000000, v31
	v_lshlrev_b32_e32 v21, 20, v21
	v_or3_b32 v21, v29, v25, v21
.LBB6_7829:                             ;   in Loop: Header=BB6_7431 Depth=2
	s_or_b32 exec_lo, exec_lo, s40
	v_cmp_gt_i16_sdwa s40, v12, v101 src0_sel:BYTE_0 src1_sel:DWORD
	s_mov_b32 s13, 0
	s_and_saveexec_b32 s41, s40
	s_xor_b32 s40, exec_lo, s41
	s_cbranch_execz .LBB6_8047
; %bb.7830:                             ;   in Loop: Header=BB6_7431 Depth=2
	v_cmp_eq_u16_sdwa s42, v12, v102 src0_sel:BYTE_0 src1_sel:DWORD
	s_mov_b32 s13, -1
	s_and_saveexec_b32 s41, s42
; %bb.7831:                             ;   in Loop: Header=BB6_7431 Depth=2
	s_xor_b32 s13, exec_lo, -1
; %bb.7832:                             ;   in Loop: Header=BB6_7431 Depth=2
	s_or_b32 exec_lo, exec_lo, s41
	s_and_b32 s13, s13, exec_lo
	s_or_saveexec_b32 s40, s40
	v_mov_b32_e32 v25, 0x7f800001
	s_xor_b32 exec_lo, exec_lo, s40
	s_cbranch_execnz .LBB6_8048
.LBB6_7833:                             ;   in Loop: Header=BB6_7431 Depth=2
	s_or_b32 exec_lo, exec_lo, s40
	s_and_saveexec_b32 s40, s13
	s_cbranch_execz .LBB6_7835
.LBB6_7834:                             ;   in Loop: Header=BB6_7431 Depth=2
	v_and_b32_e32 v25, 7, v12
	v_bfe_u32 v31, v12, 3, 4
	v_lshlrev_b32_e32 v32, 24, v12
	v_ffbh_u32_e32 v29, v25
	v_cmp_eq_u32_e32 vcc_lo, 0, v31
	v_min_u32_e32 v29, 32, v29
	v_subrev_nc_u32_e32 v30, 28, v29
	v_sub_nc_u32_e32 v29, 29, v29
	v_lshlrev_b32_e32 v30, v30, v12
	v_cndmask_b32_e32 v29, v31, v29, vcc_lo
	v_and_b32_e32 v30, 7, v30
	v_lshl_add_u32 v29, v29, 23, 0x3b800000
	v_cndmask_b32_e32 v25, v25, v30, vcc_lo
	v_and_b32_e32 v30, 0x80000000, v32
	v_lshlrev_b32_e32 v25, 20, v25
	v_or3_b32 v25, v30, v29, v25
.LBB6_7835:                             ;   in Loop: Header=BB6_7431 Depth=2
	s_or_b32 exec_lo, exec_lo, s40
	v_add_f32_e32 v25, v21, v25
	v_and_b32_e32 v21, 0x7f800000, v25
	v_cmp_ne_u32_e32 vcc_lo, 0x7f800000, v21
	v_mov_b32_e32 v21, 0x80
	s_and_saveexec_b32 s40, vcc_lo
	s_cbranch_execz .LBB6_7843
; %bb.7836:                             ;   in Loop: Header=BB6_7431 Depth=2
	v_mov_b32_e32 v21, 0
	s_mov_b32 s41, exec_lo
	v_cmpx_ne_u32_e32 0, v25
	s_cbranch_execz .LBB6_7842
; %bb.7837:                             ;   in Loop: Header=BB6_7431 Depth=2
	v_bfe_u32 v21, v25, 23, 8
	v_and_b32_e32 v29, 0x7fffff, v25
	v_sub_nc_u32_e32 v30, 0x78, v21
	v_cmp_gt_u32_e32 vcc_lo, 0x79, v21
	v_or_b32_e32 v31, 0x800000, v29
	v_cndmask_b32_e32 v30, 0, v30, vcc_lo
	v_cmp_eq_u32_e32 vcc_lo, 0, v21
	v_add_nc_u32_e32 v21, 0xffffff89, v21
	v_cndmask_b32_e64 v30, v30, 0x77, vcc_lo
	v_cndmask_b32_e32 v29, v31, v29, vcc_lo
	v_cndmask_b32_e64 v21, v21, 0xffffff8a, vcc_lo
	v_lshl_add_u32 v31, 0x100000, v30, -1
	v_lshrrev_b32_e32 v32, v30, v29
	v_lshlrev_b32_e64 v34, v30, 0x80000
	v_add_nc_u32_e32 v30, v30, v21
	v_and_b32_e32 v29, v31, v29
	v_bfe_u32 v33, v32, 20, 1
	v_cmp_eq_u32_e64 s13, v29, v34
	v_add_nc_u32_e32 v31, -1, v33
	v_cndmask_b32_e64 v29, 0, v31, s13
	v_lshrrev_b32_e32 v31, 23, v32
	s_mov_b32 s13, exec_lo
	v_add_nc_u32_e32 v29, v29, v32
	v_xor_b32_e32 v31, 1, v31
	v_and_b32_e32 v21, 0xfffff, v29
	v_add_nc_u32_e32 v29, v21, v32
                                        ; implicit-def: $vgpr21
	v_cmpx_ne_u32_e64 v30, v31
	s_xor_b32 s13, exec_lo, s13
; %bb.7838:                             ;   in Loop: Header=BB6_7431 Depth=2
	v_cmp_lt_u32_e32 vcc_lo, 0xffffff, v29
	v_sub_nc_u32_e32 v21, v30, v31
	v_cndmask_b32_e64 v30, 0, 1, vcc_lo
	v_add_co_ci_u32_e64 v21, null, 0, v21, vcc_lo
	v_lshrrev_b32_e32 v29, v30, v29
; %bb.7839:                             ;   in Loop: Header=BB6_7431 Depth=2
	s_andn2_saveexec_b32 s13, s13
; %bb.7840:                             ;   in Loop: Header=BB6_7431 Depth=2
	v_bfe_u32 v21, v29, 23, 1
; %bb.7841:                             ;   in Loop: Header=BB6_7431 Depth=2
	s_or_b32 exec_lo, exec_lo, s13
	v_lshrrev_b32_e32 v29, 20, v29
	v_min_i32_e32 v30, 15, v21
	v_cmp_gt_i32_e32 vcc_lo, 16, v21
	v_and_b32_sdwa v25, v25, v102 dst_sel:DWORD dst_unused:UNUSED_PAD src0_sel:BYTE_3 src1_sel:DWORD
	v_lshlrev_b32_e32 v30, 3, v30
	v_cndmask_b32_e32 v29, 7, v29, vcc_lo
	v_and_b32_e32 v30, 0xf8, v30
	v_and_b32_e32 v31, 7, v29
	v_or_b32_e32 v21, v21, v29
	v_or3_b32 v25, v30, v25, v31
	v_cmp_ne_u32_e32 vcc_lo, 0, v21
	v_cndmask_b32_e32 v21, 0, v25, vcc_lo
.LBB6_7842:                             ;   in Loop: Header=BB6_7431 Depth=2
	s_or_b32 exec_lo, exec_lo, s41
.LBB6_7843:                             ;   in Loop: Header=BB6_7431 Depth=2
	s_or_b32 exec_lo, exec_lo, s40
	v_cmp_gt_i16_sdwa s40, v27, v101 src0_sel:BYTE_1 src1_sel:DWORD
	s_mov_b32 s13, 0
	s_and_saveexec_b32 s41, s40
	s_xor_b32 s40, exec_lo, s41
	s_cbranch_execz .LBB6_8049
; %bb.7844:                             ;   in Loop: Header=BB6_7431 Depth=2
	v_cmp_eq_u16_sdwa s42, v27, v102 src0_sel:BYTE_1 src1_sel:DWORD
	s_mov_b32 s13, -1
	s_and_saveexec_b32 s41, s42
; %bb.7845:                             ;   in Loop: Header=BB6_7431 Depth=2
	s_xor_b32 s13, exec_lo, -1
; %bb.7846:                             ;   in Loop: Header=BB6_7431 Depth=2
	s_or_b32 exec_lo, exec_lo, s41
	s_and_b32 s13, s13, exec_lo
	s_or_saveexec_b32 s40, s40
	v_mov_b32_e32 v25, 0x7f800001
	s_xor_b32 exec_lo, exec_lo, s40
	s_cbranch_execnz .LBB6_8050
.LBB6_7847:                             ;   in Loop: Header=BB6_7431 Depth=2
	s_or_b32 exec_lo, exec_lo, s40
	s_and_saveexec_b32 s40, s13
	s_cbranch_execz .LBB6_7849
.LBB6_7848:                             ;   in Loop: Header=BB6_7431 Depth=2
	v_and_b32_sdwa v25, v103, v27 dst_sel:DWORD dst_unused:UNUSED_PAD src0_sel:DWORD src1_sel:BYTE_1
	v_and_b32_e32 v29, 7, v25
	v_bfe_u32 v32, v25, 3, 4
	v_ffbh_u32_e32 v30, v29
	v_cmp_eq_u32_e32 vcc_lo, 0, v32
	v_min_u32_e32 v30, 32, v30
	v_subrev_nc_u32_e32 v31, 28, v30
	v_sub_nc_u32_e32 v30, 29, v30
	v_lshlrev_b32_e32 v25, v31, v25
	v_lshlrev_b32_sdwa v31, v112, v27 dst_sel:DWORD dst_unused:UNUSED_PAD src0_sel:DWORD src1_sel:BYTE_1
	v_cndmask_b32_e32 v30, v32, v30, vcc_lo
	v_and_b32_e32 v25, 7, v25
	v_lshl_add_u32 v30, v30, 23, 0x3b800000
	v_cndmask_b32_e32 v25, v29, v25, vcc_lo
	v_and_b32_e32 v29, 0x80000000, v31
	v_lshlrev_b32_e32 v25, 20, v25
	v_or3_b32 v25, v29, v30, v25
.LBB6_7849:                             ;   in Loop: Header=BB6_7431 Depth=2
	s_or_b32 exec_lo, exec_lo, s40
	v_cmp_gt_i16_sdwa s40, v12, v101 src0_sel:BYTE_1 src1_sel:DWORD
	s_mov_b32 s13, 0
	s_and_saveexec_b32 s41, s40
	s_xor_b32 s40, exec_lo, s41
	s_cbranch_execz .LBB6_8051
; %bb.7850:                             ;   in Loop: Header=BB6_7431 Depth=2
	v_cmp_eq_u16_sdwa s42, v12, v102 src0_sel:BYTE_1 src1_sel:DWORD
	s_mov_b32 s13, -1
	s_and_saveexec_b32 s41, s42
; %bb.7851:                             ;   in Loop: Header=BB6_7431 Depth=2
	s_xor_b32 s13, exec_lo, -1
; %bb.7852:                             ;   in Loop: Header=BB6_7431 Depth=2
	s_or_b32 exec_lo, exec_lo, s41
	s_and_b32 s13, s13, exec_lo
	s_or_saveexec_b32 s40, s40
	v_mov_b32_e32 v29, 0x7f800001
	s_xor_b32 exec_lo, exec_lo, s40
	s_cbranch_execnz .LBB6_8052
.LBB6_7853:                             ;   in Loop: Header=BB6_7431 Depth=2
	s_or_b32 exec_lo, exec_lo, s40
	s_and_saveexec_b32 s40, s13
	s_cbranch_execz .LBB6_7855
.LBB6_7854:                             ;   in Loop: Header=BB6_7431 Depth=2
	v_and_b32_sdwa v29, v103, v12 dst_sel:DWORD dst_unused:UNUSED_PAD src0_sel:DWORD src1_sel:BYTE_1
	v_and_b32_e32 v30, 7, v29
	v_bfe_u32 v33, v29, 3, 4
	v_ffbh_u32_e32 v31, v30
	v_cmp_eq_u32_e32 vcc_lo, 0, v33
	v_min_u32_e32 v31, 32, v31
	v_subrev_nc_u32_e32 v32, 28, v31
	v_sub_nc_u32_e32 v31, 29, v31
	v_lshlrev_b32_e32 v29, v32, v29
	v_lshlrev_b32_sdwa v32, v112, v12 dst_sel:DWORD dst_unused:UNUSED_PAD src0_sel:DWORD src1_sel:BYTE_1
	v_cndmask_b32_e32 v31, v33, v31, vcc_lo
	v_and_b32_e32 v29, 7, v29
	v_lshl_add_u32 v31, v31, 23, 0x3b800000
	v_cndmask_b32_e32 v29, v30, v29, vcc_lo
	v_and_b32_e32 v30, 0x80000000, v32
	v_lshlrev_b32_e32 v29, 20, v29
	v_or3_b32 v29, v30, v31, v29
.LBB6_7855:                             ;   in Loop: Header=BB6_7431 Depth=2
	s_or_b32 exec_lo, exec_lo, s40
	v_add_f32_e32 v29, v25, v29
	v_and_b32_e32 v25, 0x7f800000, v29
	v_cmp_ne_u32_e32 vcc_lo, 0x7f800000, v25
	v_mov_b32_e32 v25, 0x8000
	s_and_saveexec_b32 s40, vcc_lo
	s_cbranch_execz .LBB6_7863
; %bb.7856:                             ;   in Loop: Header=BB6_7431 Depth=2
	v_mov_b32_e32 v25, 0
	s_mov_b32 s41, exec_lo
	v_cmpx_ne_u32_e32 0, v29
	s_cbranch_execz .LBB6_7862
; %bb.7857:                             ;   in Loop: Header=BB6_7431 Depth=2
	v_bfe_u32 v25, v29, 23, 8
	v_and_b32_e32 v30, 0x7fffff, v29
	v_sub_nc_u32_e32 v31, 0x78, v25
	v_cmp_gt_u32_e32 vcc_lo, 0x79, v25
	v_or_b32_e32 v32, 0x800000, v30
	v_cndmask_b32_e32 v31, 0, v31, vcc_lo
	v_cmp_eq_u32_e32 vcc_lo, 0, v25
	v_add_nc_u32_e32 v25, 0xffffff89, v25
	v_cndmask_b32_e64 v31, v31, 0x77, vcc_lo
	v_cndmask_b32_e32 v30, v32, v30, vcc_lo
	v_cndmask_b32_e64 v25, v25, 0xffffff8a, vcc_lo
	v_lshl_add_u32 v32, 0x100000, v31, -1
	v_lshrrev_b32_e32 v33, v31, v30
	v_lshlrev_b32_e64 v35, v31, 0x80000
	v_add_nc_u32_e32 v31, v31, v25
	v_and_b32_e32 v30, v32, v30
	v_bfe_u32 v34, v33, 20, 1
	v_cmp_eq_u32_e64 s13, v30, v35
	v_add_nc_u32_e32 v32, -1, v34
	v_cndmask_b32_e64 v30, 0, v32, s13
	v_lshrrev_b32_e32 v32, 23, v33
	s_mov_b32 s13, exec_lo
	v_add_nc_u32_e32 v30, v30, v33
	v_xor_b32_e32 v32, 1, v32
	v_and_b32_e32 v25, 0xfffff, v30
	v_add_nc_u32_e32 v30, v25, v33
                                        ; implicit-def: $vgpr25
	v_cmpx_ne_u32_e64 v31, v32
	s_xor_b32 s13, exec_lo, s13
; %bb.7858:                             ;   in Loop: Header=BB6_7431 Depth=2
	v_cmp_lt_u32_e32 vcc_lo, 0xffffff, v30
	v_sub_nc_u32_e32 v25, v31, v32
	v_cndmask_b32_e64 v31, 0, 1, vcc_lo
	v_add_co_ci_u32_e64 v25, null, 0, v25, vcc_lo
	v_lshrrev_b32_e32 v30, v31, v30
; %bb.7859:                             ;   in Loop: Header=BB6_7431 Depth=2
	s_andn2_saveexec_b32 s13, s13
; %bb.7860:                             ;   in Loop: Header=BB6_7431 Depth=2
	v_bfe_u32 v25, v30, 23, 1
; %bb.7861:                             ;   in Loop: Header=BB6_7431 Depth=2
	s_or_b32 exec_lo, exec_lo, s13
	v_lshrrev_b32_e32 v30, 20, v30
	v_min_i32_e32 v31, 15, v25
	v_cmp_gt_i32_e32 vcc_lo, 16, v25
	v_and_b32_sdwa v29, v29, v102 dst_sel:DWORD dst_unused:UNUSED_PAD src0_sel:BYTE_3 src1_sel:DWORD
	v_lshlrev_b32_e32 v31, 3, v31
	v_cndmask_b32_e32 v30, 7, v30, vcc_lo
	v_and_b32_e32 v31, 0xf8, v31
	v_and_b32_e32 v32, 7, v30
	v_or_b32_e32 v25, v25, v30
	v_or3_b32 v29, v29, v31, v32
	v_cmp_ne_u32_e32 vcc_lo, 0, v25
	v_lshlrev_b32_e32 v29, 8, v29
	v_cndmask_b32_e32 v25, 0, v29, vcc_lo
.LBB6_7862:                             ;   in Loop: Header=BB6_7431 Depth=2
	s_or_b32 exec_lo, exec_lo, s41
.LBB6_7863:                             ;   in Loop: Header=BB6_7431 Depth=2
	s_or_b32 exec_lo, exec_lo, s40
	v_or_b32_e32 v23, v23, v9
	s_mov_b32 s13, 0
	v_cmp_gt_i16_sdwa s40, v23, v101 src0_sel:BYTE_0 src1_sel:DWORD
	s_and_saveexec_b32 s41, s40
	s_xor_b32 s40, exec_lo, s41
	s_cbranch_execz .LBB6_8053
; %bb.7864:                             ;   in Loop: Header=BB6_7431 Depth=2
	v_cmp_eq_u16_sdwa s42, v23, v102 src0_sel:BYTE_0 src1_sel:DWORD
	s_mov_b32 s13, -1
	s_and_saveexec_b32 s41, s42
; %bb.7865:                             ;   in Loop: Header=BB6_7431 Depth=2
	s_xor_b32 s13, exec_lo, -1
; %bb.7866:                             ;   in Loop: Header=BB6_7431 Depth=2
	s_or_b32 exec_lo, exec_lo, s41
	s_and_b32 s13, s13, exec_lo
	s_or_saveexec_b32 s40, s40
	v_mov_b32_e32 v9, 0x7f800001
	s_xor_b32 exec_lo, exec_lo, s40
	s_cbranch_execnz .LBB6_8054
.LBB6_7867:                             ;   in Loop: Header=BB6_7431 Depth=2
	s_or_b32 exec_lo, exec_lo, s40
	v_lshl_or_b32 v23, v23, 16, v27
	s_and_saveexec_b32 s40, s13
	s_cbranch_execz .LBB6_7869
.LBB6_7868:                             ;   in Loop: Header=BB6_7431 Depth=2
	v_bfe_u32 v9, v23, 16, 3
	v_bfe_u32 v30, v23, 19, 4
	v_lshlrev_b32_e32 v31, 8, v23
	v_ffbh_u32_e32 v27, v9
	v_cmp_eq_u32_e32 vcc_lo, 0, v30
	v_min_u32_e32 v27, 32, v27
	v_subrev_nc_u32_e32 v29, 28, v27
	v_sub_nc_u32_e32 v27, 29, v27
	v_lshlrev_b32_sdwa v29, v29, v23 dst_sel:DWORD dst_unused:UNUSED_PAD src0_sel:DWORD src1_sel:WORD_1
	v_cndmask_b32_e32 v27, v30, v27, vcc_lo
	v_and_b32_e32 v29, 7, v29
	v_lshl_add_u32 v27, v27, 23, 0x3b800000
	v_cndmask_b32_e32 v9, v9, v29, vcc_lo
	v_and_b32_e32 v29, 0x80000000, v31
	v_lshlrev_b32_e32 v9, 20, v9
	v_or3_b32 v9, v29, v27, v9
.LBB6_7869:                             ;   in Loop: Header=BB6_7431 Depth=2
	s_or_b32 exec_lo, exec_lo, s40
	v_and_b32_sdwa v29, v12, v113 dst_sel:DWORD dst_unused:UNUSED_PAD src0_sel:WORD_1 src1_sel:DWORD
	s_mov_b32 s13, 0
	s_mov_b32 s40, exec_lo
	v_cmpx_lt_i16_e32 0x7f, v29
	s_xor_b32 s40, exec_lo, s40
	s_cbranch_execz .LBB6_8055
; %bb.7870:                             ;   in Loop: Header=BB6_7431 Depth=2
	s_mov_b32 s13, -1
	s_mov_b32 s41, exec_lo
	v_cmpx_eq_u16_e32 0x80, v29
; %bb.7871:                             ;   in Loop: Header=BB6_7431 Depth=2
	s_xor_b32 s13, exec_lo, -1
; %bb.7872:                             ;   in Loop: Header=BB6_7431 Depth=2
	s_or_b32 exec_lo, exec_lo, s41
	s_and_b32 s13, s13, exec_lo
                                        ; implicit-def: $vgpr29
	s_or_saveexec_b32 s40, s40
	v_mov_b32_e32 v27, 0x7f800001
	s_xor_b32 exec_lo, exec_lo, s40
	s_cbranch_execnz .LBB6_8056
.LBB6_7873:                             ;   in Loop: Header=BB6_7431 Depth=2
	s_or_b32 exec_lo, exec_lo, s40
	s_and_saveexec_b32 s40, s13
	s_cbranch_execz .LBB6_7875
.LBB6_7874:                             ;   in Loop: Header=BB6_7431 Depth=2
	v_and_b32_sdwa v27, v12, v114 dst_sel:DWORD dst_unused:UNUSED_PAD src0_sel:WORD_1 src1_sel:DWORD
	v_bfe_u32 v31, v12, 19, 4
	v_lshlrev_b32_sdwa v32, v112, v12 dst_sel:DWORD dst_unused:UNUSED_PAD src0_sel:DWORD src1_sel:WORD_1
	v_ffbh_u32_e32 v29, v27
	v_cmp_eq_u32_e32 vcc_lo, 0, v31
	v_min_u32_e32 v29, 32, v29
	v_subrev_nc_u32_e32 v30, 28, v29
	v_sub_nc_u32_e32 v29, 29, v29
	v_lshlrev_b32_sdwa v30, v30, v12 dst_sel:DWORD dst_unused:UNUSED_PAD src0_sel:DWORD src1_sel:WORD_1
	v_cndmask_b32_e32 v29, v31, v29, vcc_lo
	v_and_b32_e32 v30, 7, v30
	v_lshl_add_u32 v29, v29, 23, 0x3b800000
	v_cndmask_b32_e32 v27, v27, v30, vcc_lo
	v_and_b32_e32 v30, 0x80000000, v32
	v_lshlrev_b32_e32 v27, 20, v27
	v_or3_b32 v27, v30, v29, v27
.LBB6_7875:                             ;   in Loop: Header=BB6_7431 Depth=2
	s_or_b32 exec_lo, exec_lo, s40
	v_add_f32_e32 v27, v9, v27
	v_and_b32_e32 v9, 0x7f800000, v27
	v_cmp_ne_u32_e32 vcc_lo, 0x7f800000, v9
	v_mov_b32_e32 v9, 0x80
	s_and_saveexec_b32 s40, vcc_lo
	s_cbranch_execz .LBB6_7883
; %bb.7876:                             ;   in Loop: Header=BB6_7431 Depth=2
	v_mov_b32_e32 v9, 0
	s_mov_b32 s41, exec_lo
	v_cmpx_ne_u32_e32 0, v27
	s_cbranch_execz .LBB6_7882
; %bb.7877:                             ;   in Loop: Header=BB6_7431 Depth=2
	v_bfe_u32 v9, v27, 23, 8
	v_and_b32_e32 v29, 0x7fffff, v27
	v_sub_nc_u32_e32 v30, 0x78, v9
	v_cmp_gt_u32_e32 vcc_lo, 0x79, v9
	v_or_b32_e32 v31, 0x800000, v29
	v_cndmask_b32_e32 v30, 0, v30, vcc_lo
	v_cmp_eq_u32_e32 vcc_lo, 0, v9
	v_add_nc_u32_e32 v9, 0xffffff89, v9
	v_cndmask_b32_e64 v30, v30, 0x77, vcc_lo
	v_cndmask_b32_e32 v29, v31, v29, vcc_lo
	v_cndmask_b32_e64 v9, v9, 0xffffff8a, vcc_lo
	v_lshl_add_u32 v31, 0x100000, v30, -1
	v_lshrrev_b32_e32 v32, v30, v29
	v_lshlrev_b32_e64 v34, v30, 0x80000
	v_add_nc_u32_e32 v30, v30, v9
	v_and_b32_e32 v29, v31, v29
	v_bfe_u32 v33, v32, 20, 1
	v_cmp_eq_u32_e64 s13, v29, v34
	v_add_nc_u32_e32 v31, -1, v33
	v_cndmask_b32_e64 v29, 0, v31, s13
	v_lshrrev_b32_e32 v31, 23, v32
	s_mov_b32 s13, exec_lo
	v_add_nc_u32_e32 v29, v29, v32
	v_xor_b32_e32 v31, 1, v31
	v_and_b32_e32 v9, 0xfffff, v29
	v_add_nc_u32_e32 v29, v9, v32
                                        ; implicit-def: $vgpr9
	v_cmpx_ne_u32_e64 v30, v31
	s_xor_b32 s13, exec_lo, s13
; %bb.7878:                             ;   in Loop: Header=BB6_7431 Depth=2
	v_cmp_lt_u32_e32 vcc_lo, 0xffffff, v29
	v_sub_nc_u32_e32 v9, v30, v31
	v_cndmask_b32_e64 v30, 0, 1, vcc_lo
	v_add_co_ci_u32_e64 v9, null, 0, v9, vcc_lo
	v_lshrrev_b32_e32 v29, v30, v29
; %bb.7879:                             ;   in Loop: Header=BB6_7431 Depth=2
	s_andn2_saveexec_b32 s13, s13
; %bb.7880:                             ;   in Loop: Header=BB6_7431 Depth=2
	v_bfe_u32 v9, v29, 23, 1
; %bb.7881:                             ;   in Loop: Header=BB6_7431 Depth=2
	s_or_b32 exec_lo, exec_lo, s13
	v_lshrrev_b32_e32 v29, 20, v29
	v_min_i32_e32 v30, 15, v9
	v_cmp_gt_i32_e32 vcc_lo, 16, v9
	v_and_b32_sdwa v27, v27, v102 dst_sel:DWORD dst_unused:UNUSED_PAD src0_sel:BYTE_3 src1_sel:DWORD
	v_lshlrev_b32_e32 v30, 3, v30
	v_cndmask_b32_e32 v29, 7, v29, vcc_lo
	v_and_b32_e32 v30, 0xf8, v30
	v_and_b32_e32 v31, 7, v29
	v_or_b32_e32 v9, v9, v29
	v_or3_b32 v27, v30, v27, v31
	v_cmp_ne_u32_e32 vcc_lo, 0, v9
	v_cndmask_b32_e32 v9, 0, v27, vcc_lo
.LBB6_7882:                             ;   in Loop: Header=BB6_7431 Depth=2
	s_or_b32 exec_lo, exec_lo, s41
.LBB6_7883:                             ;   in Loop: Header=BB6_7431 Depth=2
	s_or_b32 exec_lo, exec_lo, s40
	v_cmp_gt_i16_sdwa s40, v23, v101 src0_sel:BYTE_3 src1_sel:DWORD
	s_mov_b32 s13, 0
	s_and_saveexec_b32 s41, s40
	s_xor_b32 s40, exec_lo, s41
	s_cbranch_execz .LBB6_8057
; %bb.7884:                             ;   in Loop: Header=BB6_7431 Depth=2
	v_cmp_eq_u16_sdwa s42, v23, v102 src0_sel:BYTE_3 src1_sel:DWORD
	s_mov_b32 s13, -1
	s_and_saveexec_b32 s41, s42
; %bb.7885:                             ;   in Loop: Header=BB6_7431 Depth=2
	s_xor_b32 s13, exec_lo, -1
; %bb.7886:                             ;   in Loop: Header=BB6_7431 Depth=2
	s_or_b32 exec_lo, exec_lo, s41
	s_and_b32 s13, s13, exec_lo
	s_or_saveexec_b32 s40, s40
	v_mov_b32_e32 v27, 0x7f800001
	s_xor_b32 exec_lo, exec_lo, s40
	s_cbranch_execnz .LBB6_8058
.LBB6_7887:                             ;   in Loop: Header=BB6_7431 Depth=2
	s_or_b32 exec_lo, exec_lo, s40
	s_and_saveexec_b32 s40, s13
	s_cbranch_execz .LBB6_7889
.LBB6_7888:                             ;   in Loop: Header=BB6_7431 Depth=2
	v_bfe_u32 v27, v23, 24, 3
	v_bfe_u32 v31, v23, 27, 4
	v_ffbh_u32_e32 v29, v27
	v_cmp_eq_u32_e32 vcc_lo, 0, v31
	v_min_u32_e32 v29, 32, v29
	v_subrev_nc_u32_e32 v30, 28, v29
	v_sub_nc_u32_e32 v29, 29, v29
	v_lshlrev_b32_sdwa v30, v30, v23 dst_sel:DWORD dst_unused:UNUSED_PAD src0_sel:DWORD src1_sel:BYTE_3
	v_cndmask_b32_e32 v29, v31, v29, vcc_lo
	v_and_b32_e32 v23, 0x80000000, v23
	v_and_b32_e32 v30, 7, v30
	v_lshl_add_u32 v29, v29, 23, 0x3b800000
	v_cndmask_b32_e32 v27, v27, v30, vcc_lo
	v_lshlrev_b32_e32 v27, 20, v27
	v_or3_b32 v27, v23, v29, v27
.LBB6_7889:                             ;   in Loop: Header=BB6_7431 Depth=2
	s_or_b32 exec_lo, exec_lo, s40
	v_cmp_gt_i16_sdwa s40, v12, v101 src0_sel:BYTE_3 src1_sel:DWORD
	s_mov_b32 s13, 0
	s_and_saveexec_b32 s41, s40
	s_xor_b32 s40, exec_lo, s41
	s_cbranch_execz .LBB6_8059
; %bb.7890:                             ;   in Loop: Header=BB6_7431 Depth=2
	v_cmp_eq_u16_sdwa s42, v12, v102 src0_sel:BYTE_3 src1_sel:DWORD
	s_mov_b32 s13, -1
	s_and_saveexec_b32 s41, s42
; %bb.7891:                             ;   in Loop: Header=BB6_7431 Depth=2
	s_xor_b32 s13, exec_lo, -1
; %bb.7892:                             ;   in Loop: Header=BB6_7431 Depth=2
	s_or_b32 exec_lo, exec_lo, s41
	s_and_b32 s13, s13, exec_lo
	s_or_saveexec_b32 s40, s40
	v_mov_b32_e32 v23, 0x7f800001
	s_xor_b32 exec_lo, exec_lo, s40
	s_cbranch_execnz .LBB6_8060
.LBB6_7893:                             ;   in Loop: Header=BB6_7431 Depth=2
	s_or_b32 exec_lo, exec_lo, s40
	s_and_saveexec_b32 s40, s13
	s_cbranch_execz .LBB6_7895
.LBB6_7894:                             ;   in Loop: Header=BB6_7431 Depth=2
	v_and_b32_sdwa v23, v12, v114 dst_sel:DWORD dst_unused:UNUSED_PAD src0_sel:BYTE_3 src1_sel:DWORD
	v_bfe_u32 v31, v12, 27, 4
	v_ffbh_u32_e32 v29, v23
	v_cmp_eq_u32_e32 vcc_lo, 0, v31
	v_min_u32_e32 v29, 32, v29
	v_subrev_nc_u32_e32 v30, 28, v29
	v_sub_nc_u32_e32 v29, 29, v29
	v_lshlrev_b32_sdwa v30, v30, v12 dst_sel:DWORD dst_unused:UNUSED_PAD src0_sel:DWORD src1_sel:BYTE_3
	v_cndmask_b32_e32 v29, v31, v29, vcc_lo
	v_and_b32_e32 v12, 0x80000000, v12
	v_and_b32_e32 v30, 7, v30
	v_lshl_add_u32 v29, v29, 23, 0x3b800000
	v_cndmask_b32_e32 v23, v23, v30, vcc_lo
	v_lshlrev_b32_e32 v23, 20, v23
	v_or3_b32 v23, v12, v29, v23
.LBB6_7895:                             ;   in Loop: Header=BB6_7431 Depth=2
	s_or_b32 exec_lo, exec_lo, s40
	v_add_f32_e32 v23, v27, v23
	v_and_b32_e32 v12, 0x7f800000, v23
	v_cmp_ne_u32_e32 vcc_lo, 0x7f800000, v12
	v_mov_b32_e32 v12, 0x8000
	s_and_saveexec_b32 s40, vcc_lo
	s_cbranch_execz .LBB6_7903
; %bb.7896:                             ;   in Loop: Header=BB6_7431 Depth=2
	v_mov_b32_e32 v12, 0
	s_mov_b32 s41, exec_lo
	v_cmpx_ne_u32_e32 0, v23
	s_cbranch_execz .LBB6_7902
; %bb.7897:                             ;   in Loop: Header=BB6_7431 Depth=2
	v_bfe_u32 v12, v23, 23, 8
	v_and_b32_e32 v27, 0x7fffff, v23
	v_sub_nc_u32_e32 v29, 0x78, v12
	v_cmp_gt_u32_e32 vcc_lo, 0x79, v12
	v_or_b32_e32 v30, 0x800000, v27
	v_cndmask_b32_e32 v29, 0, v29, vcc_lo
	v_cmp_eq_u32_e32 vcc_lo, 0, v12
	v_add_nc_u32_e32 v12, 0xffffff89, v12
	v_cndmask_b32_e64 v29, v29, 0x77, vcc_lo
	v_cndmask_b32_e32 v27, v30, v27, vcc_lo
	v_cndmask_b32_e64 v12, v12, 0xffffff8a, vcc_lo
	v_lshl_add_u32 v30, 0x100000, v29, -1
	v_lshrrev_b32_e32 v31, v29, v27
	v_lshlrev_b32_e64 v33, v29, 0x80000
	v_add_nc_u32_e32 v29, v29, v12
	v_and_b32_e32 v27, v30, v27
	v_bfe_u32 v32, v31, 20, 1
	v_cmp_eq_u32_e64 s13, v27, v33
	v_add_nc_u32_e32 v30, -1, v32
	v_cndmask_b32_e64 v27, 0, v30, s13
	v_lshrrev_b32_e32 v30, 23, v31
	s_mov_b32 s13, exec_lo
	v_add_nc_u32_e32 v27, v27, v31
	v_xor_b32_e32 v30, 1, v30
	v_and_b32_e32 v12, 0xfffff, v27
	v_add_nc_u32_e32 v27, v12, v31
                                        ; implicit-def: $vgpr12
	v_cmpx_ne_u32_e64 v29, v30
	s_xor_b32 s13, exec_lo, s13
; %bb.7898:                             ;   in Loop: Header=BB6_7431 Depth=2
	v_cmp_lt_u32_e32 vcc_lo, 0xffffff, v27
	v_sub_nc_u32_e32 v12, v29, v30
	v_cndmask_b32_e64 v29, 0, 1, vcc_lo
	v_add_co_ci_u32_e64 v12, null, 0, v12, vcc_lo
	v_lshrrev_b32_e32 v27, v29, v27
; %bb.7899:                             ;   in Loop: Header=BB6_7431 Depth=2
	s_andn2_saveexec_b32 s13, s13
; %bb.7900:                             ;   in Loop: Header=BB6_7431 Depth=2
	v_bfe_u32 v12, v27, 23, 1
; %bb.7901:                             ;   in Loop: Header=BB6_7431 Depth=2
	s_or_b32 exec_lo, exec_lo, s13
	v_lshrrev_b32_e32 v27, 20, v27
	v_min_i32_e32 v29, 15, v12
	v_cmp_gt_i32_e32 vcc_lo, 16, v12
	v_and_b32_sdwa v23, v23, v102 dst_sel:DWORD dst_unused:UNUSED_PAD src0_sel:BYTE_3 src1_sel:DWORD
	v_lshlrev_b32_e32 v29, 3, v29
	v_cndmask_b32_e32 v27, 7, v27, vcc_lo
	v_and_b32_e32 v29, 0xf8, v29
	v_and_b32_e32 v30, 7, v27
	v_or_b32_e32 v12, v12, v27
	v_or3_b32 v23, v23, v29, v30
	v_cmp_ne_u32_e32 vcc_lo, 0, v12
	v_lshlrev_b32_e32 v23, 8, v23
	v_cndmask_b32_e32 v12, 0, v23, vcc_lo
.LBB6_7902:                             ;   in Loop: Header=BB6_7431 Depth=2
	s_or_b32 exec_lo, exec_lo, s41
.LBB6_7903:                             ;   in Loop: Header=BB6_7431 Depth=2
	s_or_b32 exec_lo, exec_lo, s40
	v_or_b32_e32 v20, v20, v6
	s_mov_b32 s13, 0
	v_cmp_gt_i16_sdwa s40, v20, v101 src0_sel:BYTE_0 src1_sel:DWORD
	s_and_saveexec_b32 s41, s40
	s_xor_b32 s40, exec_lo, s41
	s_cbranch_execz .LBB6_8061
; %bb.7904:                             ;   in Loop: Header=BB6_7431 Depth=2
	v_cmp_eq_u16_sdwa s42, v20, v102 src0_sel:BYTE_0 src1_sel:DWORD
	s_mov_b32 s13, -1
	s_and_saveexec_b32 s41, s42
; %bb.7905:                             ;   in Loop: Header=BB6_7431 Depth=2
	s_xor_b32 s13, exec_lo, -1
; %bb.7906:                             ;   in Loop: Header=BB6_7431 Depth=2
	s_or_b32 exec_lo, exec_lo, s41
	s_and_b32 s13, s13, exec_lo
	s_or_saveexec_b32 s40, s40
	v_mov_b32_e32 v6, 0x7f800001
	s_xor_b32 exec_lo, exec_lo, s40
	s_cbranch_execnz .LBB6_8062
.LBB6_7907:                             ;   in Loop: Header=BB6_7431 Depth=2
	s_or_b32 exec_lo, exec_lo, s40
	s_and_saveexec_b32 s40, s13
	s_cbranch_execz .LBB6_7909
.LBB6_7908:                             ;   in Loop: Header=BB6_7431 Depth=2
	v_and_b32_e32 v6, 7, v20
	v_bfe_u32 v29, v20, 3, 4
	v_lshlrev_b32_e32 v30, 24, v20
	v_ffbh_u32_e32 v23, v6
	v_cmp_eq_u32_e32 vcc_lo, 0, v29
	v_min_u32_e32 v23, 32, v23
	v_subrev_nc_u32_e32 v27, 28, v23
	v_sub_nc_u32_e32 v23, 29, v23
	v_lshlrev_b32_e32 v27, v27, v20
	v_cndmask_b32_e32 v23, v29, v23, vcc_lo
	v_and_b32_e32 v27, 7, v27
	v_lshl_add_u32 v23, v23, 23, 0x3b800000
	v_cndmask_b32_e32 v6, v6, v27, vcc_lo
	v_and_b32_e32 v27, 0x80000000, v30
	v_lshlrev_b32_e32 v6, 20, v6
	v_or3_b32 v6, v27, v23, v6
.LBB6_7909:                             ;   in Loop: Header=BB6_7431 Depth=2
	s_or_b32 exec_lo, exec_lo, s40
	v_cmp_gt_i16_sdwa s40, v13, v101 src0_sel:BYTE_0 src1_sel:DWORD
	s_mov_b32 s13, 0
	s_and_saveexec_b32 s41, s40
	s_xor_b32 s40, exec_lo, s41
	s_cbranch_execz .LBB6_8063
; %bb.7910:                             ;   in Loop: Header=BB6_7431 Depth=2
	v_cmp_eq_u16_sdwa s42, v13, v102 src0_sel:BYTE_0 src1_sel:DWORD
	s_mov_b32 s13, -1
	s_and_saveexec_b32 s41, s42
; %bb.7911:                             ;   in Loop: Header=BB6_7431 Depth=2
	s_xor_b32 s13, exec_lo, -1
; %bb.7912:                             ;   in Loop: Header=BB6_7431 Depth=2
	s_or_b32 exec_lo, exec_lo, s41
	s_and_b32 s13, s13, exec_lo
	s_or_saveexec_b32 s40, s40
	v_mov_b32_e32 v23, 0x7f800001
	s_xor_b32 exec_lo, exec_lo, s40
	s_cbranch_execnz .LBB6_8064
.LBB6_7913:                             ;   in Loop: Header=BB6_7431 Depth=2
	s_or_b32 exec_lo, exec_lo, s40
	s_and_saveexec_b32 s40, s13
	s_cbranch_execz .LBB6_7915
.LBB6_7914:                             ;   in Loop: Header=BB6_7431 Depth=2
	v_and_b32_e32 v23, 7, v13
	v_bfe_u32 v30, v13, 3, 4
	v_lshlrev_b32_e32 v31, 24, v13
	v_ffbh_u32_e32 v27, v23
	v_cmp_eq_u32_e32 vcc_lo, 0, v30
	v_min_u32_e32 v27, 32, v27
	v_subrev_nc_u32_e32 v29, 28, v27
	v_sub_nc_u32_e32 v27, 29, v27
	v_lshlrev_b32_e32 v29, v29, v13
	v_cndmask_b32_e32 v27, v30, v27, vcc_lo
	v_and_b32_e32 v29, 7, v29
	v_lshl_add_u32 v27, v27, 23, 0x3b800000
	v_cndmask_b32_e32 v23, v23, v29, vcc_lo
	v_and_b32_e32 v29, 0x80000000, v31
	v_lshlrev_b32_e32 v23, 20, v23
	v_or3_b32 v23, v29, v27, v23
.LBB6_7915:                             ;   in Loop: Header=BB6_7431 Depth=2
	s_or_b32 exec_lo, exec_lo, s40
	v_add_f32_e32 v23, v6, v23
	v_and_b32_e32 v6, 0x7f800000, v23
	v_cmp_ne_u32_e32 vcc_lo, 0x7f800000, v6
	v_mov_b32_e32 v6, 0x80
	s_and_saveexec_b32 s40, vcc_lo
	s_cbranch_execz .LBB6_7923
; %bb.7916:                             ;   in Loop: Header=BB6_7431 Depth=2
	v_mov_b32_e32 v6, 0
	s_mov_b32 s41, exec_lo
	v_cmpx_ne_u32_e32 0, v23
	s_cbranch_execz .LBB6_7922
; %bb.7917:                             ;   in Loop: Header=BB6_7431 Depth=2
	v_bfe_u32 v6, v23, 23, 8
	v_and_b32_e32 v27, 0x7fffff, v23
	v_sub_nc_u32_e32 v29, 0x78, v6
	v_cmp_gt_u32_e32 vcc_lo, 0x79, v6
	v_or_b32_e32 v30, 0x800000, v27
	v_cndmask_b32_e32 v29, 0, v29, vcc_lo
	v_cmp_eq_u32_e32 vcc_lo, 0, v6
	v_add_nc_u32_e32 v6, 0xffffff89, v6
	v_cndmask_b32_e64 v29, v29, 0x77, vcc_lo
	v_cndmask_b32_e32 v27, v30, v27, vcc_lo
	v_cndmask_b32_e64 v6, v6, 0xffffff8a, vcc_lo
	v_lshl_add_u32 v30, 0x100000, v29, -1
	v_lshrrev_b32_e32 v31, v29, v27
	v_lshlrev_b32_e64 v33, v29, 0x80000
	v_add_nc_u32_e32 v29, v29, v6
	v_and_b32_e32 v27, v30, v27
	v_bfe_u32 v32, v31, 20, 1
	v_cmp_eq_u32_e64 s13, v27, v33
	v_add_nc_u32_e32 v30, -1, v32
	v_cndmask_b32_e64 v27, 0, v30, s13
	v_lshrrev_b32_e32 v30, 23, v31
	s_mov_b32 s13, exec_lo
	v_add_nc_u32_e32 v27, v27, v31
	v_xor_b32_e32 v30, 1, v30
	v_and_b32_e32 v6, 0xfffff, v27
	v_add_nc_u32_e32 v27, v6, v31
                                        ; implicit-def: $vgpr6
	v_cmpx_ne_u32_e64 v29, v30
	s_xor_b32 s13, exec_lo, s13
; %bb.7918:                             ;   in Loop: Header=BB6_7431 Depth=2
	v_cmp_lt_u32_e32 vcc_lo, 0xffffff, v27
	v_sub_nc_u32_e32 v6, v29, v30
	v_cndmask_b32_e64 v29, 0, 1, vcc_lo
	v_add_co_ci_u32_e64 v6, null, 0, v6, vcc_lo
	v_lshrrev_b32_e32 v27, v29, v27
; %bb.7919:                             ;   in Loop: Header=BB6_7431 Depth=2
	s_andn2_saveexec_b32 s13, s13
; %bb.7920:                             ;   in Loop: Header=BB6_7431 Depth=2
	v_bfe_u32 v6, v27, 23, 1
; %bb.7921:                             ;   in Loop: Header=BB6_7431 Depth=2
	s_or_b32 exec_lo, exec_lo, s13
	v_lshrrev_b32_e32 v27, 20, v27
	v_min_i32_e32 v29, 15, v6
	v_cmp_gt_i32_e32 vcc_lo, 16, v6
	v_and_b32_sdwa v23, v23, v102 dst_sel:DWORD dst_unused:UNUSED_PAD src0_sel:BYTE_3 src1_sel:DWORD
	v_lshlrev_b32_e32 v29, 3, v29
	v_cndmask_b32_e32 v27, 7, v27, vcc_lo
	v_and_b32_e32 v29, 0xf8, v29
	v_and_b32_e32 v30, 7, v27
	v_or_b32_e32 v6, v6, v27
	v_or3_b32 v23, v29, v23, v30
	v_cmp_ne_u32_e32 vcc_lo, 0, v6
	v_cndmask_b32_e32 v6, 0, v23, vcc_lo
.LBB6_7922:                             ;   in Loop: Header=BB6_7431 Depth=2
	s_or_b32 exec_lo, exec_lo, s41
.LBB6_7923:                             ;   in Loop: Header=BB6_7431 Depth=2
	s_or_b32 exec_lo, exec_lo, s40
	v_cmp_gt_i16_sdwa s40, v20, v101 src0_sel:BYTE_1 src1_sel:DWORD
	s_mov_b32 s13, 0
	s_and_saveexec_b32 s41, s40
	s_xor_b32 s40, exec_lo, s41
	s_cbranch_execz .LBB6_8065
; %bb.7924:                             ;   in Loop: Header=BB6_7431 Depth=2
	v_cmp_eq_u16_sdwa s42, v20, v102 src0_sel:BYTE_1 src1_sel:DWORD
	s_mov_b32 s13, -1
	s_and_saveexec_b32 s41, s42
; %bb.7925:                             ;   in Loop: Header=BB6_7431 Depth=2
	s_xor_b32 s13, exec_lo, -1
; %bb.7926:                             ;   in Loop: Header=BB6_7431 Depth=2
	s_or_b32 exec_lo, exec_lo, s41
	s_and_b32 s13, s13, exec_lo
	s_or_saveexec_b32 s40, s40
	v_mov_b32_e32 v23, 0x7f800001
	s_xor_b32 exec_lo, exec_lo, s40
	s_cbranch_execnz .LBB6_8066
.LBB6_7927:                             ;   in Loop: Header=BB6_7431 Depth=2
	s_or_b32 exec_lo, exec_lo, s40
	s_and_saveexec_b32 s40, s13
	s_cbranch_execz .LBB6_7929
.LBB6_7928:                             ;   in Loop: Header=BB6_7431 Depth=2
	v_and_b32_sdwa v23, v103, v20 dst_sel:DWORD dst_unused:UNUSED_PAD src0_sel:DWORD src1_sel:BYTE_1
	v_and_b32_e32 v27, 7, v23
	v_bfe_u32 v31, v23, 3, 4
	v_ffbh_u32_e32 v29, v27
	v_cmp_eq_u32_e32 vcc_lo, 0, v31
	v_min_u32_e32 v29, 32, v29
	v_subrev_nc_u32_e32 v30, 28, v29
	v_sub_nc_u32_e32 v29, 29, v29
	v_lshlrev_b32_e32 v23, v30, v23
	v_lshlrev_b32_sdwa v30, v112, v20 dst_sel:DWORD dst_unused:UNUSED_PAD src0_sel:DWORD src1_sel:BYTE_1
	v_cndmask_b32_e32 v29, v31, v29, vcc_lo
	v_and_b32_e32 v23, 7, v23
	v_lshl_add_u32 v29, v29, 23, 0x3b800000
	v_cndmask_b32_e32 v23, v27, v23, vcc_lo
	v_and_b32_e32 v27, 0x80000000, v30
	v_lshlrev_b32_e32 v23, 20, v23
	v_or3_b32 v23, v27, v29, v23
.LBB6_7929:                             ;   in Loop: Header=BB6_7431 Depth=2
	s_or_b32 exec_lo, exec_lo, s40
	v_cmp_gt_i16_sdwa s40, v13, v101 src0_sel:BYTE_1 src1_sel:DWORD
	s_mov_b32 s13, 0
	s_and_saveexec_b32 s41, s40
	s_xor_b32 s40, exec_lo, s41
	s_cbranch_execz .LBB6_8067
; %bb.7930:                             ;   in Loop: Header=BB6_7431 Depth=2
	v_cmp_eq_u16_sdwa s42, v13, v102 src0_sel:BYTE_1 src1_sel:DWORD
	s_mov_b32 s13, -1
	s_and_saveexec_b32 s41, s42
; %bb.7931:                             ;   in Loop: Header=BB6_7431 Depth=2
	s_xor_b32 s13, exec_lo, -1
; %bb.7932:                             ;   in Loop: Header=BB6_7431 Depth=2
	s_or_b32 exec_lo, exec_lo, s41
	s_and_b32 s13, s13, exec_lo
	s_or_saveexec_b32 s40, s40
	v_mov_b32_e32 v27, 0x7f800001
	s_xor_b32 exec_lo, exec_lo, s40
	s_cbranch_execnz .LBB6_8068
.LBB6_7933:                             ;   in Loop: Header=BB6_7431 Depth=2
	s_or_b32 exec_lo, exec_lo, s40
	s_and_saveexec_b32 s40, s13
	s_cbranch_execz .LBB6_7935
.LBB6_7934:                             ;   in Loop: Header=BB6_7431 Depth=2
	v_and_b32_sdwa v27, v103, v13 dst_sel:DWORD dst_unused:UNUSED_PAD src0_sel:DWORD src1_sel:BYTE_1
	v_and_b32_e32 v29, 7, v27
	v_bfe_u32 v32, v27, 3, 4
	v_ffbh_u32_e32 v30, v29
	v_cmp_eq_u32_e32 vcc_lo, 0, v32
	v_min_u32_e32 v30, 32, v30
	v_subrev_nc_u32_e32 v31, 28, v30
	v_sub_nc_u32_e32 v30, 29, v30
	v_lshlrev_b32_e32 v27, v31, v27
	v_lshlrev_b32_sdwa v31, v112, v13 dst_sel:DWORD dst_unused:UNUSED_PAD src0_sel:DWORD src1_sel:BYTE_1
	v_cndmask_b32_e32 v30, v32, v30, vcc_lo
	v_and_b32_e32 v27, 7, v27
	v_lshl_add_u32 v30, v30, 23, 0x3b800000
	v_cndmask_b32_e32 v27, v29, v27, vcc_lo
	v_and_b32_e32 v29, 0x80000000, v31
	v_lshlrev_b32_e32 v27, 20, v27
	v_or3_b32 v27, v29, v30, v27
.LBB6_7935:                             ;   in Loop: Header=BB6_7431 Depth=2
	s_or_b32 exec_lo, exec_lo, s40
	v_add_f32_e32 v27, v23, v27
	v_and_b32_e32 v23, 0x7f800000, v27
	v_cmp_ne_u32_e32 vcc_lo, 0x7f800000, v23
	v_mov_b32_e32 v23, 0x8000
	s_and_saveexec_b32 s40, vcc_lo
	s_cbranch_execz .LBB6_7943
; %bb.7936:                             ;   in Loop: Header=BB6_7431 Depth=2
	v_mov_b32_e32 v23, 0
	s_mov_b32 s41, exec_lo
	v_cmpx_ne_u32_e32 0, v27
	s_cbranch_execz .LBB6_7942
; %bb.7937:                             ;   in Loop: Header=BB6_7431 Depth=2
	v_bfe_u32 v23, v27, 23, 8
	v_and_b32_e32 v29, 0x7fffff, v27
	v_sub_nc_u32_e32 v30, 0x78, v23
	v_cmp_gt_u32_e32 vcc_lo, 0x79, v23
	v_or_b32_e32 v31, 0x800000, v29
	v_cndmask_b32_e32 v30, 0, v30, vcc_lo
	v_cmp_eq_u32_e32 vcc_lo, 0, v23
	v_add_nc_u32_e32 v23, 0xffffff89, v23
	v_cndmask_b32_e64 v30, v30, 0x77, vcc_lo
	v_cndmask_b32_e32 v29, v31, v29, vcc_lo
	v_cndmask_b32_e64 v23, v23, 0xffffff8a, vcc_lo
	v_lshl_add_u32 v31, 0x100000, v30, -1
	v_lshrrev_b32_e32 v32, v30, v29
	v_lshlrev_b32_e64 v34, v30, 0x80000
	v_add_nc_u32_e32 v30, v30, v23
	v_and_b32_e32 v29, v31, v29
	v_bfe_u32 v33, v32, 20, 1
	v_cmp_eq_u32_e64 s13, v29, v34
	v_add_nc_u32_e32 v31, -1, v33
	v_cndmask_b32_e64 v29, 0, v31, s13
	v_lshrrev_b32_e32 v31, 23, v32
	s_mov_b32 s13, exec_lo
	v_add_nc_u32_e32 v29, v29, v32
	v_xor_b32_e32 v31, 1, v31
	v_and_b32_e32 v23, 0xfffff, v29
	v_add_nc_u32_e32 v29, v23, v32
                                        ; implicit-def: $vgpr23
	v_cmpx_ne_u32_e64 v30, v31
	s_xor_b32 s13, exec_lo, s13
; %bb.7938:                             ;   in Loop: Header=BB6_7431 Depth=2
	v_cmp_lt_u32_e32 vcc_lo, 0xffffff, v29
	v_sub_nc_u32_e32 v23, v30, v31
	v_cndmask_b32_e64 v30, 0, 1, vcc_lo
	v_add_co_ci_u32_e64 v23, null, 0, v23, vcc_lo
	v_lshrrev_b32_e32 v29, v30, v29
; %bb.7939:                             ;   in Loop: Header=BB6_7431 Depth=2
	s_andn2_saveexec_b32 s13, s13
; %bb.7940:                             ;   in Loop: Header=BB6_7431 Depth=2
	v_bfe_u32 v23, v29, 23, 1
; %bb.7941:                             ;   in Loop: Header=BB6_7431 Depth=2
	s_or_b32 exec_lo, exec_lo, s13
	v_lshrrev_b32_e32 v29, 20, v29
	v_min_i32_e32 v30, 15, v23
	v_cmp_gt_i32_e32 vcc_lo, 16, v23
	v_and_b32_sdwa v27, v27, v102 dst_sel:DWORD dst_unused:UNUSED_PAD src0_sel:BYTE_3 src1_sel:DWORD
	v_lshlrev_b32_e32 v30, 3, v30
	v_cndmask_b32_e32 v29, 7, v29, vcc_lo
	v_and_b32_e32 v30, 0xf8, v30
	v_and_b32_e32 v31, 7, v29
	v_or_b32_e32 v23, v23, v29
	v_or3_b32 v27, v27, v30, v31
	v_cmp_ne_u32_e32 vcc_lo, 0, v23
	v_lshlrev_b32_e32 v27, 8, v27
	v_cndmask_b32_e32 v23, 0, v27, vcc_lo
.LBB6_7942:                             ;   in Loop: Header=BB6_7431 Depth=2
	s_or_b32 exec_lo, exec_lo, s41
.LBB6_7943:                             ;   in Loop: Header=BB6_7431 Depth=2
	s_or_b32 exec_lo, exec_lo, s40
	v_or_b32_e32 v8, v8, v5
	s_mov_b32 s13, 0
	v_cmp_gt_i16_sdwa s40, v8, v101 src0_sel:BYTE_0 src1_sel:DWORD
	s_and_saveexec_b32 s41, s40
	s_xor_b32 s40, exec_lo, s41
	s_cbranch_execz .LBB6_8069
; %bb.7944:                             ;   in Loop: Header=BB6_7431 Depth=2
	v_cmp_eq_u16_sdwa s42, v8, v102 src0_sel:BYTE_0 src1_sel:DWORD
	s_mov_b32 s13, -1
	s_and_saveexec_b32 s41, s42
; %bb.7945:                             ;   in Loop: Header=BB6_7431 Depth=2
	s_xor_b32 s13, exec_lo, -1
; %bb.7946:                             ;   in Loop: Header=BB6_7431 Depth=2
	s_or_b32 exec_lo, exec_lo, s41
	s_and_b32 s13, s13, exec_lo
	s_or_saveexec_b32 s40, s40
	v_mov_b32_e32 v5, 0x7f800001
	s_xor_b32 exec_lo, exec_lo, s40
	s_cbranch_execnz .LBB6_8070
.LBB6_7947:                             ;   in Loop: Header=BB6_7431 Depth=2
	s_or_b32 exec_lo, exec_lo, s40
	v_lshl_or_b32 v8, v8, 16, v20
	s_and_saveexec_b32 s40, s13
	s_cbranch_execz .LBB6_7949
.LBB6_7948:                             ;   in Loop: Header=BB6_7431 Depth=2
	v_bfe_u32 v5, v8, 16, 3
	v_bfe_u32 v29, v8, 19, 4
	v_lshlrev_b32_e32 v30, 8, v8
	v_ffbh_u32_e32 v20, v5
	v_cmp_eq_u32_e32 vcc_lo, 0, v29
	v_min_u32_e32 v20, 32, v20
	v_subrev_nc_u32_e32 v27, 28, v20
	v_sub_nc_u32_e32 v20, 29, v20
	v_lshlrev_b32_sdwa v27, v27, v8 dst_sel:DWORD dst_unused:UNUSED_PAD src0_sel:DWORD src1_sel:WORD_1
	v_cndmask_b32_e32 v20, v29, v20, vcc_lo
	v_and_b32_e32 v27, 7, v27
	v_lshl_add_u32 v20, v20, 23, 0x3b800000
	v_cndmask_b32_e32 v5, v5, v27, vcc_lo
	v_and_b32_e32 v27, 0x80000000, v30
	v_lshlrev_b32_e32 v5, 20, v5
	v_or3_b32 v5, v27, v20, v5
.LBB6_7949:                             ;   in Loop: Header=BB6_7431 Depth=2
	s_or_b32 exec_lo, exec_lo, s40
	v_and_b32_sdwa v27, v13, v113 dst_sel:DWORD dst_unused:UNUSED_PAD src0_sel:WORD_1 src1_sel:DWORD
	s_mov_b32 s13, 0
	s_mov_b32 s40, exec_lo
	v_cmpx_lt_i16_e32 0x7f, v27
	s_xor_b32 s40, exec_lo, s40
	s_cbranch_execz .LBB6_8071
; %bb.7950:                             ;   in Loop: Header=BB6_7431 Depth=2
	s_mov_b32 s13, -1
	s_mov_b32 s41, exec_lo
	v_cmpx_eq_u16_e32 0x80, v27
; %bb.7951:                             ;   in Loop: Header=BB6_7431 Depth=2
	s_xor_b32 s13, exec_lo, -1
; %bb.7952:                             ;   in Loop: Header=BB6_7431 Depth=2
	s_or_b32 exec_lo, exec_lo, s41
	s_and_b32 s13, s13, exec_lo
                                        ; implicit-def: $vgpr27
	s_or_saveexec_b32 s40, s40
	v_mov_b32_e32 v20, 0x7f800001
	s_xor_b32 exec_lo, exec_lo, s40
	s_cbranch_execnz .LBB6_8072
.LBB6_7953:                             ;   in Loop: Header=BB6_7431 Depth=2
	s_or_b32 exec_lo, exec_lo, s40
	s_and_saveexec_b32 s40, s13
	s_cbranch_execz .LBB6_7955
.LBB6_7954:                             ;   in Loop: Header=BB6_7431 Depth=2
	v_and_b32_sdwa v20, v13, v114 dst_sel:DWORD dst_unused:UNUSED_PAD src0_sel:WORD_1 src1_sel:DWORD
	v_bfe_u32 v30, v13, 19, 4
	v_lshlrev_b32_sdwa v31, v112, v13 dst_sel:DWORD dst_unused:UNUSED_PAD src0_sel:DWORD src1_sel:WORD_1
	v_ffbh_u32_e32 v27, v20
	v_cmp_eq_u32_e32 vcc_lo, 0, v30
	v_min_u32_e32 v27, 32, v27
	v_subrev_nc_u32_e32 v29, 28, v27
	v_sub_nc_u32_e32 v27, 29, v27
	v_lshlrev_b32_sdwa v29, v29, v13 dst_sel:DWORD dst_unused:UNUSED_PAD src0_sel:DWORD src1_sel:WORD_1
	v_cndmask_b32_e32 v27, v30, v27, vcc_lo
	v_and_b32_e32 v29, 7, v29
	v_lshl_add_u32 v27, v27, 23, 0x3b800000
	v_cndmask_b32_e32 v20, v20, v29, vcc_lo
	v_and_b32_e32 v29, 0x80000000, v31
	v_lshlrev_b32_e32 v20, 20, v20
	v_or3_b32 v20, v29, v27, v20
.LBB6_7955:                             ;   in Loop: Header=BB6_7431 Depth=2
	s_or_b32 exec_lo, exec_lo, s40
	v_add_f32_e32 v20, v5, v20
	v_and_b32_e32 v5, 0x7f800000, v20
	v_cmp_ne_u32_e32 vcc_lo, 0x7f800000, v5
	v_mov_b32_e32 v5, 0x80
	s_and_saveexec_b32 s40, vcc_lo
	s_cbranch_execz .LBB6_7963
; %bb.7956:                             ;   in Loop: Header=BB6_7431 Depth=2
	v_mov_b32_e32 v5, 0
	s_mov_b32 s41, exec_lo
	v_cmpx_ne_u32_e32 0, v20
	s_cbranch_execz .LBB6_7962
; %bb.7957:                             ;   in Loop: Header=BB6_7431 Depth=2
	v_bfe_u32 v5, v20, 23, 8
	v_and_b32_e32 v27, 0x7fffff, v20
	v_sub_nc_u32_e32 v29, 0x78, v5
	v_cmp_gt_u32_e32 vcc_lo, 0x79, v5
	v_or_b32_e32 v30, 0x800000, v27
	v_cndmask_b32_e32 v29, 0, v29, vcc_lo
	v_cmp_eq_u32_e32 vcc_lo, 0, v5
	v_add_nc_u32_e32 v5, 0xffffff89, v5
	v_cndmask_b32_e64 v29, v29, 0x77, vcc_lo
	v_cndmask_b32_e32 v27, v30, v27, vcc_lo
	v_cndmask_b32_e64 v5, v5, 0xffffff8a, vcc_lo
	v_lshl_add_u32 v30, 0x100000, v29, -1
	v_lshrrev_b32_e32 v31, v29, v27
	v_lshlrev_b32_e64 v33, v29, 0x80000
	v_add_nc_u32_e32 v29, v29, v5
	v_and_b32_e32 v27, v30, v27
	v_bfe_u32 v32, v31, 20, 1
	v_cmp_eq_u32_e64 s13, v27, v33
	v_add_nc_u32_e32 v30, -1, v32
	v_cndmask_b32_e64 v27, 0, v30, s13
	v_lshrrev_b32_e32 v30, 23, v31
	s_mov_b32 s13, exec_lo
	v_add_nc_u32_e32 v27, v27, v31
	v_xor_b32_e32 v30, 1, v30
	v_and_b32_e32 v5, 0xfffff, v27
	v_add_nc_u32_e32 v27, v5, v31
                                        ; implicit-def: $vgpr5
	v_cmpx_ne_u32_e64 v29, v30
	s_xor_b32 s13, exec_lo, s13
; %bb.7958:                             ;   in Loop: Header=BB6_7431 Depth=2
	v_cmp_lt_u32_e32 vcc_lo, 0xffffff, v27
	v_sub_nc_u32_e32 v5, v29, v30
	v_cndmask_b32_e64 v29, 0, 1, vcc_lo
	v_add_co_ci_u32_e64 v5, null, 0, v5, vcc_lo
	v_lshrrev_b32_e32 v27, v29, v27
; %bb.7959:                             ;   in Loop: Header=BB6_7431 Depth=2
	s_andn2_saveexec_b32 s13, s13
; %bb.7960:                             ;   in Loop: Header=BB6_7431 Depth=2
	v_bfe_u32 v5, v27, 23, 1
; %bb.7961:                             ;   in Loop: Header=BB6_7431 Depth=2
	s_or_b32 exec_lo, exec_lo, s13
	v_lshrrev_b32_e32 v27, 20, v27
	v_min_i32_e32 v29, 15, v5
	v_cmp_gt_i32_e32 vcc_lo, 16, v5
	v_and_b32_sdwa v20, v20, v102 dst_sel:DWORD dst_unused:UNUSED_PAD src0_sel:BYTE_3 src1_sel:DWORD
	v_lshlrev_b32_e32 v29, 3, v29
	v_cndmask_b32_e32 v27, 7, v27, vcc_lo
	v_and_b32_e32 v29, 0xf8, v29
	v_and_b32_e32 v30, 7, v27
	v_or_b32_e32 v5, v5, v27
	v_or3_b32 v20, v29, v20, v30
	v_cmp_ne_u32_e32 vcc_lo, 0, v5
	v_cndmask_b32_e32 v5, 0, v20, vcc_lo
.LBB6_7962:                             ;   in Loop: Header=BB6_7431 Depth=2
	s_or_b32 exec_lo, exec_lo, s41
.LBB6_7963:                             ;   in Loop: Header=BB6_7431 Depth=2
	s_or_b32 exec_lo, exec_lo, s40
	v_cmp_gt_i16_sdwa s40, v8, v101 src0_sel:BYTE_3 src1_sel:DWORD
	s_mov_b32 s13, 0
	s_and_saveexec_b32 s41, s40
	s_xor_b32 s40, exec_lo, s41
	s_cbranch_execz .LBB6_8073
; %bb.7964:                             ;   in Loop: Header=BB6_7431 Depth=2
	v_cmp_eq_u16_sdwa s42, v8, v102 src0_sel:BYTE_3 src1_sel:DWORD
	s_mov_b32 s13, -1
	s_and_saveexec_b32 s41, s42
; %bb.7965:                             ;   in Loop: Header=BB6_7431 Depth=2
	s_xor_b32 s13, exec_lo, -1
; %bb.7966:                             ;   in Loop: Header=BB6_7431 Depth=2
	s_or_b32 exec_lo, exec_lo, s41
	s_and_b32 s13, s13, exec_lo
	s_or_saveexec_b32 s40, s40
	v_mov_b32_e32 v20, 0x7f800001
	s_xor_b32 exec_lo, exec_lo, s40
	s_cbranch_execnz .LBB6_8074
.LBB6_7967:                             ;   in Loop: Header=BB6_7431 Depth=2
	s_or_b32 exec_lo, exec_lo, s40
	s_and_saveexec_b32 s40, s13
	s_cbranch_execz .LBB6_7969
.LBB6_7968:                             ;   in Loop: Header=BB6_7431 Depth=2
	v_bfe_u32 v20, v8, 24, 3
	v_bfe_u32 v30, v8, 27, 4
	v_ffbh_u32_e32 v27, v20
	v_cmp_eq_u32_e32 vcc_lo, 0, v30
	v_min_u32_e32 v27, 32, v27
	v_subrev_nc_u32_e32 v29, 28, v27
	v_sub_nc_u32_e32 v27, 29, v27
	v_lshlrev_b32_sdwa v29, v29, v8 dst_sel:DWORD dst_unused:UNUSED_PAD src0_sel:DWORD src1_sel:BYTE_3
	v_cndmask_b32_e32 v27, v30, v27, vcc_lo
	v_and_b32_e32 v8, 0x80000000, v8
	v_and_b32_e32 v29, 7, v29
	v_lshl_add_u32 v27, v27, 23, 0x3b800000
	v_cndmask_b32_e32 v20, v20, v29, vcc_lo
	v_lshlrev_b32_e32 v20, 20, v20
	v_or3_b32 v20, v8, v27, v20
.LBB6_7969:                             ;   in Loop: Header=BB6_7431 Depth=2
	s_or_b32 exec_lo, exec_lo, s40
	v_cmp_gt_i16_sdwa s40, v13, v101 src0_sel:BYTE_3 src1_sel:DWORD
	s_mov_b32 s13, 0
	s_and_saveexec_b32 s41, s40
	s_xor_b32 s40, exec_lo, s41
	s_cbranch_execz .LBB6_8075
; %bb.7970:                             ;   in Loop: Header=BB6_7431 Depth=2
	v_cmp_eq_u16_sdwa s42, v13, v102 src0_sel:BYTE_3 src1_sel:DWORD
	s_mov_b32 s13, -1
	s_and_saveexec_b32 s41, s42
; %bb.7971:                             ;   in Loop: Header=BB6_7431 Depth=2
	s_xor_b32 s13, exec_lo, -1
; %bb.7972:                             ;   in Loop: Header=BB6_7431 Depth=2
	s_or_b32 exec_lo, exec_lo, s41
	s_and_b32 s13, s13, exec_lo
	s_or_saveexec_b32 s40, s40
	v_mov_b32_e32 v8, 0x7f800001
	s_xor_b32 exec_lo, exec_lo, s40
	s_cbranch_execnz .LBB6_8076
.LBB6_7973:                             ;   in Loop: Header=BB6_7431 Depth=2
	s_or_b32 exec_lo, exec_lo, s40
	s_and_saveexec_b32 s40, s13
	s_cbranch_execz .LBB6_7975
.LBB6_7974:                             ;   in Loop: Header=BB6_7431 Depth=2
	v_and_b32_sdwa v8, v13, v114 dst_sel:DWORD dst_unused:UNUSED_PAD src0_sel:BYTE_3 src1_sel:DWORD
	v_bfe_u32 v30, v13, 27, 4
	v_ffbh_u32_e32 v27, v8
	v_cmp_eq_u32_e32 vcc_lo, 0, v30
	v_min_u32_e32 v27, 32, v27
	v_subrev_nc_u32_e32 v29, 28, v27
	v_sub_nc_u32_e32 v27, 29, v27
	v_lshlrev_b32_sdwa v29, v29, v13 dst_sel:DWORD dst_unused:UNUSED_PAD src0_sel:DWORD src1_sel:BYTE_3
	v_cndmask_b32_e32 v27, v30, v27, vcc_lo
	v_and_b32_e32 v13, 0x80000000, v13
	v_and_b32_e32 v29, 7, v29
	v_lshl_add_u32 v27, v27, 23, 0x3b800000
	v_cndmask_b32_e32 v8, v8, v29, vcc_lo
	v_lshlrev_b32_e32 v8, 20, v8
	v_or3_b32 v8, v13, v27, v8
.LBB6_7975:                             ;   in Loop: Header=BB6_7431 Depth=2
	s_or_b32 exec_lo, exec_lo, s40
	v_add_f32_e32 v8, v20, v8
	v_and_b32_e32 v13, 0x7f800000, v8
	v_cmp_ne_u32_e32 vcc_lo, 0x7f800000, v13
	v_mov_b32_e32 v13, 0x8000
	s_and_saveexec_b32 s40, vcc_lo
	s_cbranch_execz .LBB6_7430
; %bb.7976:                             ;   in Loop: Header=BB6_7431 Depth=2
	v_mov_b32_e32 v13, 0
	s_mov_b32 s41, exec_lo
	v_cmpx_ne_u32_e32 0, v8
	s_cbranch_execz .LBB6_7429
; %bb.7977:                             ;   in Loop: Header=BB6_7431 Depth=2
	v_bfe_u32 v13, v8, 23, 8
	v_and_b32_e32 v20, 0x7fffff, v8
	v_sub_nc_u32_e32 v27, 0x78, v13
	v_cmp_gt_u32_e32 vcc_lo, 0x79, v13
	v_or_b32_e32 v29, 0x800000, v20
	v_cndmask_b32_e32 v27, 0, v27, vcc_lo
	v_cmp_eq_u32_e32 vcc_lo, 0, v13
	v_add_nc_u32_e32 v13, 0xffffff89, v13
	v_cndmask_b32_e64 v27, v27, 0x77, vcc_lo
	v_cndmask_b32_e32 v20, v29, v20, vcc_lo
	v_cndmask_b32_e64 v13, v13, 0xffffff8a, vcc_lo
	v_lshl_add_u32 v29, 0x100000, v27, -1
	v_lshrrev_b32_e32 v30, v27, v20
	v_lshlrev_b32_e64 v32, v27, 0x80000
	v_add_nc_u32_e32 v27, v27, v13
	v_and_b32_e32 v20, v29, v20
	v_bfe_u32 v31, v30, 20, 1
	v_cmp_eq_u32_e64 s13, v20, v32
	v_add_nc_u32_e32 v29, -1, v31
	v_cndmask_b32_e64 v20, 0, v29, s13
	v_lshrrev_b32_e32 v29, 23, v30
	s_mov_b32 s13, exec_lo
	v_add_nc_u32_e32 v20, v20, v30
	v_xor_b32_e32 v29, 1, v29
	v_and_b32_e32 v13, 0xfffff, v20
	v_add_nc_u32_e32 v20, v13, v30
                                        ; implicit-def: $vgpr13
	v_cmpx_ne_u32_e64 v27, v29
	s_xor_b32 s13, exec_lo, s13
; %bb.7978:                             ;   in Loop: Header=BB6_7431 Depth=2
	v_cmp_lt_u32_e32 vcc_lo, 0xffffff, v20
	v_sub_nc_u32_e32 v13, v27, v29
	v_cndmask_b32_e64 v27, 0, 1, vcc_lo
	v_add_co_ci_u32_e64 v13, null, 0, v13, vcc_lo
	v_lshrrev_b32_e32 v20, v27, v20
; %bb.7979:                             ;   in Loop: Header=BB6_7431 Depth=2
	s_andn2_saveexec_b32 s13, s13
	s_cbranch_execz .LBB6_7428
; %bb.7980:                             ;   in Loop: Header=BB6_7431 Depth=2
	v_bfe_u32 v13, v20, 23, 1
	s_branch .LBB6_7428
.LBB6_7981:                             ;   in Loop: Header=BB6_7431 Depth=2
	s_or_saveexec_b32 s41, s41
	v_mov_b32_e32 v4, 0x7f800001
	s_xor_b32 exec_lo, exec_lo, s41
	s_cbranch_execz .LBB6_7443
.LBB6_7982:                             ;   in Loop: Header=BB6_7431 Depth=2
	v_cmp_ne_u16_sdwa s42, v10, v51 src0_sel:BYTE_0 src1_sel:DWORD
	v_mov_b32_e32 v4, 0
	s_andn2_b32 s13, s13, exec_lo
	s_and_b32 s42, s42, exec_lo
	s_or_b32 s13, s13, s42
	s_or_b32 exec_lo, exec_lo, s41
	s_and_saveexec_b32 s41, s13
	s_cbranch_execnz .LBB6_7444
	s_branch .LBB6_7445
.LBB6_7983:                             ;   in Loop: Header=BB6_7431 Depth=2
	s_or_saveexec_b32 s41, s41
	v_mov_b32_e32 v5, 0x7f800001
	s_xor_b32 exec_lo, exec_lo, s41
	s_cbranch_execz .LBB6_7457
.LBB6_7984:                             ;   in Loop: Header=BB6_7431 Depth=2
	v_cmp_ne_u16_sdwa s42, v10, v51 src0_sel:BYTE_1 src1_sel:DWORD
	v_mov_b32_e32 v5, 0
	s_andn2_b32 s13, s13, exec_lo
	s_and_b32 s42, s42, exec_lo
	s_or_b32 s13, s13, s42
	s_or_b32 exec_lo, exec_lo, s41
	s_and_saveexec_b32 s41, s13
	s_cbranch_execnz .LBB6_7458
	s_branch .LBB6_7459
.LBB6_7985:                             ;   in Loop: Header=BB6_7431 Depth=2
	s_or_saveexec_b32 s41, s41
	v_mov_b32_e32 v5, 0x7f800001
	s_xor_b32 exec_lo, exec_lo, s41
	s_cbranch_execz .LBB6_7471
.LBB6_7986:                             ;   in Loop: Header=BB6_7431 Depth=2
	v_cmp_ne_u16_e32 vcc_lo, 0, v6
	v_mov_b32_e32 v5, 0
	s_andn2_b32 s13, s13, exec_lo
	s_and_b32 s42, vcc_lo, exec_lo
	s_or_b32 s13, s13, s42
	s_or_b32 exec_lo, exec_lo, s41
	s_and_saveexec_b32 s41, s13
	s_cbranch_execnz .LBB6_7472
	s_branch .LBB6_7473
.LBB6_7987:                             ;   in Loop: Header=BB6_7431 Depth=2
	s_or_saveexec_b32 s41, s41
	v_mov_b32_e32 v5, 0x7f800001
	s_xor_b32 exec_lo, exec_lo, s41
	s_cbranch_execz .LBB6_7485
.LBB6_7988:                             ;   in Loop: Header=BB6_7431 Depth=2
	v_cmp_ne_u16_sdwa s42, v10, v51 src0_sel:BYTE_3 src1_sel:DWORD
	v_mov_b32_e32 v5, 0
	s_andn2_b32 s13, s13, exec_lo
	s_and_b32 s42, s42, exec_lo
	s_or_b32 s13, s13, s42
	s_or_b32 exec_lo, exec_lo, s41
	s_and_saveexec_b32 s41, s13
	s_cbranch_execnz .LBB6_7486
	s_branch .LBB6_7487
.LBB6_7989:                             ;   in Loop: Header=BB6_7431 Depth=2
	s_or_saveexec_b32 s41, s41
	v_mov_b32_e32 v5, 0x7f800001
	s_xor_b32 exec_lo, exec_lo, s41
	s_cbranch_execz .LBB6_7499
.LBB6_7990:                             ;   in Loop: Header=BB6_7431 Depth=2
	v_cmp_ne_u16_sdwa s42, v11, v51 src0_sel:BYTE_0 src1_sel:DWORD
	v_mov_b32_e32 v5, 0
	s_andn2_b32 s13, s13, exec_lo
	s_and_b32 s42, s42, exec_lo
	s_or_b32 s13, s13, s42
	s_or_b32 exec_lo, exec_lo, s41
	s_and_saveexec_b32 s41, s13
	s_cbranch_execnz .LBB6_7500
	s_branch .LBB6_7501
.LBB6_7991:                             ;   in Loop: Header=BB6_7431 Depth=2
	s_or_saveexec_b32 s41, s41
	v_mov_b32_e32 v5, 0x7f800001
	s_xor_b32 exec_lo, exec_lo, s41
	s_cbranch_execz .LBB6_7513
.LBB6_7992:                             ;   in Loop: Header=BB6_7431 Depth=2
	v_cmp_ne_u16_sdwa s42, v11, v51 src0_sel:BYTE_1 src1_sel:DWORD
	v_mov_b32_e32 v5, 0
	s_andn2_b32 s13, s13, exec_lo
	s_and_b32 s42, s42, exec_lo
	s_or_b32 s13, s13, s42
	s_or_b32 exec_lo, exec_lo, s41
	s_and_saveexec_b32 s41, s13
	s_cbranch_execnz .LBB6_7514
	s_branch .LBB6_7515
.LBB6_7993:                             ;   in Loop: Header=BB6_7431 Depth=2
	s_or_saveexec_b32 s41, s41
	v_mov_b32_e32 v5, 0x7f800001
	s_xor_b32 exec_lo, exec_lo, s41
	s_cbranch_execz .LBB6_7527
.LBB6_7994:                             ;   in Loop: Header=BB6_7431 Depth=2
	v_cmp_ne_u16_e32 vcc_lo, 0, v6
	v_mov_b32_e32 v5, 0
	s_andn2_b32 s13, s13, exec_lo
	s_and_b32 s42, vcc_lo, exec_lo
	s_or_b32 s13, s13, s42
	s_or_b32 exec_lo, exec_lo, s41
	s_and_saveexec_b32 s41, s13
	s_cbranch_execnz .LBB6_7528
	s_branch .LBB6_7529
.LBB6_7995:                             ;   in Loop: Header=BB6_7431 Depth=2
	s_or_saveexec_b32 s41, s41
	v_mov_b32_e32 v5, 0x7f800001
	s_xor_b32 exec_lo, exec_lo, s41
	s_cbranch_execz .LBB6_7541
.LBB6_7996:                             ;   in Loop: Header=BB6_7431 Depth=2
	v_cmp_ne_u16_sdwa s42, v11, v51 src0_sel:BYTE_3 src1_sel:DWORD
	v_mov_b32_e32 v5, 0
	s_andn2_b32 s13, s13, exec_lo
	s_and_b32 s42, s42, exec_lo
	s_or_b32 s13, s13, s42
	s_or_b32 exec_lo, exec_lo, s41
	s_and_saveexec_b32 s41, s13
	s_cbranch_execnz .LBB6_7542
	s_branch .LBB6_7543
.LBB6_7997:                             ;   in Loop: Header=BB6_7431 Depth=2
	s_or_saveexec_b32 s41, s41
	v_mov_b32_e32 v5, 0x7f800001
	s_xor_b32 exec_lo, exec_lo, s41
	s_cbranch_execz .LBB6_7555
.LBB6_7998:                             ;   in Loop: Header=BB6_7431 Depth=2
	v_cmp_ne_u16_sdwa s42, v12, v51 src0_sel:BYTE_0 src1_sel:DWORD
	v_mov_b32_e32 v5, 0
	s_andn2_b32 s13, s13, exec_lo
	s_and_b32 s42, s42, exec_lo
	s_or_b32 s13, s13, s42
	s_or_b32 exec_lo, exec_lo, s41
	s_and_saveexec_b32 s41, s13
	s_cbranch_execnz .LBB6_7556
	s_branch .LBB6_7557
.LBB6_7999:                             ;   in Loop: Header=BB6_7431 Depth=2
	s_or_saveexec_b32 s41, s41
	v_mov_b32_e32 v5, 0x7f800001
	s_xor_b32 exec_lo, exec_lo, s41
	s_cbranch_execz .LBB6_7569
.LBB6_8000:                             ;   in Loop: Header=BB6_7431 Depth=2
	v_cmp_ne_u16_sdwa s42, v12, v51 src0_sel:BYTE_1 src1_sel:DWORD
	v_mov_b32_e32 v5, 0
	s_andn2_b32 s13, s13, exec_lo
	s_and_b32 s42, s42, exec_lo
	s_or_b32 s13, s13, s42
	s_or_b32 exec_lo, exec_lo, s41
	s_and_saveexec_b32 s41, s13
	s_cbranch_execnz .LBB6_7570
	s_branch .LBB6_7571
.LBB6_8001:                             ;   in Loop: Header=BB6_7431 Depth=2
	s_or_saveexec_b32 s41, s41
	v_mov_b32_e32 v5, 0x7f800001
	s_xor_b32 exec_lo, exec_lo, s41
	s_cbranch_execz .LBB6_7583
.LBB6_8002:                             ;   in Loop: Header=BB6_7431 Depth=2
	v_cmp_ne_u16_e32 vcc_lo, 0, v6
	v_mov_b32_e32 v5, 0
	s_andn2_b32 s13, s13, exec_lo
	s_and_b32 s42, vcc_lo, exec_lo
	s_or_b32 s13, s13, s42
	s_or_b32 exec_lo, exec_lo, s41
	s_and_saveexec_b32 s41, s13
	s_cbranch_execnz .LBB6_7584
	s_branch .LBB6_7585
.LBB6_8003:                             ;   in Loop: Header=BB6_7431 Depth=2
	s_or_saveexec_b32 s41, s41
	v_mov_b32_e32 v5, 0x7f800001
	s_xor_b32 exec_lo, exec_lo, s41
	s_cbranch_execz .LBB6_7597
.LBB6_8004:                             ;   in Loop: Header=BB6_7431 Depth=2
	v_cmp_ne_u16_sdwa s42, v12, v51 src0_sel:BYTE_3 src1_sel:DWORD
	v_mov_b32_e32 v5, 0
	s_andn2_b32 s13, s13, exec_lo
	s_and_b32 s42, s42, exec_lo
	s_or_b32 s13, s13, s42
	s_or_b32 exec_lo, exec_lo, s41
	s_and_saveexec_b32 s41, s13
	s_cbranch_execnz .LBB6_7598
	s_branch .LBB6_7599
.LBB6_8005:                             ;   in Loop: Header=BB6_7431 Depth=2
	s_or_saveexec_b32 s41, s41
	v_mov_b32_e32 v5, 0x7f800001
	s_xor_b32 exec_lo, exec_lo, s41
	s_cbranch_execz .LBB6_7611
.LBB6_8006:                             ;   in Loop: Header=BB6_7431 Depth=2
	v_cmp_ne_u16_sdwa s42, v13, v51 src0_sel:BYTE_0 src1_sel:DWORD
	v_mov_b32_e32 v5, 0
	s_andn2_b32 s13, s13, exec_lo
	s_and_b32 s42, s42, exec_lo
	s_or_b32 s13, s13, s42
	s_or_b32 exec_lo, exec_lo, s41
	s_and_saveexec_b32 s41, s13
	s_cbranch_execnz .LBB6_7612
	s_branch .LBB6_7613
.LBB6_8007:                             ;   in Loop: Header=BB6_7431 Depth=2
	s_or_saveexec_b32 s41, s41
	v_mov_b32_e32 v5, 0x7f800001
	s_xor_b32 exec_lo, exec_lo, s41
	s_cbranch_execz .LBB6_7625
.LBB6_8008:                             ;   in Loop: Header=BB6_7431 Depth=2
	v_cmp_ne_u16_sdwa s42, v13, v51 src0_sel:BYTE_1 src1_sel:DWORD
	v_mov_b32_e32 v5, 0
	s_andn2_b32 s13, s13, exec_lo
	s_and_b32 s42, s42, exec_lo
	s_or_b32 s13, s13, s42
	s_or_b32 exec_lo, exec_lo, s41
	s_and_saveexec_b32 s41, s13
	s_cbranch_execnz .LBB6_7626
	s_branch .LBB6_7627
.LBB6_8009:                             ;   in Loop: Header=BB6_7431 Depth=2
	s_or_saveexec_b32 s41, s41
	v_mov_b32_e32 v5, 0x7f800001
	s_xor_b32 exec_lo, exec_lo, s41
	s_cbranch_execz .LBB6_7639
.LBB6_8010:                             ;   in Loop: Header=BB6_7431 Depth=2
	v_cmp_ne_u16_e32 vcc_lo, 0, v8
	v_mov_b32_e32 v5, 0
	s_andn2_b32 s13, s13, exec_lo
	s_and_b32 s42, vcc_lo, exec_lo
	s_or_b32 s13, s13, s42
	s_or_b32 exec_lo, exec_lo, s41
	s_and_saveexec_b32 s41, s13
	s_cbranch_execnz .LBB6_7640
	s_branch .LBB6_7641
.LBB6_8011:                             ;   in Loop: Header=BB6_7431 Depth=2
	s_or_saveexec_b32 s41, s41
	v_mov_b32_e32 v8, 0x7f800001
	s_xor_b32 exec_lo, exec_lo, s41
	s_cbranch_execz .LBB6_7653
.LBB6_8012:                             ;   in Loop: Header=BB6_7431 Depth=2
	v_cmp_ne_u16_sdwa s42, v13, v51 src0_sel:BYTE_3 src1_sel:DWORD
	v_mov_b32_e32 v8, 0
	s_andn2_b32 s13, s13, exec_lo
	s_and_b32 s42, s42, exec_lo
	s_or_b32 s13, s13, s42
	s_or_b32 exec_lo, exec_lo, s41
	s_and_saveexec_b32 s41, s13
	s_cbranch_execnz .LBB6_7654
	s_branch .LBB6_7655
.LBB6_8013:                             ;   in Loop: Header=BB6_7431 Depth=2
	s_or_saveexec_b32 s40, s40
	v_mov_b32_e32 v4, 0x7f800001
	s_xor_b32 exec_lo, exec_lo, s40
	s_cbranch_execz .LBB6_7667
.LBB6_8014:                             ;   in Loop: Header=BB6_7431 Depth=2
	v_cmp_ne_u16_sdwa s41, v30, v51 src0_sel:BYTE_0 src1_sel:DWORD
	v_mov_b32_e32 v4, 0
	s_andn2_b32 s13, s13, exec_lo
	s_and_b32 s41, s41, exec_lo
	s_or_b32 s13, s13, s41
	s_or_b32 exec_lo, exec_lo, s40
	s_and_saveexec_b32 s40, s13
	s_cbranch_execnz .LBB6_7668
	s_branch .LBB6_7669
.LBB6_8015:                             ;   in Loop: Header=BB6_7431 Depth=2
	s_or_saveexec_b32 s40, s40
	v_mov_b32_e32 v7, 0x7f800001
	s_xor_b32 exec_lo, exec_lo, s40
	s_cbranch_execz .LBB6_7673
.LBB6_8016:                             ;   in Loop: Header=BB6_7431 Depth=2
	v_cmp_ne_u16_sdwa s41, v10, v51 src0_sel:BYTE_0 src1_sel:DWORD
	v_mov_b32_e32 v7, 0
	s_andn2_b32 s13, s13, exec_lo
	s_and_b32 s41, s41, exec_lo
	s_or_b32 s13, s13, s41
	s_or_b32 exec_lo, exec_lo, s40
	s_and_saveexec_b32 s40, s13
	s_cbranch_execnz .LBB6_7674
	s_branch .LBB6_7675
.LBB6_8017:                             ;   in Loop: Header=BB6_7431 Depth=2
	s_or_saveexec_b32 s40, s40
	v_mov_b32_e32 v7, 0x7f800001
	s_xor_b32 exec_lo, exec_lo, s40
	s_cbranch_execz .LBB6_7687
.LBB6_8018:                             ;   in Loop: Header=BB6_7431 Depth=2
	v_cmp_ne_u16_sdwa s41, v30, v51 src0_sel:BYTE_1 src1_sel:DWORD
	v_mov_b32_e32 v7, 0
	s_andn2_b32 s13, s13, exec_lo
	s_and_b32 s41, s41, exec_lo
	s_or_b32 s13, s13, s41
	s_or_b32 exec_lo, exec_lo, s40
	s_and_saveexec_b32 s40, s13
	s_cbranch_execnz .LBB6_7688
	s_branch .LBB6_7689
.LBB6_8019:                             ;   in Loop: Header=BB6_7431 Depth=2
	s_or_saveexec_b32 s40, s40
	v_mov_b32_e32 v31, 0x7f800001
	s_xor_b32 exec_lo, exec_lo, s40
	s_cbranch_execz .LBB6_7693
.LBB6_8020:                             ;   in Loop: Header=BB6_7431 Depth=2
	v_cmp_ne_u16_sdwa s41, v10, v51 src0_sel:BYTE_1 src1_sel:DWORD
	v_mov_b32_e32 v31, 0
	s_andn2_b32 s13, s13, exec_lo
	s_and_b32 s41, s41, exec_lo
	s_or_b32 s13, s13, s41
	s_or_b32 exec_lo, exec_lo, s40
	s_and_saveexec_b32 s40, s13
	s_cbranch_execnz .LBB6_7694
	s_branch .LBB6_7695
.LBB6_8021:                             ;   in Loop: Header=BB6_7431 Depth=2
	s_or_saveexec_b32 s40, s40
	v_mov_b32_e32 v22, 0x7f800001
	s_xor_b32 exec_lo, exec_lo, s40
	s_cbranch_execz .LBB6_7707
.LBB6_8022:                             ;   in Loop: Header=BB6_7431 Depth=2
	v_cmp_ne_u16_sdwa s41, v29, v51 src0_sel:BYTE_0 src1_sel:DWORD
	v_mov_b32_e32 v22, 0
	s_andn2_b32 s13, s13, exec_lo
	s_and_b32 s41, s41, exec_lo
	s_or_b32 s13, s13, s41
	s_or_b32 exec_lo, exec_lo, s40
	v_lshl_or_b32 v29, v29, 16, v30
	s_and_saveexec_b32 s40, s13
	s_cbranch_execnz .LBB6_7708
	s_branch .LBB6_7709
.LBB6_8023:                             ;   in Loop: Header=BB6_7431 Depth=2
	s_or_saveexec_b32 s40, s40
	v_mov_b32_e32 v30, 0x7f800001
	s_xor_b32 exec_lo, exec_lo, s40
	s_cbranch_execz .LBB6_7713
.LBB6_8024:                             ;   in Loop: Header=BB6_7431 Depth=2
	v_cmp_ne_u16_e32 vcc_lo, 0, v31
	v_mov_b32_e32 v30, 0
	s_andn2_b32 s13, s13, exec_lo
	s_and_b32 s41, vcc_lo, exec_lo
	s_or_b32 s13, s13, s41
	s_or_b32 exec_lo, exec_lo, s40
	s_and_saveexec_b32 s40, s13
	s_cbranch_execnz .LBB6_7714
	s_branch .LBB6_7715
.LBB6_8025:                             ;   in Loop: Header=BB6_7431 Depth=2
	s_or_saveexec_b32 s40, s40
	v_mov_b32_e32 v30, 0x7f800001
	s_xor_b32 exec_lo, exec_lo, s40
	s_cbranch_execz .LBB6_7727
.LBB6_8026:                             ;   in Loop: Header=BB6_7431 Depth=2
	v_cmp_ne_u16_sdwa s41, v29, v51 src0_sel:BYTE_3 src1_sel:DWORD
	v_mov_b32_e32 v30, 0
	s_andn2_b32 s13, s13, exec_lo
	s_and_b32 s41, s41, exec_lo
	s_or_b32 s13, s13, s41
	s_or_b32 exec_lo, exec_lo, s40
	s_and_saveexec_b32 s40, s13
	s_cbranch_execnz .LBB6_7728
	s_branch .LBB6_7729
.LBB6_8027:                             ;   in Loop: Header=BB6_7431 Depth=2
	s_or_saveexec_b32 s40, s40
	v_mov_b32_e32 v29, 0x7f800001
	s_xor_b32 exec_lo, exec_lo, s40
	s_cbranch_execz .LBB6_7733
.LBB6_8028:                             ;   in Loop: Header=BB6_7431 Depth=2
	v_cmp_ne_u16_sdwa s41, v10, v51 src0_sel:BYTE_3 src1_sel:DWORD
	v_mov_b32_e32 v29, 0
	s_andn2_b32 s13, s13, exec_lo
	s_and_b32 s41, s41, exec_lo
	s_or_b32 s13, s13, s41
	s_or_b32 exec_lo, exec_lo, s40
	s_and_saveexec_b32 s40, s13
	s_cbranch_execnz .LBB6_7734
	s_branch .LBB6_7735
.LBB6_8029:                             ;   in Loop: Header=BB6_7431 Depth=2
	s_or_saveexec_b32 s40, s40
	v_mov_b32_e32 v26, 0x7f800001
	s_xor_b32 exec_lo, exec_lo, s40
	s_cbranch_execz .LBB6_7747
.LBB6_8030:                             ;   in Loop: Header=BB6_7431 Depth=2
	v_cmp_ne_u16_sdwa s41, v29, v51 src0_sel:BYTE_0 src1_sel:DWORD
	v_mov_b32_e32 v26, 0
	s_andn2_b32 s13, s13, exec_lo
	s_and_b32 s41, s41, exec_lo
	s_or_b32 s13, s13, s41
	s_or_b32 exec_lo, exec_lo, s40
	s_and_saveexec_b32 s40, s13
	s_cbranch_execnz .LBB6_7748
	s_branch .LBB6_7749
.LBB6_8031:                             ;   in Loop: Header=BB6_7431 Depth=2
	s_or_saveexec_b32 s40, s40
	v_mov_b32_e32 v28, 0x7f800001
	s_xor_b32 exec_lo, exec_lo, s40
	s_cbranch_execz .LBB6_7753
.LBB6_8032:                             ;   in Loop: Header=BB6_7431 Depth=2
	v_cmp_ne_u16_sdwa s41, v11, v51 src0_sel:BYTE_0 src1_sel:DWORD
	v_mov_b32_e32 v28, 0
	s_andn2_b32 s13, s13, exec_lo
	s_and_b32 s41, s41, exec_lo
	s_or_b32 s13, s13, s41
	s_or_b32 exec_lo, exec_lo, s40
	s_and_saveexec_b32 s40, s13
	s_cbranch_execnz .LBB6_7754
	s_branch .LBB6_7755
.LBB6_8033:                             ;   in Loop: Header=BB6_7431 Depth=2
	s_or_saveexec_b32 s40, s40
	v_mov_b32_e32 v28, 0x7f800001
	s_xor_b32 exec_lo, exec_lo, s40
	s_cbranch_execz .LBB6_7767
.LBB6_8034:                             ;   in Loop: Header=BB6_7431 Depth=2
	v_cmp_ne_u16_sdwa s41, v29, v51 src0_sel:BYTE_1 src1_sel:DWORD
	v_mov_b32_e32 v28, 0
	s_andn2_b32 s13, s13, exec_lo
	s_and_b32 s41, s41, exec_lo
	s_or_b32 s13, s13, s41
	s_or_b32 exec_lo, exec_lo, s40
	s_and_saveexec_b32 s40, s13
	s_cbranch_execnz .LBB6_7768
	s_branch .LBB6_7769
.LBB6_8035:                             ;   in Loop: Header=BB6_7431 Depth=2
	s_or_saveexec_b32 s40, s40
	v_mov_b32_e32 v30, 0x7f800001
	s_xor_b32 exec_lo, exec_lo, s40
	s_cbranch_execz .LBB6_7773
.LBB6_8036:                             ;   in Loop: Header=BB6_7431 Depth=2
	v_cmp_ne_u16_sdwa s41, v11, v51 src0_sel:BYTE_1 src1_sel:DWORD
	v_mov_b32_e32 v30, 0
	s_andn2_b32 s13, s13, exec_lo
	s_and_b32 s41, s41, exec_lo
	s_or_b32 s13, s13, s41
	s_or_b32 exec_lo, exec_lo, s40
	s_and_saveexec_b32 s40, s13
	s_cbranch_execnz .LBB6_7774
	s_branch .LBB6_7775
.LBB6_8037:                             ;   in Loop: Header=BB6_7431 Depth=2
	s_or_saveexec_b32 s40, s40
	v_mov_b32_e32 v24, 0x7f800001
	s_xor_b32 exec_lo, exec_lo, s40
	s_cbranch_execz .LBB6_7787
.LBB6_8038:                             ;   in Loop: Header=BB6_7431 Depth=2
	v_cmp_ne_u16_sdwa s41, v27, v51 src0_sel:BYTE_0 src1_sel:DWORD
	v_mov_b32_e32 v24, 0
	s_andn2_b32 s13, s13, exec_lo
	s_and_b32 s41, s41, exec_lo
	s_or_b32 s13, s13, s41
	s_or_b32 exec_lo, exec_lo, s40
	v_lshl_or_b32 v27, v27, 16, v29
	s_and_saveexec_b32 s40, s13
	s_cbranch_execnz .LBB6_7788
	s_branch .LBB6_7789
.LBB6_8039:                             ;   in Loop: Header=BB6_7431 Depth=2
	s_or_saveexec_b32 s40, s40
	v_mov_b32_e32 v29, 0x7f800001
	s_xor_b32 exec_lo, exec_lo, s40
	s_cbranch_execz .LBB6_7793
.LBB6_8040:                             ;   in Loop: Header=BB6_7431 Depth=2
	v_cmp_ne_u16_e32 vcc_lo, 0, v30
	v_mov_b32_e32 v29, 0
	s_andn2_b32 s13, s13, exec_lo
	s_and_b32 s41, vcc_lo, exec_lo
	s_or_b32 s13, s13, s41
	s_or_b32 exec_lo, exec_lo, s40
	s_and_saveexec_b32 s40, s13
	s_cbranch_execnz .LBB6_7794
	s_branch .LBB6_7795
.LBB6_8041:                             ;   in Loop: Header=BB6_7431 Depth=2
	s_or_saveexec_b32 s40, s40
	v_mov_b32_e32 v29, 0x7f800001
	s_xor_b32 exec_lo, exec_lo, s40
	s_cbranch_execz .LBB6_7807
.LBB6_8042:                             ;   in Loop: Header=BB6_7431 Depth=2
	v_cmp_ne_u16_sdwa s41, v27, v51 src0_sel:BYTE_3 src1_sel:DWORD
	v_mov_b32_e32 v29, 0
	s_andn2_b32 s13, s13, exec_lo
	s_and_b32 s41, s41, exec_lo
	s_or_b32 s13, s13, s41
	s_or_b32 exec_lo, exec_lo, s40
	s_and_saveexec_b32 s40, s13
	s_cbranch_execnz .LBB6_7808
	s_branch .LBB6_7809
.LBB6_8043:                             ;   in Loop: Header=BB6_7431 Depth=2
	s_or_saveexec_b32 s40, s40
	v_mov_b32_e32 v27, 0x7f800001
	s_xor_b32 exec_lo, exec_lo, s40
	s_cbranch_execz .LBB6_7813
.LBB6_8044:                             ;   in Loop: Header=BB6_7431 Depth=2
	v_cmp_ne_u16_sdwa s41, v11, v51 src0_sel:BYTE_3 src1_sel:DWORD
	v_mov_b32_e32 v27, 0
	s_andn2_b32 s13, s13, exec_lo
	s_and_b32 s41, s41, exec_lo
	s_or_b32 s13, s13, s41
	s_or_b32 exec_lo, exec_lo, s40
	s_and_saveexec_b32 s40, s13
	s_cbranch_execnz .LBB6_7814
	s_branch .LBB6_7815
.LBB6_8045:                             ;   in Loop: Header=BB6_7431 Depth=2
	s_or_saveexec_b32 s40, s40
	v_mov_b32_e32 v21, 0x7f800001
	s_xor_b32 exec_lo, exec_lo, s40
	s_cbranch_execz .LBB6_7827
.LBB6_8046:                             ;   in Loop: Header=BB6_7431 Depth=2
	v_cmp_ne_u16_sdwa s41, v27, v51 src0_sel:BYTE_0 src1_sel:DWORD
	v_mov_b32_e32 v21, 0
	s_andn2_b32 s13, s13, exec_lo
	s_and_b32 s41, s41, exec_lo
	s_or_b32 s13, s13, s41
	s_or_b32 exec_lo, exec_lo, s40
	s_and_saveexec_b32 s40, s13
	s_cbranch_execnz .LBB6_7828
	s_branch .LBB6_7829
.LBB6_8047:                             ;   in Loop: Header=BB6_7431 Depth=2
	s_or_saveexec_b32 s40, s40
	v_mov_b32_e32 v25, 0x7f800001
	s_xor_b32 exec_lo, exec_lo, s40
	s_cbranch_execz .LBB6_7833
.LBB6_8048:                             ;   in Loop: Header=BB6_7431 Depth=2
	v_cmp_ne_u16_sdwa s41, v12, v51 src0_sel:BYTE_0 src1_sel:DWORD
	v_mov_b32_e32 v25, 0
	s_andn2_b32 s13, s13, exec_lo
	s_and_b32 s41, s41, exec_lo
	s_or_b32 s13, s13, s41
	s_or_b32 exec_lo, exec_lo, s40
	s_and_saveexec_b32 s40, s13
	s_cbranch_execnz .LBB6_7834
	s_branch .LBB6_7835
.LBB6_8049:                             ;   in Loop: Header=BB6_7431 Depth=2
	s_or_saveexec_b32 s40, s40
	v_mov_b32_e32 v25, 0x7f800001
	s_xor_b32 exec_lo, exec_lo, s40
	s_cbranch_execz .LBB6_7847
.LBB6_8050:                             ;   in Loop: Header=BB6_7431 Depth=2
	v_cmp_ne_u16_sdwa s41, v27, v51 src0_sel:BYTE_1 src1_sel:DWORD
	v_mov_b32_e32 v25, 0
	s_andn2_b32 s13, s13, exec_lo
	s_and_b32 s41, s41, exec_lo
	s_or_b32 s13, s13, s41
	s_or_b32 exec_lo, exec_lo, s40
	s_and_saveexec_b32 s40, s13
	s_cbranch_execnz .LBB6_7848
	s_branch .LBB6_7849
.LBB6_8051:                             ;   in Loop: Header=BB6_7431 Depth=2
	s_or_saveexec_b32 s40, s40
	v_mov_b32_e32 v29, 0x7f800001
	s_xor_b32 exec_lo, exec_lo, s40
	s_cbranch_execz .LBB6_7853
.LBB6_8052:                             ;   in Loop: Header=BB6_7431 Depth=2
	v_cmp_ne_u16_sdwa s41, v12, v51 src0_sel:BYTE_1 src1_sel:DWORD
	v_mov_b32_e32 v29, 0
	s_andn2_b32 s13, s13, exec_lo
	s_and_b32 s41, s41, exec_lo
	s_or_b32 s13, s13, s41
	s_or_b32 exec_lo, exec_lo, s40
	s_and_saveexec_b32 s40, s13
	s_cbranch_execnz .LBB6_7854
	s_branch .LBB6_7855
.LBB6_8053:                             ;   in Loop: Header=BB6_7431 Depth=2
	s_or_saveexec_b32 s40, s40
	v_mov_b32_e32 v9, 0x7f800001
	s_xor_b32 exec_lo, exec_lo, s40
	s_cbranch_execz .LBB6_7867
.LBB6_8054:                             ;   in Loop: Header=BB6_7431 Depth=2
	v_cmp_ne_u16_sdwa s41, v23, v51 src0_sel:BYTE_0 src1_sel:DWORD
	v_mov_b32_e32 v9, 0
	s_andn2_b32 s13, s13, exec_lo
	s_and_b32 s41, s41, exec_lo
	s_or_b32 s13, s13, s41
	s_or_b32 exec_lo, exec_lo, s40
	v_lshl_or_b32 v23, v23, 16, v27
	s_and_saveexec_b32 s40, s13
	s_cbranch_execnz .LBB6_7868
	s_branch .LBB6_7869
.LBB6_8055:                             ;   in Loop: Header=BB6_7431 Depth=2
	s_or_saveexec_b32 s40, s40
	v_mov_b32_e32 v27, 0x7f800001
	s_xor_b32 exec_lo, exec_lo, s40
	s_cbranch_execz .LBB6_7873
.LBB6_8056:                             ;   in Loop: Header=BB6_7431 Depth=2
	v_cmp_ne_u16_e32 vcc_lo, 0, v29
	v_mov_b32_e32 v27, 0
	s_andn2_b32 s13, s13, exec_lo
	s_and_b32 s41, vcc_lo, exec_lo
	s_or_b32 s13, s13, s41
	s_or_b32 exec_lo, exec_lo, s40
	s_and_saveexec_b32 s40, s13
	s_cbranch_execnz .LBB6_7874
	s_branch .LBB6_7875
.LBB6_8057:                             ;   in Loop: Header=BB6_7431 Depth=2
	s_or_saveexec_b32 s40, s40
	v_mov_b32_e32 v27, 0x7f800001
	s_xor_b32 exec_lo, exec_lo, s40
	s_cbranch_execz .LBB6_7887
.LBB6_8058:                             ;   in Loop: Header=BB6_7431 Depth=2
	v_cmp_ne_u16_sdwa s41, v23, v51 src0_sel:BYTE_3 src1_sel:DWORD
	v_mov_b32_e32 v27, 0
	s_andn2_b32 s13, s13, exec_lo
	s_and_b32 s41, s41, exec_lo
	s_or_b32 s13, s13, s41
	s_or_b32 exec_lo, exec_lo, s40
	s_and_saveexec_b32 s40, s13
	s_cbranch_execnz .LBB6_7888
	s_branch .LBB6_7889
.LBB6_8059:                             ;   in Loop: Header=BB6_7431 Depth=2
	s_or_saveexec_b32 s40, s40
	v_mov_b32_e32 v23, 0x7f800001
	s_xor_b32 exec_lo, exec_lo, s40
	s_cbranch_execz .LBB6_7893
.LBB6_8060:                             ;   in Loop: Header=BB6_7431 Depth=2
	v_cmp_ne_u16_sdwa s41, v12, v51 src0_sel:BYTE_3 src1_sel:DWORD
	v_mov_b32_e32 v23, 0
	s_andn2_b32 s13, s13, exec_lo
	s_and_b32 s41, s41, exec_lo
	s_or_b32 s13, s13, s41
	s_or_b32 exec_lo, exec_lo, s40
	s_and_saveexec_b32 s40, s13
	s_cbranch_execnz .LBB6_7894
	s_branch .LBB6_7895
.LBB6_8061:                             ;   in Loop: Header=BB6_7431 Depth=2
	s_or_saveexec_b32 s40, s40
	v_mov_b32_e32 v6, 0x7f800001
	s_xor_b32 exec_lo, exec_lo, s40
	s_cbranch_execz .LBB6_7907
.LBB6_8062:                             ;   in Loop: Header=BB6_7431 Depth=2
	v_cmp_ne_u16_sdwa s41, v20, v51 src0_sel:BYTE_0 src1_sel:DWORD
	v_mov_b32_e32 v6, 0
	s_andn2_b32 s13, s13, exec_lo
	s_and_b32 s41, s41, exec_lo
	s_or_b32 s13, s13, s41
	s_or_b32 exec_lo, exec_lo, s40
	s_and_saveexec_b32 s40, s13
	s_cbranch_execnz .LBB6_7908
	s_branch .LBB6_7909
.LBB6_8063:                             ;   in Loop: Header=BB6_7431 Depth=2
	s_or_saveexec_b32 s40, s40
	v_mov_b32_e32 v23, 0x7f800001
	s_xor_b32 exec_lo, exec_lo, s40
	s_cbranch_execz .LBB6_7913
.LBB6_8064:                             ;   in Loop: Header=BB6_7431 Depth=2
	v_cmp_ne_u16_sdwa s41, v13, v51 src0_sel:BYTE_0 src1_sel:DWORD
	v_mov_b32_e32 v23, 0
	s_andn2_b32 s13, s13, exec_lo
	s_and_b32 s41, s41, exec_lo
	s_or_b32 s13, s13, s41
	s_or_b32 exec_lo, exec_lo, s40
	s_and_saveexec_b32 s40, s13
	s_cbranch_execnz .LBB6_7914
	s_branch .LBB6_7915
.LBB6_8065:                             ;   in Loop: Header=BB6_7431 Depth=2
	s_or_saveexec_b32 s40, s40
	v_mov_b32_e32 v23, 0x7f800001
	s_xor_b32 exec_lo, exec_lo, s40
	s_cbranch_execz .LBB6_7927
.LBB6_8066:                             ;   in Loop: Header=BB6_7431 Depth=2
	v_cmp_ne_u16_sdwa s41, v20, v51 src0_sel:BYTE_1 src1_sel:DWORD
	v_mov_b32_e32 v23, 0
	s_andn2_b32 s13, s13, exec_lo
	s_and_b32 s41, s41, exec_lo
	s_or_b32 s13, s13, s41
	s_or_b32 exec_lo, exec_lo, s40
	s_and_saveexec_b32 s40, s13
	s_cbranch_execnz .LBB6_7928
	s_branch .LBB6_7929
.LBB6_8067:                             ;   in Loop: Header=BB6_7431 Depth=2
	s_or_saveexec_b32 s40, s40
	v_mov_b32_e32 v27, 0x7f800001
	s_xor_b32 exec_lo, exec_lo, s40
	s_cbranch_execz .LBB6_7933
.LBB6_8068:                             ;   in Loop: Header=BB6_7431 Depth=2
	v_cmp_ne_u16_sdwa s41, v13, v51 src0_sel:BYTE_1 src1_sel:DWORD
	v_mov_b32_e32 v27, 0
	s_andn2_b32 s13, s13, exec_lo
	s_and_b32 s41, s41, exec_lo
	s_or_b32 s13, s13, s41
	s_or_b32 exec_lo, exec_lo, s40
	s_and_saveexec_b32 s40, s13
	s_cbranch_execnz .LBB6_7934
	s_branch .LBB6_7935
.LBB6_8069:                             ;   in Loop: Header=BB6_7431 Depth=2
	s_or_saveexec_b32 s40, s40
	v_mov_b32_e32 v5, 0x7f800001
	s_xor_b32 exec_lo, exec_lo, s40
	s_cbranch_execz .LBB6_7947
.LBB6_8070:                             ;   in Loop: Header=BB6_7431 Depth=2
	v_cmp_ne_u16_sdwa s41, v8, v51 src0_sel:BYTE_0 src1_sel:DWORD
	v_mov_b32_e32 v5, 0
	s_andn2_b32 s13, s13, exec_lo
	s_and_b32 s41, s41, exec_lo
	s_or_b32 s13, s13, s41
	s_or_b32 exec_lo, exec_lo, s40
	v_lshl_or_b32 v8, v8, 16, v20
	s_and_saveexec_b32 s40, s13
	s_cbranch_execnz .LBB6_7948
	s_branch .LBB6_7949
.LBB6_8071:                             ;   in Loop: Header=BB6_7431 Depth=2
	s_or_saveexec_b32 s40, s40
	v_mov_b32_e32 v20, 0x7f800001
	s_xor_b32 exec_lo, exec_lo, s40
	s_cbranch_execz .LBB6_7953
.LBB6_8072:                             ;   in Loop: Header=BB6_7431 Depth=2
	v_cmp_ne_u16_e32 vcc_lo, 0, v27
	v_mov_b32_e32 v20, 0
	s_andn2_b32 s13, s13, exec_lo
	s_and_b32 s41, vcc_lo, exec_lo
	s_or_b32 s13, s13, s41
	s_or_b32 exec_lo, exec_lo, s40
	s_and_saveexec_b32 s40, s13
	s_cbranch_execnz .LBB6_7954
	s_branch .LBB6_7955
.LBB6_8073:                             ;   in Loop: Header=BB6_7431 Depth=2
	s_or_saveexec_b32 s40, s40
	v_mov_b32_e32 v20, 0x7f800001
	s_xor_b32 exec_lo, exec_lo, s40
	s_cbranch_execz .LBB6_7967
.LBB6_8074:                             ;   in Loop: Header=BB6_7431 Depth=2
	v_cmp_ne_u16_sdwa s41, v8, v51 src0_sel:BYTE_3 src1_sel:DWORD
	v_mov_b32_e32 v20, 0
	s_andn2_b32 s13, s13, exec_lo
	s_and_b32 s41, s41, exec_lo
	s_or_b32 s13, s13, s41
	s_or_b32 exec_lo, exec_lo, s40
	s_and_saveexec_b32 s40, s13
	s_cbranch_execnz .LBB6_7968
	s_branch .LBB6_7969
.LBB6_8075:                             ;   in Loop: Header=BB6_7431 Depth=2
	s_or_saveexec_b32 s40, s40
	v_mov_b32_e32 v8, 0x7f800001
	s_xor_b32 exec_lo, exec_lo, s40
	s_cbranch_execz .LBB6_7973
.LBB6_8076:                             ;   in Loop: Header=BB6_7431 Depth=2
	v_cmp_ne_u16_sdwa s41, v13, v51 src0_sel:BYTE_3 src1_sel:DWORD
	v_mov_b32_e32 v8, 0
	s_andn2_b32 s13, s13, exec_lo
	s_and_b32 s41, s41, exec_lo
	s_or_b32 s13, s13, s41
	s_or_b32 exec_lo, exec_lo, s40
	s_and_saveexec_b32 s40, s13
	s_cbranch_execnz .LBB6_7974
	s_branch .LBB6_7975
.LBB6_8077:                             ;   in Loop: Header=BB6_4781 Depth=1
	s_or_b32 exec_lo, exec_lo, s27
.LBB6_8078:                             ;   in Loop: Header=BB6_4781 Depth=1
	s_or_b32 exec_lo, exec_lo, s26
	v_cmp_lt_i32_e32 vcc_lo, 0, v2
	v_and_b32_e32 v3, 15, v50
	v_and_b32_e32 v4, 0x1f0, v50
	v_cndmask_b32_e32 v5, 0, v86, vcc_lo
	v_cndmask_b32_e64 v3, v1, v3, s12
	v_cndmask_b32_e64 v1, 0, v4, s12
	v_sub_nc_u32_e32 v4, v5, v2
	v_cmp_ne_u32_e32 vcc_lo, 0, v3
	v_and_or_b32 v2, 0x3ffffe00, v50, v1
	v_lshl_add_u32 v18, v4, 5, v0
	s_and_b32 s12, vcc_lo, exec_lo
.LBB6_8079:                             ;   in Loop: Header=BB6_4781 Depth=1
	s_or_b32 exec_lo, exec_lo, s25
	s_and_saveexec_b32 s13, s12
	s_cbranch_execz .LBB6_9424
.LBB6_8080:                             ;   in Loop: Header=BB6_4781 Depth=1
	s_waitcnt vmcnt(0)
	v_ashrrev_i32_e32 v0, 31, v18
	v_lshrrev_b32_e32 v1, 10, v3
	s_mov_b32 s25, exec_lo
	v_lshrrev_b32_e32 v0, 27, v0
	v_add_nc_u32_e32 v0, v18, v0
	v_ashrrev_i32_e32 v19, 5, v0
	v_sub_nc_u32_e32 v20, v1, v19
	v_cmpx_lt_i32_e32 0, v20
	s_cbranch_execz .LBB6_9372
; %bb.8081:                             ;   in Loop: Header=BB6_4781 Depth=1
	v_and_b32_e32 v4, 0xffffffe0, v0
	s_trap 2
	ds_read_b64 v[0:1], v0
	v_lshlrev_b32_e32 v5, 10, v19
	v_add_co_u32 v6, vcc_lo, 0x3e0, v66
	v_sub_nc_u32_e32 v4, v18, v4
	v_add_co_ci_u32_e64 v7, null, 0, v67, vcc_lo
	s_mov_b32 s26, 0
	v_add3_u32 v4, v2, v4, v5
	v_ashrrev_i32_e32 v5, 31, v4
	v_add_co_u32 v10, vcc_lo, v4, v64
	v_add_co_ci_u32_e64 v11, null, v5, v65, vcc_lo
	s_waitcnt lgkmcnt(0)
	v_add_co_u32 v12, vcc_lo, v0, v4
	v_add_co_ci_u32_e64 v13, null, v1, v5, vcc_lo
	v_add_co_u32 v14, vcc_lo, v6, v4
	v_add_co_ci_u32_e64 v15, null, v7, v5, vcc_lo
	s_branch .LBB6_8085
.LBB6_8082:                             ;   in Loop: Header=BB6_8085 Depth=2
	s_or_b32 exec_lo, exec_lo, s12
	v_lshrrev_b32_e32 v8, 20, v8
	v_cmp_gt_i32_e32 vcc_lo, 16, v0
	v_min_i32_e32 v22, 15, v0
	v_and_b32_sdwa v1, v1, v102 dst_sel:DWORD dst_unused:UNUSED_PAD src0_sel:BYTE_3 src1_sel:DWORD
	v_cndmask_b32_e32 v8, 7, v8, vcc_lo
	v_lshlrev_b32_e32 v22, 3, v22
	v_and_b32_e32 v26, 7, v8
	v_or_b32_e32 v0, v0, v8
	v_or3_b32 v1, v22, v1, v26
	v_cmp_ne_u32_e32 vcc_lo, 0, v0
	v_cndmask_b32_e32 v0, 0, v1, vcc_lo
.LBB6_8083:                             ;   in Loop: Header=BB6_8085 Depth=2
	s_or_b32 exec_lo, exec_lo, s28
.LBB6_8084:                             ;   in Loop: Header=BB6_8085 Depth=2
	s_or_b32 exec_lo, exec_lo, s27
	v_add_co_u32 v83, vcc_lo, 0xfffffc20, v14
	v_add_co_ci_u32_e64 v84, null, -1, v15, vcc_lo
	v_sub_nc_u32_e32 v20, v20, v86
	flat_store_byte v[83:84], v5 glc slc
	v_add_co_u32 v83, vcc_lo, 0xfffffc40, v14
	v_add_co_ci_u32_e64 v84, null, -1, v15, vcc_lo
	v_add_co_u32 v115, vcc_lo, 0xfffffc60, v14
	v_add_co_ci_u32_e64 v116, null, -1, v15, vcc_lo
	;; [unrolled: 2-line block ×5, first 2 shown]
	v_add_co_u32 v26, vcc_lo, 0xfffffce0, v14
	flat_store_byte v[83:84], v17 glc slc
	flat_store_byte v[115:116], v27 glc slc
	;; [unrolled: 1-line block ×5, first 2 shown]
	v_add_co_ci_u32_e64 v27, null, -1, v15, vcc_lo
	v_add_co_u32 v32, vcc_lo, 0xfffffd00, v14
	v_add_co_ci_u32_e64 v33, null, -1, v15, vcc_lo
	v_add_co_u32 v66, vcc_lo, 0xfffffd20, v14
	v_add_co_ci_u32_e64 v67, null, -1, v15, vcc_lo
	v_add_co_u32 v83, vcc_lo, 0xfffffd40, v14
	v_add_co_ci_u32_e64 v84, null, -1, v15, vcc_lo
	v_add_co_u32 v115, vcc_lo, 0xfffffd60, v14
	v_add_co_ci_u32_e64 v116, null, -1, v15, vcc_lo
	flat_store_byte v[26:27], v80 glc slc
	flat_store_byte v[32:33], v82 glc slc
	flat_store_byte v[66:67], v71 glc slc
	flat_store_byte v[83:84], v70 glc slc
	flat_store_byte v[115:116], v69 glc slc
	v_add_co_u32 v26, vcc_lo, 0xfffffd80, v14
	v_add_co_ci_u32_e64 v27, null, -1, v15, vcc_lo
	v_add_co_u32 v32, vcc_lo, 0xfffffda0, v14
	v_add_co_ci_u32_e64 v33, null, -1, v15, vcc_lo
	v_add_co_u32 v66, vcc_lo, 0xfffffdc0, v14
	v_add_co_ci_u32_e64 v67, null, -1, v15, vcc_lo
	v_add_co_u32 v69, vcc_lo, 0xfffffde0, v14
	v_add_co_ci_u32_e64 v70, null, -1, v15, vcc_lo
	v_add_co_u32 v80, vcc_lo, 0xfffffe00, v14
	v_add_co_ci_u32_e64 v81, null, -1, v15, vcc_lo
	flat_store_byte v[26:27], v68 glc slc
	flat_store_byte v[32:33], v65 glc slc
	flat_store_byte v[66:67], v64 glc slc
	flat_store_byte v[69:70], v49 glc slc
	flat_store_byte v[80:81], v36 glc slc
	v_add_co_u32 v26, vcc_lo, 0xfffffe20, v14
	;; [unrolled: 15-line block ×4, first 2 shown]
	v_add_co_ci_u32_e64 v22, null, -1, v15, vcc_lo
	v_add_co_u32 v23, vcc_lo, 0xffffff80, v14
	v_add_co_ci_u32_e64 v24, null, -1, v15, vcc_lo
	v_add_co_u32 v25, vcc_lo, 0xffffffa0, v14
	;; [unrolled: 2-line block ×5, first 2 shown]
	v_add_co_ci_u32_e64 v11, null, 0, v11, vcc_lo
	v_add_co_u32 v12, vcc_lo, v12, v98
	flat_store_byte v[21:22], v16 glc slc
	flat_store_byte v[23:24], v9 glc slc
	;; [unrolled: 1-line block ×6, first 2 shown]
	v_add_co_ci_u32_e64 v13, null, 0, v13, vcc_lo
	v_cmp_gt_i32_e32 vcc_lo, 1, v20
	v_add_co_u32 v14, s12, v14, v98
	v_add_co_ci_u32_e64 v15, null, 0, v15, s12
	s_or_b32 s26, vcc_lo, s26
	s_andn2_b32 exec_lo, exec_lo, s26
	s_cbranch_execz .LBB6_9371
.LBB6_8085:                             ;   Parent Loop BB6_4781 Depth=1
                                        ; =>  This Inner Loop Header: Depth=2
	s_trap 2
	ds_read_b64 v[16:17], v0
	s_waitcnt lgkmcnt(0)
	v_readfirstlane_b32 s12, v16
	s_and_b32 s27, s12, 0xff
	s_cmpk_lt_i32 s27, 0x80
	s_cbranch_scc1 .LBB6_8089
; %bb.8086:                             ;   in Loop: Header=BB6_8085 Depth=2
	s_and_b32 s28, 0xffff, s27
	s_cmpk_eq_i32 s28, 0x80
	s_mov_b32 s28, -1
	s_cbranch_scc0 .LBB6_8088
; %bb.8087:                             ;   in Loop: Header=BB6_8085 Depth=2
	s_mov_b32 s28, 0
.LBB6_8088:                             ;   in Loop: Header=BB6_8085 Depth=2
	s_mov_b32 s29, 0x7f800001
	s_branch .LBB6_8091
.LBB6_8089:                             ;   in Loop: Header=BB6_8085 Depth=2
	s_mov_b32 s28, 0
	s_mov_b32 s29, 0x7f800001
	s_cbranch_execz .LBB6_8091
; %bb.8090:                             ;   in Loop: Header=BB6_8085 Depth=2
	s_and_b32 s27, 0xffff, s27
	s_mov_b32 s29, 0
	s_cmp_lg_u32 s27, 0
	s_cselect_b32 s28, -1, 0
.LBB6_8091:                             ;   in Loop: Header=BB6_8085 Depth=2
	v_mov_b32_e32 v0, s29
	s_andn2_b32 vcc_lo, exec_lo, s28
	s_cbranch_vccnz .LBB6_8093
; %bb.8092:                             ;   in Loop: Header=BB6_8085 Depth=2
	s_and_b32 s27, s12, 7
	s_bfe_u32 s29, s12, 0x40003
	s_flbit_i32_b32 s28, s27
	v_lshlrev_b32_e32 v0, 24, v16
	s_min_u32 s28, s28, 32
	s_sub_i32 s40, s28, 28
	s_sub_i32 s28, 29, s28
	s_lshl_b32 s12, s12, s40
	v_and_b32_e32 v0, 0x80000000, v0
	s_and_b32 s12, s12, 7
	s_cmp_eq_u32 s29, 0
	s_cselect_b32 s28, s28, s29
	s_cselect_b32 s12, s12, s27
	s_lshl_b32 s27, s28, 23
	s_lshl_b32 s12, s12, 20
	s_add_i32 s27, s27, 0x3b800000
	v_or_b32_e32 v0, s27, v0
	v_or_b32_e32 v0, s12, v0
.LBB6_8093:                             ;   in Loop: Header=BB6_8085 Depth=2
	flat_load_ubyte v1, v[10:11] slc
	s_mov_b32 s12, 0
	s_mov_b32 s27, exec_lo
	s_waitcnt vmcnt(0) lgkmcnt(0)
	v_cmpx_lt_i16_e32 0x7f, v1
	s_xor_b32 s27, exec_lo, s27
	s_cbranch_execz .LBB6_9179
; %bb.8094:                             ;   in Loop: Header=BB6_8085 Depth=2
	s_mov_b32 s12, -1
	s_mov_b32 s28, exec_lo
	v_cmpx_eq_u16_e32 0x80, v1
; %bb.8095:                             ;   in Loop: Header=BB6_8085 Depth=2
	s_xor_b32 s12, exec_lo, -1
; %bb.8096:                             ;   in Loop: Header=BB6_8085 Depth=2
	s_or_b32 exec_lo, exec_lo, s28
	s_and_b32 s12, s12, exec_lo
	s_or_saveexec_b32 s27, s27
	v_mov_b32_e32 v4, 0x7f800001
	s_xor_b32 exec_lo, exec_lo, s27
	s_cbranch_execnz .LBB6_9180
.LBB6_8097:                             ;   in Loop: Header=BB6_8085 Depth=2
	s_or_b32 exec_lo, exec_lo, s27
	s_and_saveexec_b32 s27, s12
	s_cbranch_execz .LBB6_8099
.LBB6_8098:                             ;   in Loop: Header=BB6_8085 Depth=2
	v_and_b32_e32 v4, 0xffff, v1
	v_lshlrev_b32_e32 v1, 24, v1
	v_and_b32_e32 v5, 7, v4
	v_bfe_u32 v8, v4, 3, 4
	v_and_b32_e32 v1, 0x80000000, v1
	v_ffbh_u32_e32 v6, v5
	v_cmp_eq_u32_e32 vcc_lo, 0, v8
	v_min_u32_e32 v6, 32, v6
	v_subrev_nc_u32_e32 v7, 28, v6
	v_sub_nc_u32_e32 v6, 29, v6
	v_lshlrev_b32_e32 v4, v7, v4
	v_cndmask_b32_e32 v6, v8, v6, vcc_lo
	v_and_b32_e32 v4, 7, v4
	v_cndmask_b32_e32 v4, v5, v4, vcc_lo
	v_lshl_add_u32 v5, v6, 23, 0x3b800000
	v_lshlrev_b32_e32 v4, 20, v4
	v_or3_b32 v4, v1, v5, v4
.LBB6_8099:                             ;   in Loop: Header=BB6_8085 Depth=2
	s_or_b32 exec_lo, exec_lo, s27
	v_mul_f32_e32 v1, v0, v4
	v_mov_b32_e32 v5, 0x80
	s_mov_b32 s27, exec_lo
	v_and_b32_e32 v4, 0x7f800000, v1
	v_cmpx_ne_u32_e32 0x7f800000, v4
	s_cbranch_execz .LBB6_8107
; %bb.8100:                             ;   in Loop: Header=BB6_8085 Depth=2
	v_mov_b32_e32 v5, 0
	s_mov_b32 s28, exec_lo
	v_cmpx_ne_u32_e32 0, v1
	s_cbranch_execz .LBB6_8106
; %bb.8101:                             ;   in Loop: Header=BB6_8085 Depth=2
	v_bfe_u32 v4, v1, 23, 8
	v_and_b32_e32 v5, 0x7fffff, v1
	v_sub_nc_u32_e32 v6, 0x78, v4
	v_cmp_gt_u32_e32 vcc_lo, 0x79, v4
	v_or_b32_e32 v7, 0x800000, v5
	v_cndmask_b32_e32 v6, 0, v6, vcc_lo
	v_cmp_eq_u32_e32 vcc_lo, 0, v4
	v_add_nc_u32_e32 v4, 0xffffff89, v4
	v_cndmask_b32_e64 v6, v6, 0x77, vcc_lo
	v_cndmask_b32_e32 v5, v7, v5, vcc_lo
	v_cndmask_b32_e64 v4, v4, 0xffffff8a, vcc_lo
	v_lshl_add_u32 v7, 0x100000, v6, -1
	v_lshrrev_b32_e32 v8, v6, v5
	v_lshlrev_b32_e64 v16, v6, 0x80000
	v_add_nc_u32_e32 v6, v6, v4
	v_and_b32_e32 v5, v7, v5
	v_bfe_u32 v9, v8, 20, 1
	v_cmp_eq_u32_e64 s12, v5, v16
	v_add_nc_u32_e32 v7, -1, v9
	v_cndmask_b32_e64 v5, 0, v7, s12
	v_lshrrev_b32_e32 v7, 23, v8
	s_mov_b32 s12, exec_lo
	v_add_nc_u32_e32 v5, v5, v8
	v_xor_b32_e32 v7, 1, v7
	v_and_b32_e32 v4, 0xfffff, v5
	v_add_nc_u32_e32 v5, v4, v8
                                        ; implicit-def: $vgpr4
	v_cmpx_ne_u32_e64 v6, v7
	s_xor_b32 s12, exec_lo, s12
; %bb.8102:                             ;   in Loop: Header=BB6_8085 Depth=2
	v_cmp_lt_u32_e32 vcc_lo, 0xffffff, v5
	v_sub_nc_u32_e32 v4, v6, v7
	v_cndmask_b32_e64 v6, 0, 1, vcc_lo
	v_add_co_ci_u32_e64 v4, null, 0, v4, vcc_lo
	v_lshrrev_b32_e32 v5, v6, v5
; %bb.8103:                             ;   in Loop: Header=BB6_8085 Depth=2
	s_andn2_saveexec_b32 s12, s12
; %bb.8104:                             ;   in Loop: Header=BB6_8085 Depth=2
	v_bfe_u32 v4, v5, 23, 1
; %bb.8105:                             ;   in Loop: Header=BB6_8085 Depth=2
	s_or_b32 exec_lo, exec_lo, s12
	v_lshrrev_b32_e32 v5, 20, v5
	v_cmp_gt_i32_e32 vcc_lo, 16, v4
	v_min_i32_e32 v6, 15, v4
	v_and_b32_sdwa v1, v1, v102 dst_sel:DWORD dst_unused:UNUSED_PAD src0_sel:BYTE_3 src1_sel:DWORD
	v_cndmask_b32_e32 v5, 7, v5, vcc_lo
	v_lshlrev_b32_e32 v6, 3, v6
	v_and_b32_e32 v7, 7, v5
	v_or_b32_e32 v4, v4, v5
	v_or3_b32 v1, v6, v1, v7
	v_cmp_ne_u32_e32 vcc_lo, 0, v4
	v_cndmask_b32_e32 v5, 0, v1, vcc_lo
.LBB6_8106:                             ;   in Loop: Header=BB6_8085 Depth=2
	s_or_b32 exec_lo, exec_lo, s28
.LBB6_8107:                             ;   in Loop: Header=BB6_8085 Depth=2
	s_or_b32 exec_lo, exec_lo, s27
	flat_load_ubyte v1, v[10:11] offset:32 slc
	s_mov_b32 s12, 0
	s_mov_b32 s27, exec_lo
	s_waitcnt vmcnt(0) lgkmcnt(0)
	v_cmpx_lt_i16_e32 0x7f, v1
	s_xor_b32 s27, exec_lo, s27
	s_cbranch_execz .LBB6_9181
; %bb.8108:                             ;   in Loop: Header=BB6_8085 Depth=2
	s_mov_b32 s12, -1
	s_mov_b32 s28, exec_lo
	v_cmpx_eq_u16_e32 0x80, v1
; %bb.8109:                             ;   in Loop: Header=BB6_8085 Depth=2
	s_xor_b32 s12, exec_lo, -1
; %bb.8110:                             ;   in Loop: Header=BB6_8085 Depth=2
	s_or_b32 exec_lo, exec_lo, s28
	s_and_b32 s12, s12, exec_lo
	s_or_saveexec_b32 s27, s27
	v_mov_b32_e32 v4, 0x7f800001
	s_xor_b32 exec_lo, exec_lo, s27
	s_cbranch_execnz .LBB6_9182
.LBB6_8111:                             ;   in Loop: Header=BB6_8085 Depth=2
	s_or_b32 exec_lo, exec_lo, s27
	s_and_saveexec_b32 s27, s12
	s_cbranch_execz .LBB6_8113
.LBB6_8112:                             ;   in Loop: Header=BB6_8085 Depth=2
	v_and_b32_e32 v4, 0xffff, v1
	v_lshlrev_b32_e32 v1, 24, v1
	v_and_b32_e32 v6, 7, v4
	v_bfe_u32 v9, v4, 3, 4
	v_and_b32_e32 v1, 0x80000000, v1
	v_ffbh_u32_e32 v7, v6
	v_cmp_eq_u32_e32 vcc_lo, 0, v9
	v_min_u32_e32 v7, 32, v7
	v_subrev_nc_u32_e32 v8, 28, v7
	v_sub_nc_u32_e32 v7, 29, v7
	v_lshlrev_b32_e32 v4, v8, v4
	v_cndmask_b32_e32 v7, v9, v7, vcc_lo
	v_and_b32_e32 v4, 7, v4
	v_cndmask_b32_e32 v4, v6, v4, vcc_lo
	v_lshl_add_u32 v6, v7, 23, 0x3b800000
	v_lshlrev_b32_e32 v4, 20, v4
	v_or3_b32 v4, v1, v6, v4
.LBB6_8113:                             ;   in Loop: Header=BB6_8085 Depth=2
	s_or_b32 exec_lo, exec_lo, s27
	v_mul_f32_e32 v1, v0, v4
	v_mov_b32_e32 v17, 0x80
	s_mov_b32 s27, exec_lo
	v_and_b32_e32 v4, 0x7f800000, v1
	v_cmpx_ne_u32_e32 0x7f800000, v4
	s_cbranch_execz .LBB6_8121
; %bb.8114:                             ;   in Loop: Header=BB6_8085 Depth=2
	v_mov_b32_e32 v17, 0
	s_mov_b32 s28, exec_lo
	v_cmpx_ne_u32_e32 0, v1
	s_cbranch_execz .LBB6_8120
; %bb.8115:                             ;   in Loop: Header=BB6_8085 Depth=2
	v_bfe_u32 v4, v1, 23, 8
	v_and_b32_e32 v6, 0x7fffff, v1
	v_sub_nc_u32_e32 v7, 0x78, v4
	v_cmp_gt_u32_e32 vcc_lo, 0x79, v4
	v_or_b32_e32 v8, 0x800000, v6
	v_cndmask_b32_e32 v7, 0, v7, vcc_lo
	v_cmp_eq_u32_e32 vcc_lo, 0, v4
	v_add_nc_u32_e32 v4, 0xffffff89, v4
	v_cndmask_b32_e64 v7, v7, 0x77, vcc_lo
	v_cndmask_b32_e32 v6, v8, v6, vcc_lo
	v_cndmask_b32_e64 v4, v4, 0xffffff8a, vcc_lo
	v_lshl_add_u32 v8, 0x100000, v7, -1
	v_lshrrev_b32_e32 v9, v7, v6
	v_lshlrev_b32_e64 v17, v7, 0x80000
	v_add_nc_u32_e32 v7, v7, v4
	v_and_b32_e32 v6, v8, v6
	v_bfe_u32 v16, v9, 20, 1
	v_cmp_eq_u32_e64 s12, v6, v17
	v_add_nc_u32_e32 v8, -1, v16
	v_cndmask_b32_e64 v6, 0, v8, s12
	v_lshrrev_b32_e32 v8, 23, v9
	s_mov_b32 s12, exec_lo
	v_add_nc_u32_e32 v6, v6, v9
	v_xor_b32_e32 v8, 1, v8
	v_and_b32_e32 v4, 0xfffff, v6
	v_add_nc_u32_e32 v6, v4, v9
                                        ; implicit-def: $vgpr4
	v_cmpx_ne_u32_e64 v7, v8
	s_xor_b32 s12, exec_lo, s12
; %bb.8116:                             ;   in Loop: Header=BB6_8085 Depth=2
	v_cmp_lt_u32_e32 vcc_lo, 0xffffff, v6
	v_sub_nc_u32_e32 v4, v7, v8
	v_cndmask_b32_e64 v7, 0, 1, vcc_lo
	v_add_co_ci_u32_e64 v4, null, 0, v4, vcc_lo
	v_lshrrev_b32_e32 v6, v7, v6
; %bb.8117:                             ;   in Loop: Header=BB6_8085 Depth=2
	s_andn2_saveexec_b32 s12, s12
; %bb.8118:                             ;   in Loop: Header=BB6_8085 Depth=2
	v_bfe_u32 v4, v6, 23, 1
; %bb.8119:                             ;   in Loop: Header=BB6_8085 Depth=2
	s_or_b32 exec_lo, exec_lo, s12
	v_lshrrev_b32_e32 v6, 20, v6
	v_cmp_gt_i32_e32 vcc_lo, 16, v4
	v_min_i32_e32 v7, 15, v4
	v_and_b32_sdwa v1, v1, v102 dst_sel:DWORD dst_unused:UNUSED_PAD src0_sel:BYTE_3 src1_sel:DWORD
	v_cndmask_b32_e32 v6, 7, v6, vcc_lo
	v_lshlrev_b32_e32 v7, 3, v7
	v_and_b32_e32 v8, 7, v6
	v_or_b32_e32 v4, v4, v6
	v_or3_b32 v1, v7, v1, v8
	v_cmp_ne_u32_e32 vcc_lo, 0, v4
	v_cndmask_b32_e32 v17, 0, v1, vcc_lo
.LBB6_8120:                             ;   in Loop: Header=BB6_8085 Depth=2
	s_or_b32 exec_lo, exec_lo, s28
.LBB6_8121:                             ;   in Loop: Header=BB6_8085 Depth=2
	s_or_b32 exec_lo, exec_lo, s27
	flat_load_ubyte v1, v[10:11] offset:64 slc
	s_mov_b32 s12, 0
	s_mov_b32 s27, exec_lo
	s_waitcnt vmcnt(0) lgkmcnt(0)
	v_cmpx_lt_i16_e32 0x7f, v1
	s_xor_b32 s27, exec_lo, s27
	s_cbranch_execz .LBB6_9183
; %bb.8122:                             ;   in Loop: Header=BB6_8085 Depth=2
	s_mov_b32 s12, -1
	s_mov_b32 s28, exec_lo
	v_cmpx_eq_u16_e32 0x80, v1
; %bb.8123:                             ;   in Loop: Header=BB6_8085 Depth=2
	s_xor_b32 s12, exec_lo, -1
; %bb.8124:                             ;   in Loop: Header=BB6_8085 Depth=2
	s_or_b32 exec_lo, exec_lo, s28
	s_and_b32 s12, s12, exec_lo
	s_or_saveexec_b32 s27, s27
	v_mov_b32_e32 v4, 0x7f800001
	s_xor_b32 exec_lo, exec_lo, s27
	s_cbranch_execnz .LBB6_9184
.LBB6_8125:                             ;   in Loop: Header=BB6_8085 Depth=2
	s_or_b32 exec_lo, exec_lo, s27
	s_and_saveexec_b32 s27, s12
	s_cbranch_execz .LBB6_8127
.LBB6_8126:                             ;   in Loop: Header=BB6_8085 Depth=2
	v_and_b32_e32 v4, 0xffff, v1
	v_lshlrev_b32_e32 v1, 24, v1
	v_and_b32_e32 v6, 7, v4
	v_bfe_u32 v9, v4, 3, 4
	v_and_b32_e32 v1, 0x80000000, v1
	v_ffbh_u32_e32 v7, v6
	v_cmp_eq_u32_e32 vcc_lo, 0, v9
	v_min_u32_e32 v7, 32, v7
	v_subrev_nc_u32_e32 v8, 28, v7
	v_sub_nc_u32_e32 v7, 29, v7
	v_lshlrev_b32_e32 v4, v8, v4
	v_cndmask_b32_e32 v7, v9, v7, vcc_lo
	v_and_b32_e32 v4, 7, v4
	v_cndmask_b32_e32 v4, v6, v4, vcc_lo
	v_lshl_add_u32 v6, v7, 23, 0x3b800000
	v_lshlrev_b32_e32 v4, 20, v4
	v_or3_b32 v4, v1, v6, v4
.LBB6_8127:                             ;   in Loop: Header=BB6_8085 Depth=2
	s_or_b32 exec_lo, exec_lo, s27
	v_mul_f32_e32 v1, v0, v4
	v_mov_b32_e32 v27, 0x80
	s_mov_b32 s27, exec_lo
	v_and_b32_e32 v4, 0x7f800000, v1
	v_cmpx_ne_u32_e32 0x7f800000, v4
	s_cbranch_execz .LBB6_8135
; %bb.8128:                             ;   in Loop: Header=BB6_8085 Depth=2
	v_mov_b32_e32 v27, 0
	s_mov_b32 s28, exec_lo
	v_cmpx_ne_u32_e32 0, v1
	s_cbranch_execz .LBB6_8134
; %bb.8129:                             ;   in Loop: Header=BB6_8085 Depth=2
	v_bfe_u32 v4, v1, 23, 8
	v_and_b32_e32 v6, 0x7fffff, v1
	v_sub_nc_u32_e32 v7, 0x78, v4
	v_cmp_gt_u32_e32 vcc_lo, 0x79, v4
	v_or_b32_e32 v8, 0x800000, v6
	v_cndmask_b32_e32 v7, 0, v7, vcc_lo
	v_cmp_eq_u32_e32 vcc_lo, 0, v4
	v_add_nc_u32_e32 v4, 0xffffff89, v4
	v_cndmask_b32_e64 v7, v7, 0x77, vcc_lo
	v_cndmask_b32_e32 v6, v8, v6, vcc_lo
	v_cndmask_b32_e64 v4, v4, 0xffffff8a, vcc_lo
	v_lshl_add_u32 v8, 0x100000, v7, -1
	v_lshrrev_b32_e32 v9, v7, v6
	v_lshlrev_b32_e64 v21, v7, 0x80000
	v_add_nc_u32_e32 v7, v7, v4
	v_and_b32_e32 v6, v8, v6
	v_bfe_u32 v16, v9, 20, 1
	v_cmp_eq_u32_e64 s12, v6, v21
	v_add_nc_u32_e32 v8, -1, v16
	v_cndmask_b32_e64 v6, 0, v8, s12
	v_lshrrev_b32_e32 v8, 23, v9
	s_mov_b32 s12, exec_lo
	v_add_nc_u32_e32 v6, v6, v9
	v_xor_b32_e32 v8, 1, v8
	v_and_b32_e32 v4, 0xfffff, v6
	v_add_nc_u32_e32 v6, v4, v9
                                        ; implicit-def: $vgpr4
	v_cmpx_ne_u32_e64 v7, v8
	s_xor_b32 s12, exec_lo, s12
; %bb.8130:                             ;   in Loop: Header=BB6_8085 Depth=2
	v_cmp_lt_u32_e32 vcc_lo, 0xffffff, v6
	v_sub_nc_u32_e32 v4, v7, v8
	v_cndmask_b32_e64 v7, 0, 1, vcc_lo
	v_add_co_ci_u32_e64 v4, null, 0, v4, vcc_lo
	v_lshrrev_b32_e32 v6, v7, v6
; %bb.8131:                             ;   in Loop: Header=BB6_8085 Depth=2
	s_andn2_saveexec_b32 s12, s12
; %bb.8132:                             ;   in Loop: Header=BB6_8085 Depth=2
	v_bfe_u32 v4, v6, 23, 1
; %bb.8133:                             ;   in Loop: Header=BB6_8085 Depth=2
	s_or_b32 exec_lo, exec_lo, s12
	v_lshrrev_b32_e32 v6, 20, v6
	v_cmp_gt_i32_e32 vcc_lo, 16, v4
	v_min_i32_e32 v7, 15, v4
	v_and_b32_sdwa v1, v1, v102 dst_sel:DWORD dst_unused:UNUSED_PAD src0_sel:BYTE_3 src1_sel:DWORD
	v_cndmask_b32_e32 v6, 7, v6, vcc_lo
	v_lshlrev_b32_e32 v7, 3, v7
	v_and_b32_e32 v8, 7, v6
	v_or_b32_e32 v4, v4, v6
	v_or3_b32 v1, v7, v1, v8
	v_cmp_ne_u32_e32 vcc_lo, 0, v4
	v_cndmask_b32_e32 v27, 0, v1, vcc_lo
.LBB6_8134:                             ;   in Loop: Header=BB6_8085 Depth=2
	s_or_b32 exec_lo, exec_lo, s28
.LBB6_8135:                             ;   in Loop: Header=BB6_8085 Depth=2
	s_or_b32 exec_lo, exec_lo, s27
	flat_load_ubyte v1, v[10:11] offset:96 slc
	s_mov_b32 s12, 0
	s_mov_b32 s27, exec_lo
	s_waitcnt vmcnt(0) lgkmcnt(0)
	v_cmpx_lt_i16_e32 0x7f, v1
	s_xor_b32 s27, exec_lo, s27
	s_cbranch_execz .LBB6_9185
; %bb.8136:                             ;   in Loop: Header=BB6_8085 Depth=2
	s_mov_b32 s12, -1
	s_mov_b32 s28, exec_lo
	v_cmpx_eq_u16_e32 0x80, v1
; %bb.8137:                             ;   in Loop: Header=BB6_8085 Depth=2
	s_xor_b32 s12, exec_lo, -1
; %bb.8138:                             ;   in Loop: Header=BB6_8085 Depth=2
	s_or_b32 exec_lo, exec_lo, s28
	s_and_b32 s12, s12, exec_lo
	s_or_saveexec_b32 s27, s27
	v_mov_b32_e32 v4, 0x7f800001
	s_xor_b32 exec_lo, exec_lo, s27
	s_cbranch_execnz .LBB6_9186
.LBB6_8139:                             ;   in Loop: Header=BB6_8085 Depth=2
	s_or_b32 exec_lo, exec_lo, s27
	s_and_saveexec_b32 s27, s12
	s_cbranch_execz .LBB6_8141
.LBB6_8140:                             ;   in Loop: Header=BB6_8085 Depth=2
	v_and_b32_e32 v4, 0xffff, v1
	v_lshlrev_b32_e32 v1, 24, v1
	v_and_b32_e32 v6, 7, v4
	v_bfe_u32 v9, v4, 3, 4
	v_and_b32_e32 v1, 0x80000000, v1
	v_ffbh_u32_e32 v7, v6
	v_cmp_eq_u32_e32 vcc_lo, 0, v9
	v_min_u32_e32 v7, 32, v7
	v_subrev_nc_u32_e32 v8, 28, v7
	v_sub_nc_u32_e32 v7, 29, v7
	v_lshlrev_b32_e32 v4, v8, v4
	v_cndmask_b32_e32 v7, v9, v7, vcc_lo
	v_and_b32_e32 v4, 7, v4
	v_cndmask_b32_e32 v4, v6, v4, vcc_lo
	v_lshl_add_u32 v6, v7, 23, 0x3b800000
	v_lshlrev_b32_e32 v4, 20, v4
	v_or3_b32 v4, v1, v6, v4
.LBB6_8141:                             ;   in Loop: Header=BB6_8085 Depth=2
	s_or_b32 exec_lo, exec_lo, s27
	v_mul_f32_e32 v1, v0, v4
	v_mov_b32_e32 v33, 0x80
	s_mov_b32 s27, exec_lo
	v_and_b32_e32 v4, 0x7f800000, v1
	v_cmpx_ne_u32_e32 0x7f800000, v4
	s_cbranch_execz .LBB6_8149
; %bb.8142:                             ;   in Loop: Header=BB6_8085 Depth=2
	v_mov_b32_e32 v33, 0
	s_mov_b32 s28, exec_lo
	v_cmpx_ne_u32_e32 0, v1
	s_cbranch_execz .LBB6_8148
; %bb.8143:                             ;   in Loop: Header=BB6_8085 Depth=2
	v_bfe_u32 v4, v1, 23, 8
	v_and_b32_e32 v6, 0x7fffff, v1
	v_sub_nc_u32_e32 v7, 0x78, v4
	v_cmp_gt_u32_e32 vcc_lo, 0x79, v4
	v_or_b32_e32 v8, 0x800000, v6
	v_cndmask_b32_e32 v7, 0, v7, vcc_lo
	v_cmp_eq_u32_e32 vcc_lo, 0, v4
	v_add_nc_u32_e32 v4, 0xffffff89, v4
	v_cndmask_b32_e64 v7, v7, 0x77, vcc_lo
	v_cndmask_b32_e32 v6, v8, v6, vcc_lo
	v_cndmask_b32_e64 v4, v4, 0xffffff8a, vcc_lo
	v_lshl_add_u32 v8, 0x100000, v7, -1
	v_lshrrev_b32_e32 v9, v7, v6
	v_lshlrev_b32_e64 v21, v7, 0x80000
	v_add_nc_u32_e32 v7, v7, v4
	v_and_b32_e32 v6, v8, v6
	v_bfe_u32 v16, v9, 20, 1
	v_cmp_eq_u32_e64 s12, v6, v21
	v_add_nc_u32_e32 v8, -1, v16
	v_cndmask_b32_e64 v6, 0, v8, s12
	v_lshrrev_b32_e32 v8, 23, v9
	s_mov_b32 s12, exec_lo
	v_add_nc_u32_e32 v6, v6, v9
	v_xor_b32_e32 v8, 1, v8
	v_and_b32_e32 v4, 0xfffff, v6
	v_add_nc_u32_e32 v6, v4, v9
                                        ; implicit-def: $vgpr4
	v_cmpx_ne_u32_e64 v7, v8
	s_xor_b32 s12, exec_lo, s12
; %bb.8144:                             ;   in Loop: Header=BB6_8085 Depth=2
	v_cmp_lt_u32_e32 vcc_lo, 0xffffff, v6
	v_sub_nc_u32_e32 v4, v7, v8
	v_cndmask_b32_e64 v7, 0, 1, vcc_lo
	v_add_co_ci_u32_e64 v4, null, 0, v4, vcc_lo
	v_lshrrev_b32_e32 v6, v7, v6
; %bb.8145:                             ;   in Loop: Header=BB6_8085 Depth=2
	s_andn2_saveexec_b32 s12, s12
; %bb.8146:                             ;   in Loop: Header=BB6_8085 Depth=2
	v_bfe_u32 v4, v6, 23, 1
; %bb.8147:                             ;   in Loop: Header=BB6_8085 Depth=2
	s_or_b32 exec_lo, exec_lo, s12
	v_lshrrev_b32_e32 v6, 20, v6
	v_cmp_gt_i32_e32 vcc_lo, 16, v4
	v_min_i32_e32 v7, 15, v4
	v_and_b32_sdwa v1, v1, v102 dst_sel:DWORD dst_unused:UNUSED_PAD src0_sel:BYTE_3 src1_sel:DWORD
	v_cndmask_b32_e32 v6, 7, v6, vcc_lo
	v_lshlrev_b32_e32 v7, 3, v7
	v_and_b32_e32 v8, 7, v6
	v_or_b32_e32 v4, v4, v6
	v_or3_b32 v1, v7, v1, v8
	v_cmp_ne_u32_e32 vcc_lo, 0, v4
	v_cndmask_b32_e32 v33, 0, v1, vcc_lo
.LBB6_8148:                             ;   in Loop: Header=BB6_8085 Depth=2
	s_or_b32 exec_lo, exec_lo, s28
.LBB6_8149:                             ;   in Loop: Header=BB6_8085 Depth=2
	s_or_b32 exec_lo, exec_lo, s27
	flat_load_ubyte v1, v[10:11] offset:128 slc
	s_mov_b32 s12, 0
	s_mov_b32 s27, exec_lo
	s_waitcnt vmcnt(0) lgkmcnt(0)
	v_cmpx_lt_i16_e32 0x7f, v1
	s_xor_b32 s27, exec_lo, s27
	s_cbranch_execz .LBB6_9187
; %bb.8150:                             ;   in Loop: Header=BB6_8085 Depth=2
	s_mov_b32 s12, -1
	s_mov_b32 s28, exec_lo
	v_cmpx_eq_u16_e32 0x80, v1
; %bb.8151:                             ;   in Loop: Header=BB6_8085 Depth=2
	s_xor_b32 s12, exec_lo, -1
; %bb.8152:                             ;   in Loop: Header=BB6_8085 Depth=2
	s_or_b32 exec_lo, exec_lo, s28
	s_and_b32 s12, s12, exec_lo
	s_or_saveexec_b32 s27, s27
	v_mov_b32_e32 v4, 0x7f800001
	s_xor_b32 exec_lo, exec_lo, s27
	s_cbranch_execnz .LBB6_9188
.LBB6_8153:                             ;   in Loop: Header=BB6_8085 Depth=2
	s_or_b32 exec_lo, exec_lo, s27
	s_and_saveexec_b32 s27, s12
	s_cbranch_execz .LBB6_8155
.LBB6_8154:                             ;   in Loop: Header=BB6_8085 Depth=2
	v_and_b32_e32 v4, 0xffff, v1
	v_lshlrev_b32_e32 v1, 24, v1
	v_and_b32_e32 v6, 7, v4
	v_bfe_u32 v9, v4, 3, 4
	v_and_b32_e32 v1, 0x80000000, v1
	v_ffbh_u32_e32 v7, v6
	v_cmp_eq_u32_e32 vcc_lo, 0, v9
	v_min_u32_e32 v7, 32, v7
	v_subrev_nc_u32_e32 v8, 28, v7
	v_sub_nc_u32_e32 v7, 29, v7
	v_lshlrev_b32_e32 v4, v8, v4
	v_cndmask_b32_e32 v7, v9, v7, vcc_lo
	v_and_b32_e32 v4, 7, v4
	v_cndmask_b32_e32 v4, v6, v4, vcc_lo
	v_lshl_add_u32 v6, v7, 23, 0x3b800000
	v_lshlrev_b32_e32 v4, 20, v4
	v_or3_b32 v4, v1, v6, v4
.LBB6_8155:                             ;   in Loop: Header=BB6_8085 Depth=2
	s_or_b32 exec_lo, exec_lo, s27
	v_mul_f32_e32 v1, v0, v4
	v_mov_b32_e32 v48, 0x80
	s_mov_b32 s27, exec_lo
	v_and_b32_e32 v4, 0x7f800000, v1
	v_cmpx_ne_u32_e32 0x7f800000, v4
	s_cbranch_execz .LBB6_8163
; %bb.8156:                             ;   in Loop: Header=BB6_8085 Depth=2
	v_mov_b32_e32 v48, 0
	s_mov_b32 s28, exec_lo
	v_cmpx_ne_u32_e32 0, v1
	s_cbranch_execz .LBB6_8162
; %bb.8157:                             ;   in Loop: Header=BB6_8085 Depth=2
	v_bfe_u32 v4, v1, 23, 8
	v_and_b32_e32 v6, 0x7fffff, v1
	v_sub_nc_u32_e32 v7, 0x78, v4
	v_cmp_gt_u32_e32 vcc_lo, 0x79, v4
	v_or_b32_e32 v8, 0x800000, v6
	v_cndmask_b32_e32 v7, 0, v7, vcc_lo
	v_cmp_eq_u32_e32 vcc_lo, 0, v4
	v_add_nc_u32_e32 v4, 0xffffff89, v4
	v_cndmask_b32_e64 v7, v7, 0x77, vcc_lo
	v_cndmask_b32_e32 v6, v8, v6, vcc_lo
	v_cndmask_b32_e64 v4, v4, 0xffffff8a, vcc_lo
	v_lshl_add_u32 v8, 0x100000, v7, -1
	v_lshrrev_b32_e32 v9, v7, v6
	v_lshlrev_b32_e64 v21, v7, 0x80000
	v_add_nc_u32_e32 v7, v7, v4
	v_and_b32_e32 v6, v8, v6
	v_bfe_u32 v16, v9, 20, 1
	v_cmp_eq_u32_e64 s12, v6, v21
	v_add_nc_u32_e32 v8, -1, v16
	v_cndmask_b32_e64 v6, 0, v8, s12
	v_lshrrev_b32_e32 v8, 23, v9
	s_mov_b32 s12, exec_lo
	v_add_nc_u32_e32 v6, v6, v9
	v_xor_b32_e32 v8, 1, v8
	v_and_b32_e32 v4, 0xfffff, v6
	v_add_nc_u32_e32 v6, v4, v9
                                        ; implicit-def: $vgpr4
	v_cmpx_ne_u32_e64 v7, v8
	s_xor_b32 s12, exec_lo, s12
; %bb.8158:                             ;   in Loop: Header=BB6_8085 Depth=2
	v_cmp_lt_u32_e32 vcc_lo, 0xffffff, v6
	v_sub_nc_u32_e32 v4, v7, v8
	v_cndmask_b32_e64 v7, 0, 1, vcc_lo
	v_add_co_ci_u32_e64 v4, null, 0, v4, vcc_lo
	v_lshrrev_b32_e32 v6, v7, v6
; %bb.8159:                             ;   in Loop: Header=BB6_8085 Depth=2
	s_andn2_saveexec_b32 s12, s12
; %bb.8160:                             ;   in Loop: Header=BB6_8085 Depth=2
	v_bfe_u32 v4, v6, 23, 1
; %bb.8161:                             ;   in Loop: Header=BB6_8085 Depth=2
	s_or_b32 exec_lo, exec_lo, s12
	v_lshrrev_b32_e32 v6, 20, v6
	v_cmp_gt_i32_e32 vcc_lo, 16, v4
	v_min_i32_e32 v7, 15, v4
	v_and_b32_sdwa v1, v1, v102 dst_sel:DWORD dst_unused:UNUSED_PAD src0_sel:BYTE_3 src1_sel:DWORD
	v_cndmask_b32_e32 v6, 7, v6, vcc_lo
	v_lshlrev_b32_e32 v7, 3, v7
	v_and_b32_e32 v8, 7, v6
	v_or_b32_e32 v4, v4, v6
	v_or3_b32 v1, v7, v1, v8
	v_cmp_ne_u32_e32 vcc_lo, 0, v4
	v_cndmask_b32_e32 v48, 0, v1, vcc_lo
.LBB6_8162:                             ;   in Loop: Header=BB6_8085 Depth=2
	s_or_b32 exec_lo, exec_lo, s28
.LBB6_8163:                             ;   in Loop: Header=BB6_8085 Depth=2
	s_or_b32 exec_lo, exec_lo, s27
	flat_load_ubyte v1, v[10:11] offset:160 slc
	s_mov_b32 s12, 0
	s_mov_b32 s27, exec_lo
	s_waitcnt vmcnt(0) lgkmcnt(0)
	v_cmpx_lt_i16_e32 0x7f, v1
	s_xor_b32 s27, exec_lo, s27
	s_cbranch_execz .LBB6_9189
; %bb.8164:                             ;   in Loop: Header=BB6_8085 Depth=2
	s_mov_b32 s12, -1
	s_mov_b32 s28, exec_lo
	v_cmpx_eq_u16_e32 0x80, v1
; %bb.8165:                             ;   in Loop: Header=BB6_8085 Depth=2
	s_xor_b32 s12, exec_lo, -1
; %bb.8166:                             ;   in Loop: Header=BB6_8085 Depth=2
	s_or_b32 exec_lo, exec_lo, s28
	s_and_b32 s12, s12, exec_lo
	s_or_saveexec_b32 s27, s27
	v_mov_b32_e32 v4, 0x7f800001
	s_xor_b32 exec_lo, exec_lo, s27
	s_cbranch_execnz .LBB6_9190
.LBB6_8167:                             ;   in Loop: Header=BB6_8085 Depth=2
	s_or_b32 exec_lo, exec_lo, s27
	s_and_saveexec_b32 s27, s12
	s_cbranch_execz .LBB6_8169
.LBB6_8168:                             ;   in Loop: Header=BB6_8085 Depth=2
	v_and_b32_e32 v4, 0xffff, v1
	v_lshlrev_b32_e32 v1, 24, v1
	v_and_b32_e32 v6, 7, v4
	v_bfe_u32 v9, v4, 3, 4
	v_and_b32_e32 v1, 0x80000000, v1
	v_ffbh_u32_e32 v7, v6
	v_cmp_eq_u32_e32 vcc_lo, 0, v9
	v_min_u32_e32 v7, 32, v7
	v_subrev_nc_u32_e32 v8, 28, v7
	v_sub_nc_u32_e32 v7, 29, v7
	v_lshlrev_b32_e32 v4, v8, v4
	v_cndmask_b32_e32 v7, v9, v7, vcc_lo
	v_and_b32_e32 v4, 7, v4
	v_cndmask_b32_e32 v4, v6, v4, vcc_lo
	v_lshl_add_u32 v6, v7, 23, 0x3b800000
	v_lshlrev_b32_e32 v4, 20, v4
	v_or3_b32 v4, v1, v6, v4
.LBB6_8169:                             ;   in Loop: Header=BB6_8085 Depth=2
	s_or_b32 exec_lo, exec_lo, s27
	v_mul_f32_e32 v1, v0, v4
	v_mov_b32_e32 v67, 0x80
	s_mov_b32 s27, exec_lo
	v_and_b32_e32 v4, 0x7f800000, v1
	v_cmpx_ne_u32_e32 0x7f800000, v4
	s_cbranch_execz .LBB6_8177
; %bb.8170:                             ;   in Loop: Header=BB6_8085 Depth=2
	v_mov_b32_e32 v67, 0
	s_mov_b32 s28, exec_lo
	v_cmpx_ne_u32_e32 0, v1
	s_cbranch_execz .LBB6_8176
; %bb.8171:                             ;   in Loop: Header=BB6_8085 Depth=2
	v_bfe_u32 v4, v1, 23, 8
	v_and_b32_e32 v6, 0x7fffff, v1
	v_sub_nc_u32_e32 v7, 0x78, v4
	v_cmp_gt_u32_e32 vcc_lo, 0x79, v4
	v_or_b32_e32 v8, 0x800000, v6
	v_cndmask_b32_e32 v7, 0, v7, vcc_lo
	v_cmp_eq_u32_e32 vcc_lo, 0, v4
	v_add_nc_u32_e32 v4, 0xffffff89, v4
	v_cndmask_b32_e64 v7, v7, 0x77, vcc_lo
	v_cndmask_b32_e32 v6, v8, v6, vcc_lo
	v_cndmask_b32_e64 v4, v4, 0xffffff8a, vcc_lo
	v_lshl_add_u32 v8, 0x100000, v7, -1
	v_lshrrev_b32_e32 v9, v7, v6
	v_lshlrev_b32_e64 v21, v7, 0x80000
	v_add_nc_u32_e32 v7, v7, v4
	v_and_b32_e32 v6, v8, v6
	v_bfe_u32 v16, v9, 20, 1
	v_cmp_eq_u32_e64 s12, v6, v21
	v_add_nc_u32_e32 v8, -1, v16
	v_cndmask_b32_e64 v6, 0, v8, s12
	v_lshrrev_b32_e32 v8, 23, v9
	s_mov_b32 s12, exec_lo
	v_add_nc_u32_e32 v6, v6, v9
	v_xor_b32_e32 v8, 1, v8
	v_and_b32_e32 v4, 0xfffff, v6
	v_add_nc_u32_e32 v6, v4, v9
                                        ; implicit-def: $vgpr4
	v_cmpx_ne_u32_e64 v7, v8
	s_xor_b32 s12, exec_lo, s12
; %bb.8172:                             ;   in Loop: Header=BB6_8085 Depth=2
	v_cmp_lt_u32_e32 vcc_lo, 0xffffff, v6
	v_sub_nc_u32_e32 v4, v7, v8
	v_cndmask_b32_e64 v7, 0, 1, vcc_lo
	v_add_co_ci_u32_e64 v4, null, 0, v4, vcc_lo
	v_lshrrev_b32_e32 v6, v7, v6
; %bb.8173:                             ;   in Loop: Header=BB6_8085 Depth=2
	s_andn2_saveexec_b32 s12, s12
; %bb.8174:                             ;   in Loop: Header=BB6_8085 Depth=2
	v_bfe_u32 v4, v6, 23, 1
; %bb.8175:                             ;   in Loop: Header=BB6_8085 Depth=2
	s_or_b32 exec_lo, exec_lo, s12
	v_lshrrev_b32_e32 v6, 20, v6
	v_cmp_gt_i32_e32 vcc_lo, 16, v4
	v_min_i32_e32 v7, 15, v4
	v_and_b32_sdwa v1, v1, v102 dst_sel:DWORD dst_unused:UNUSED_PAD src0_sel:BYTE_3 src1_sel:DWORD
	v_cndmask_b32_e32 v6, 7, v6, vcc_lo
	v_lshlrev_b32_e32 v7, 3, v7
	v_and_b32_e32 v8, 7, v6
	v_or_b32_e32 v4, v4, v6
	v_or3_b32 v1, v7, v1, v8
	v_cmp_ne_u32_e32 vcc_lo, 0, v4
	v_cndmask_b32_e32 v67, 0, v1, vcc_lo
.LBB6_8176:                             ;   in Loop: Header=BB6_8085 Depth=2
	s_or_b32 exec_lo, exec_lo, s28
.LBB6_8177:                             ;   in Loop: Header=BB6_8085 Depth=2
	s_or_b32 exec_lo, exec_lo, s27
	flat_load_ubyte v1, v[10:11] offset:192 slc
	s_mov_b32 s12, 0
	s_mov_b32 s27, exec_lo
	s_waitcnt vmcnt(0) lgkmcnt(0)
	v_cmpx_lt_i16_e32 0x7f, v1
	s_xor_b32 s27, exec_lo, s27
	s_cbranch_execz .LBB6_9191
; %bb.8178:                             ;   in Loop: Header=BB6_8085 Depth=2
	s_mov_b32 s12, -1
	s_mov_b32 s28, exec_lo
	v_cmpx_eq_u16_e32 0x80, v1
; %bb.8179:                             ;   in Loop: Header=BB6_8085 Depth=2
	s_xor_b32 s12, exec_lo, -1
; %bb.8180:                             ;   in Loop: Header=BB6_8085 Depth=2
	s_or_b32 exec_lo, exec_lo, s28
	s_and_b32 s12, s12, exec_lo
	s_or_saveexec_b32 s27, s27
	v_mov_b32_e32 v4, 0x7f800001
	s_xor_b32 exec_lo, exec_lo, s27
	s_cbranch_execnz .LBB6_9192
.LBB6_8181:                             ;   in Loop: Header=BB6_8085 Depth=2
	s_or_b32 exec_lo, exec_lo, s27
	s_and_saveexec_b32 s27, s12
	s_cbranch_execz .LBB6_8183
.LBB6_8182:                             ;   in Loop: Header=BB6_8085 Depth=2
	v_and_b32_e32 v4, 0xffff, v1
	v_lshlrev_b32_e32 v1, 24, v1
	v_and_b32_e32 v6, 7, v4
	v_bfe_u32 v9, v4, 3, 4
	v_and_b32_e32 v1, 0x80000000, v1
	v_ffbh_u32_e32 v7, v6
	v_cmp_eq_u32_e32 vcc_lo, 0, v9
	v_min_u32_e32 v7, 32, v7
	v_subrev_nc_u32_e32 v8, 28, v7
	v_sub_nc_u32_e32 v7, 29, v7
	v_lshlrev_b32_e32 v4, v8, v4
	v_cndmask_b32_e32 v7, v9, v7, vcc_lo
	v_and_b32_e32 v4, 7, v4
	v_cndmask_b32_e32 v4, v6, v4, vcc_lo
	v_lshl_add_u32 v6, v7, 23, 0x3b800000
	v_lshlrev_b32_e32 v4, 20, v4
	v_or3_b32 v4, v1, v6, v4
.LBB6_8183:                             ;   in Loop: Header=BB6_8085 Depth=2
	s_or_b32 exec_lo, exec_lo, s27
	v_mul_f32_e32 v1, v0, v4
	v_mov_b32_e32 v80, 0x80
	s_mov_b32 s27, exec_lo
	v_and_b32_e32 v4, 0x7f800000, v1
	v_cmpx_ne_u32_e32 0x7f800000, v4
	s_cbranch_execz .LBB6_8191
; %bb.8184:                             ;   in Loop: Header=BB6_8085 Depth=2
	v_mov_b32_e32 v80, 0
	s_mov_b32 s28, exec_lo
	v_cmpx_ne_u32_e32 0, v1
	s_cbranch_execz .LBB6_8190
; %bb.8185:                             ;   in Loop: Header=BB6_8085 Depth=2
	v_bfe_u32 v4, v1, 23, 8
	v_and_b32_e32 v6, 0x7fffff, v1
	v_sub_nc_u32_e32 v7, 0x78, v4
	v_cmp_gt_u32_e32 vcc_lo, 0x79, v4
	v_or_b32_e32 v8, 0x800000, v6
	v_cndmask_b32_e32 v7, 0, v7, vcc_lo
	v_cmp_eq_u32_e32 vcc_lo, 0, v4
	v_add_nc_u32_e32 v4, 0xffffff89, v4
	v_cndmask_b32_e64 v7, v7, 0x77, vcc_lo
	v_cndmask_b32_e32 v6, v8, v6, vcc_lo
	v_cndmask_b32_e64 v4, v4, 0xffffff8a, vcc_lo
	v_lshl_add_u32 v8, 0x100000, v7, -1
	v_lshrrev_b32_e32 v9, v7, v6
	v_lshlrev_b32_e64 v21, v7, 0x80000
	v_add_nc_u32_e32 v7, v7, v4
	v_and_b32_e32 v6, v8, v6
	v_bfe_u32 v16, v9, 20, 1
	v_cmp_eq_u32_e64 s12, v6, v21
	v_add_nc_u32_e32 v8, -1, v16
	v_cndmask_b32_e64 v6, 0, v8, s12
	v_lshrrev_b32_e32 v8, 23, v9
	s_mov_b32 s12, exec_lo
	v_add_nc_u32_e32 v6, v6, v9
	v_xor_b32_e32 v8, 1, v8
	v_and_b32_e32 v4, 0xfffff, v6
	v_add_nc_u32_e32 v6, v4, v9
                                        ; implicit-def: $vgpr4
	v_cmpx_ne_u32_e64 v7, v8
	s_xor_b32 s12, exec_lo, s12
; %bb.8186:                             ;   in Loop: Header=BB6_8085 Depth=2
	v_cmp_lt_u32_e32 vcc_lo, 0xffffff, v6
	v_sub_nc_u32_e32 v4, v7, v8
	v_cndmask_b32_e64 v7, 0, 1, vcc_lo
	v_add_co_ci_u32_e64 v4, null, 0, v4, vcc_lo
	v_lshrrev_b32_e32 v6, v7, v6
; %bb.8187:                             ;   in Loop: Header=BB6_8085 Depth=2
	s_andn2_saveexec_b32 s12, s12
; %bb.8188:                             ;   in Loop: Header=BB6_8085 Depth=2
	v_bfe_u32 v4, v6, 23, 1
; %bb.8189:                             ;   in Loop: Header=BB6_8085 Depth=2
	s_or_b32 exec_lo, exec_lo, s12
	v_lshrrev_b32_e32 v6, 20, v6
	v_cmp_gt_i32_e32 vcc_lo, 16, v4
	v_min_i32_e32 v7, 15, v4
	v_and_b32_sdwa v1, v1, v102 dst_sel:DWORD dst_unused:UNUSED_PAD src0_sel:BYTE_3 src1_sel:DWORD
	v_cndmask_b32_e32 v6, 7, v6, vcc_lo
	v_lshlrev_b32_e32 v7, 3, v7
	v_and_b32_e32 v8, 7, v6
	v_or_b32_e32 v4, v4, v6
	v_or3_b32 v1, v7, v1, v8
	v_cmp_ne_u32_e32 vcc_lo, 0, v4
	v_cndmask_b32_e32 v80, 0, v1, vcc_lo
.LBB6_8190:                             ;   in Loop: Header=BB6_8085 Depth=2
	s_or_b32 exec_lo, exec_lo, s28
.LBB6_8191:                             ;   in Loop: Header=BB6_8085 Depth=2
	s_or_b32 exec_lo, exec_lo, s27
	flat_load_ubyte v1, v[10:11] offset:224 slc
	s_mov_b32 s12, 0
	s_mov_b32 s27, exec_lo
	s_waitcnt vmcnt(0) lgkmcnt(0)
	v_cmpx_lt_i16_e32 0x7f, v1
	s_xor_b32 s27, exec_lo, s27
	s_cbranch_execz .LBB6_9193
; %bb.8192:                             ;   in Loop: Header=BB6_8085 Depth=2
	s_mov_b32 s12, -1
	s_mov_b32 s28, exec_lo
	v_cmpx_eq_u16_e32 0x80, v1
; %bb.8193:                             ;   in Loop: Header=BB6_8085 Depth=2
	s_xor_b32 s12, exec_lo, -1
; %bb.8194:                             ;   in Loop: Header=BB6_8085 Depth=2
	s_or_b32 exec_lo, exec_lo, s28
	s_and_b32 s12, s12, exec_lo
	s_or_saveexec_b32 s27, s27
	v_mov_b32_e32 v4, 0x7f800001
	s_xor_b32 exec_lo, exec_lo, s27
	s_cbranch_execnz .LBB6_9194
.LBB6_8195:                             ;   in Loop: Header=BB6_8085 Depth=2
	s_or_b32 exec_lo, exec_lo, s27
	s_and_saveexec_b32 s27, s12
	s_cbranch_execz .LBB6_8197
.LBB6_8196:                             ;   in Loop: Header=BB6_8085 Depth=2
	v_and_b32_e32 v4, 0xffff, v1
	v_lshlrev_b32_e32 v1, 24, v1
	v_and_b32_e32 v6, 7, v4
	v_bfe_u32 v9, v4, 3, 4
	v_and_b32_e32 v1, 0x80000000, v1
	v_ffbh_u32_e32 v7, v6
	v_cmp_eq_u32_e32 vcc_lo, 0, v9
	v_min_u32_e32 v7, 32, v7
	v_subrev_nc_u32_e32 v8, 28, v7
	v_sub_nc_u32_e32 v7, 29, v7
	v_lshlrev_b32_e32 v4, v8, v4
	v_cndmask_b32_e32 v7, v9, v7, vcc_lo
	v_and_b32_e32 v4, 7, v4
	v_cndmask_b32_e32 v4, v6, v4, vcc_lo
	v_lshl_add_u32 v6, v7, 23, 0x3b800000
	v_lshlrev_b32_e32 v4, 20, v4
	v_or3_b32 v4, v1, v6, v4
.LBB6_8197:                             ;   in Loop: Header=BB6_8085 Depth=2
	s_or_b32 exec_lo, exec_lo, s27
	v_mul_f32_e32 v1, v0, v4
	v_mov_b32_e32 v82, 0x80
	s_mov_b32 s27, exec_lo
	v_and_b32_e32 v4, 0x7f800000, v1
	v_cmpx_ne_u32_e32 0x7f800000, v4
	s_cbranch_execz .LBB6_8205
; %bb.8198:                             ;   in Loop: Header=BB6_8085 Depth=2
	v_mov_b32_e32 v82, 0
	s_mov_b32 s28, exec_lo
	v_cmpx_ne_u32_e32 0, v1
	s_cbranch_execz .LBB6_8204
; %bb.8199:                             ;   in Loop: Header=BB6_8085 Depth=2
	v_bfe_u32 v4, v1, 23, 8
	v_and_b32_e32 v6, 0x7fffff, v1
	v_sub_nc_u32_e32 v7, 0x78, v4
	v_cmp_gt_u32_e32 vcc_lo, 0x79, v4
	v_or_b32_e32 v8, 0x800000, v6
	v_cndmask_b32_e32 v7, 0, v7, vcc_lo
	v_cmp_eq_u32_e32 vcc_lo, 0, v4
	v_add_nc_u32_e32 v4, 0xffffff89, v4
	v_cndmask_b32_e64 v7, v7, 0x77, vcc_lo
	v_cndmask_b32_e32 v6, v8, v6, vcc_lo
	v_cndmask_b32_e64 v4, v4, 0xffffff8a, vcc_lo
	v_lshl_add_u32 v8, 0x100000, v7, -1
	v_lshrrev_b32_e32 v9, v7, v6
	v_lshlrev_b32_e64 v21, v7, 0x80000
	v_add_nc_u32_e32 v7, v7, v4
	v_and_b32_e32 v6, v8, v6
	v_bfe_u32 v16, v9, 20, 1
	v_cmp_eq_u32_e64 s12, v6, v21
	v_add_nc_u32_e32 v8, -1, v16
	v_cndmask_b32_e64 v6, 0, v8, s12
	v_lshrrev_b32_e32 v8, 23, v9
	s_mov_b32 s12, exec_lo
	v_add_nc_u32_e32 v6, v6, v9
	v_xor_b32_e32 v8, 1, v8
	v_and_b32_e32 v4, 0xfffff, v6
	v_add_nc_u32_e32 v6, v4, v9
                                        ; implicit-def: $vgpr4
	v_cmpx_ne_u32_e64 v7, v8
	s_xor_b32 s12, exec_lo, s12
; %bb.8200:                             ;   in Loop: Header=BB6_8085 Depth=2
	v_cmp_lt_u32_e32 vcc_lo, 0xffffff, v6
	v_sub_nc_u32_e32 v4, v7, v8
	v_cndmask_b32_e64 v7, 0, 1, vcc_lo
	v_add_co_ci_u32_e64 v4, null, 0, v4, vcc_lo
	v_lshrrev_b32_e32 v6, v7, v6
; %bb.8201:                             ;   in Loop: Header=BB6_8085 Depth=2
	s_andn2_saveexec_b32 s12, s12
; %bb.8202:                             ;   in Loop: Header=BB6_8085 Depth=2
	v_bfe_u32 v4, v6, 23, 1
; %bb.8203:                             ;   in Loop: Header=BB6_8085 Depth=2
	s_or_b32 exec_lo, exec_lo, s12
	v_lshrrev_b32_e32 v6, 20, v6
	v_cmp_gt_i32_e32 vcc_lo, 16, v4
	v_min_i32_e32 v7, 15, v4
	v_and_b32_sdwa v1, v1, v102 dst_sel:DWORD dst_unused:UNUSED_PAD src0_sel:BYTE_3 src1_sel:DWORD
	v_cndmask_b32_e32 v6, 7, v6, vcc_lo
	v_lshlrev_b32_e32 v7, 3, v7
	v_and_b32_e32 v8, 7, v6
	v_or_b32_e32 v4, v4, v6
	v_or3_b32 v1, v7, v1, v8
	v_cmp_ne_u32_e32 vcc_lo, 0, v4
	v_cndmask_b32_e32 v82, 0, v1, vcc_lo
.LBB6_8204:                             ;   in Loop: Header=BB6_8085 Depth=2
	s_or_b32 exec_lo, exec_lo, s28
.LBB6_8205:                             ;   in Loop: Header=BB6_8085 Depth=2
	s_or_b32 exec_lo, exec_lo, s27
	flat_load_ubyte v1, v[10:11] offset:256 slc
	s_mov_b32 s12, 0
	s_mov_b32 s27, exec_lo
	s_waitcnt vmcnt(0) lgkmcnt(0)
	v_cmpx_lt_i16_e32 0x7f, v1
	s_xor_b32 s27, exec_lo, s27
	s_cbranch_execz .LBB6_9195
; %bb.8206:                             ;   in Loop: Header=BB6_8085 Depth=2
	s_mov_b32 s12, -1
	s_mov_b32 s28, exec_lo
	v_cmpx_eq_u16_e32 0x80, v1
; %bb.8207:                             ;   in Loop: Header=BB6_8085 Depth=2
	s_xor_b32 s12, exec_lo, -1
; %bb.8208:                             ;   in Loop: Header=BB6_8085 Depth=2
	s_or_b32 exec_lo, exec_lo, s28
	s_and_b32 s12, s12, exec_lo
	s_or_saveexec_b32 s27, s27
	v_mov_b32_e32 v4, 0x7f800001
	s_xor_b32 exec_lo, exec_lo, s27
	s_cbranch_execnz .LBB6_9196
.LBB6_8209:                             ;   in Loop: Header=BB6_8085 Depth=2
	s_or_b32 exec_lo, exec_lo, s27
	s_and_saveexec_b32 s27, s12
	s_cbranch_execz .LBB6_8211
.LBB6_8210:                             ;   in Loop: Header=BB6_8085 Depth=2
	v_and_b32_e32 v4, 0xffff, v1
	v_lshlrev_b32_e32 v1, 24, v1
	v_and_b32_e32 v6, 7, v4
	v_bfe_u32 v9, v4, 3, 4
	v_and_b32_e32 v1, 0x80000000, v1
	v_ffbh_u32_e32 v7, v6
	v_cmp_eq_u32_e32 vcc_lo, 0, v9
	v_min_u32_e32 v7, 32, v7
	v_subrev_nc_u32_e32 v8, 28, v7
	v_sub_nc_u32_e32 v7, 29, v7
	v_lshlrev_b32_e32 v4, v8, v4
	v_cndmask_b32_e32 v7, v9, v7, vcc_lo
	v_and_b32_e32 v4, 7, v4
	v_cndmask_b32_e32 v4, v6, v4, vcc_lo
	v_lshl_add_u32 v6, v7, 23, 0x3b800000
	v_lshlrev_b32_e32 v4, 20, v4
	v_or3_b32 v4, v1, v6, v4
.LBB6_8211:                             ;   in Loop: Header=BB6_8085 Depth=2
	s_or_b32 exec_lo, exec_lo, s27
	v_mul_f32_e32 v1, v0, v4
	v_mov_b32_e32 v71, 0x80
	s_mov_b32 s27, exec_lo
	v_and_b32_e32 v4, 0x7f800000, v1
	v_cmpx_ne_u32_e32 0x7f800000, v4
	s_cbranch_execz .LBB6_8219
; %bb.8212:                             ;   in Loop: Header=BB6_8085 Depth=2
	v_mov_b32_e32 v71, 0
	s_mov_b32 s28, exec_lo
	v_cmpx_ne_u32_e32 0, v1
	s_cbranch_execz .LBB6_8218
; %bb.8213:                             ;   in Loop: Header=BB6_8085 Depth=2
	v_bfe_u32 v4, v1, 23, 8
	v_and_b32_e32 v6, 0x7fffff, v1
	v_sub_nc_u32_e32 v7, 0x78, v4
	v_cmp_gt_u32_e32 vcc_lo, 0x79, v4
	v_or_b32_e32 v8, 0x800000, v6
	v_cndmask_b32_e32 v7, 0, v7, vcc_lo
	v_cmp_eq_u32_e32 vcc_lo, 0, v4
	v_add_nc_u32_e32 v4, 0xffffff89, v4
	v_cndmask_b32_e64 v7, v7, 0x77, vcc_lo
	v_cndmask_b32_e32 v6, v8, v6, vcc_lo
	v_cndmask_b32_e64 v4, v4, 0xffffff8a, vcc_lo
	v_lshl_add_u32 v8, 0x100000, v7, -1
	v_lshrrev_b32_e32 v9, v7, v6
	v_lshlrev_b32_e64 v21, v7, 0x80000
	v_add_nc_u32_e32 v7, v7, v4
	v_and_b32_e32 v6, v8, v6
	v_bfe_u32 v16, v9, 20, 1
	v_cmp_eq_u32_e64 s12, v6, v21
	v_add_nc_u32_e32 v8, -1, v16
	v_cndmask_b32_e64 v6, 0, v8, s12
	v_lshrrev_b32_e32 v8, 23, v9
	s_mov_b32 s12, exec_lo
	v_add_nc_u32_e32 v6, v6, v9
	v_xor_b32_e32 v8, 1, v8
	v_and_b32_e32 v4, 0xfffff, v6
	v_add_nc_u32_e32 v6, v4, v9
                                        ; implicit-def: $vgpr4
	v_cmpx_ne_u32_e64 v7, v8
	s_xor_b32 s12, exec_lo, s12
; %bb.8214:                             ;   in Loop: Header=BB6_8085 Depth=2
	v_cmp_lt_u32_e32 vcc_lo, 0xffffff, v6
	v_sub_nc_u32_e32 v4, v7, v8
	v_cndmask_b32_e64 v7, 0, 1, vcc_lo
	v_add_co_ci_u32_e64 v4, null, 0, v4, vcc_lo
	v_lshrrev_b32_e32 v6, v7, v6
; %bb.8215:                             ;   in Loop: Header=BB6_8085 Depth=2
	s_andn2_saveexec_b32 s12, s12
; %bb.8216:                             ;   in Loop: Header=BB6_8085 Depth=2
	v_bfe_u32 v4, v6, 23, 1
; %bb.8217:                             ;   in Loop: Header=BB6_8085 Depth=2
	s_or_b32 exec_lo, exec_lo, s12
	v_lshrrev_b32_e32 v6, 20, v6
	v_cmp_gt_i32_e32 vcc_lo, 16, v4
	v_min_i32_e32 v7, 15, v4
	v_and_b32_sdwa v1, v1, v102 dst_sel:DWORD dst_unused:UNUSED_PAD src0_sel:BYTE_3 src1_sel:DWORD
	v_cndmask_b32_e32 v6, 7, v6, vcc_lo
	v_lshlrev_b32_e32 v7, 3, v7
	v_and_b32_e32 v8, 7, v6
	v_or_b32_e32 v4, v4, v6
	v_or3_b32 v1, v7, v1, v8
	v_cmp_ne_u32_e32 vcc_lo, 0, v4
	v_cndmask_b32_e32 v71, 0, v1, vcc_lo
.LBB6_8218:                             ;   in Loop: Header=BB6_8085 Depth=2
	s_or_b32 exec_lo, exec_lo, s28
.LBB6_8219:                             ;   in Loop: Header=BB6_8085 Depth=2
	s_or_b32 exec_lo, exec_lo, s27
	flat_load_ubyte v1, v[10:11] offset:288 slc
	s_mov_b32 s12, 0
	s_mov_b32 s27, exec_lo
	s_waitcnt vmcnt(0) lgkmcnt(0)
	v_cmpx_lt_i16_e32 0x7f, v1
	s_xor_b32 s27, exec_lo, s27
	s_cbranch_execz .LBB6_9197
; %bb.8220:                             ;   in Loop: Header=BB6_8085 Depth=2
	s_mov_b32 s12, -1
	s_mov_b32 s28, exec_lo
	v_cmpx_eq_u16_e32 0x80, v1
; %bb.8221:                             ;   in Loop: Header=BB6_8085 Depth=2
	s_xor_b32 s12, exec_lo, -1
; %bb.8222:                             ;   in Loop: Header=BB6_8085 Depth=2
	s_or_b32 exec_lo, exec_lo, s28
	s_and_b32 s12, s12, exec_lo
	s_or_saveexec_b32 s27, s27
	v_mov_b32_e32 v4, 0x7f800001
	s_xor_b32 exec_lo, exec_lo, s27
	s_cbranch_execnz .LBB6_9198
.LBB6_8223:                             ;   in Loop: Header=BB6_8085 Depth=2
	s_or_b32 exec_lo, exec_lo, s27
	s_and_saveexec_b32 s27, s12
	s_cbranch_execz .LBB6_8225
.LBB6_8224:                             ;   in Loop: Header=BB6_8085 Depth=2
	v_and_b32_e32 v4, 0xffff, v1
	v_lshlrev_b32_e32 v1, 24, v1
	v_and_b32_e32 v6, 7, v4
	v_bfe_u32 v9, v4, 3, 4
	v_and_b32_e32 v1, 0x80000000, v1
	v_ffbh_u32_e32 v7, v6
	v_cmp_eq_u32_e32 vcc_lo, 0, v9
	v_min_u32_e32 v7, 32, v7
	v_subrev_nc_u32_e32 v8, 28, v7
	v_sub_nc_u32_e32 v7, 29, v7
	v_lshlrev_b32_e32 v4, v8, v4
	v_cndmask_b32_e32 v7, v9, v7, vcc_lo
	v_and_b32_e32 v4, 7, v4
	v_cndmask_b32_e32 v4, v6, v4, vcc_lo
	v_lshl_add_u32 v6, v7, 23, 0x3b800000
	v_lshlrev_b32_e32 v4, 20, v4
	v_or3_b32 v4, v1, v6, v4
.LBB6_8225:                             ;   in Loop: Header=BB6_8085 Depth=2
	s_or_b32 exec_lo, exec_lo, s27
	v_mul_f32_e32 v1, v0, v4
	v_mov_b32_e32 v70, 0x80
	s_mov_b32 s27, exec_lo
	v_and_b32_e32 v4, 0x7f800000, v1
	v_cmpx_ne_u32_e32 0x7f800000, v4
	s_cbranch_execz .LBB6_8233
; %bb.8226:                             ;   in Loop: Header=BB6_8085 Depth=2
	v_mov_b32_e32 v70, 0
	s_mov_b32 s28, exec_lo
	v_cmpx_ne_u32_e32 0, v1
	s_cbranch_execz .LBB6_8232
; %bb.8227:                             ;   in Loop: Header=BB6_8085 Depth=2
	v_bfe_u32 v4, v1, 23, 8
	v_and_b32_e32 v6, 0x7fffff, v1
	v_sub_nc_u32_e32 v7, 0x78, v4
	v_cmp_gt_u32_e32 vcc_lo, 0x79, v4
	v_or_b32_e32 v8, 0x800000, v6
	v_cndmask_b32_e32 v7, 0, v7, vcc_lo
	v_cmp_eq_u32_e32 vcc_lo, 0, v4
	v_add_nc_u32_e32 v4, 0xffffff89, v4
	v_cndmask_b32_e64 v7, v7, 0x77, vcc_lo
	v_cndmask_b32_e32 v6, v8, v6, vcc_lo
	v_cndmask_b32_e64 v4, v4, 0xffffff8a, vcc_lo
	v_lshl_add_u32 v8, 0x100000, v7, -1
	v_lshrrev_b32_e32 v9, v7, v6
	v_lshlrev_b32_e64 v21, v7, 0x80000
	v_add_nc_u32_e32 v7, v7, v4
	v_and_b32_e32 v6, v8, v6
	v_bfe_u32 v16, v9, 20, 1
	v_cmp_eq_u32_e64 s12, v6, v21
	v_add_nc_u32_e32 v8, -1, v16
	v_cndmask_b32_e64 v6, 0, v8, s12
	v_lshrrev_b32_e32 v8, 23, v9
	s_mov_b32 s12, exec_lo
	v_add_nc_u32_e32 v6, v6, v9
	v_xor_b32_e32 v8, 1, v8
	v_and_b32_e32 v4, 0xfffff, v6
	v_add_nc_u32_e32 v6, v4, v9
                                        ; implicit-def: $vgpr4
	v_cmpx_ne_u32_e64 v7, v8
	s_xor_b32 s12, exec_lo, s12
; %bb.8228:                             ;   in Loop: Header=BB6_8085 Depth=2
	v_cmp_lt_u32_e32 vcc_lo, 0xffffff, v6
	v_sub_nc_u32_e32 v4, v7, v8
	v_cndmask_b32_e64 v7, 0, 1, vcc_lo
	v_add_co_ci_u32_e64 v4, null, 0, v4, vcc_lo
	v_lshrrev_b32_e32 v6, v7, v6
; %bb.8229:                             ;   in Loop: Header=BB6_8085 Depth=2
	s_andn2_saveexec_b32 s12, s12
; %bb.8230:                             ;   in Loop: Header=BB6_8085 Depth=2
	v_bfe_u32 v4, v6, 23, 1
; %bb.8231:                             ;   in Loop: Header=BB6_8085 Depth=2
	s_or_b32 exec_lo, exec_lo, s12
	v_lshrrev_b32_e32 v6, 20, v6
	v_cmp_gt_i32_e32 vcc_lo, 16, v4
	v_min_i32_e32 v7, 15, v4
	v_and_b32_sdwa v1, v1, v102 dst_sel:DWORD dst_unused:UNUSED_PAD src0_sel:BYTE_3 src1_sel:DWORD
	v_cndmask_b32_e32 v6, 7, v6, vcc_lo
	v_lshlrev_b32_e32 v7, 3, v7
	v_and_b32_e32 v8, 7, v6
	v_or_b32_e32 v4, v4, v6
	v_or3_b32 v1, v7, v1, v8
	v_cmp_ne_u32_e32 vcc_lo, 0, v4
	v_cndmask_b32_e32 v70, 0, v1, vcc_lo
.LBB6_8232:                             ;   in Loop: Header=BB6_8085 Depth=2
	s_or_b32 exec_lo, exec_lo, s28
.LBB6_8233:                             ;   in Loop: Header=BB6_8085 Depth=2
	s_or_b32 exec_lo, exec_lo, s27
	flat_load_ubyte v1, v[10:11] offset:320 slc
	s_mov_b32 s12, 0
	s_mov_b32 s27, exec_lo
	s_waitcnt vmcnt(0) lgkmcnt(0)
	v_cmpx_lt_i16_e32 0x7f, v1
	s_xor_b32 s27, exec_lo, s27
	s_cbranch_execz .LBB6_9199
; %bb.8234:                             ;   in Loop: Header=BB6_8085 Depth=2
	s_mov_b32 s12, -1
	s_mov_b32 s28, exec_lo
	v_cmpx_eq_u16_e32 0x80, v1
; %bb.8235:                             ;   in Loop: Header=BB6_8085 Depth=2
	s_xor_b32 s12, exec_lo, -1
; %bb.8236:                             ;   in Loop: Header=BB6_8085 Depth=2
	s_or_b32 exec_lo, exec_lo, s28
	s_and_b32 s12, s12, exec_lo
	s_or_saveexec_b32 s27, s27
	v_mov_b32_e32 v4, 0x7f800001
	s_xor_b32 exec_lo, exec_lo, s27
	s_cbranch_execnz .LBB6_9200
.LBB6_8237:                             ;   in Loop: Header=BB6_8085 Depth=2
	s_or_b32 exec_lo, exec_lo, s27
	s_and_saveexec_b32 s27, s12
	s_cbranch_execz .LBB6_8239
.LBB6_8238:                             ;   in Loop: Header=BB6_8085 Depth=2
	v_and_b32_e32 v4, 0xffff, v1
	v_lshlrev_b32_e32 v1, 24, v1
	v_and_b32_e32 v6, 7, v4
	v_bfe_u32 v9, v4, 3, 4
	v_and_b32_e32 v1, 0x80000000, v1
	v_ffbh_u32_e32 v7, v6
	v_cmp_eq_u32_e32 vcc_lo, 0, v9
	v_min_u32_e32 v7, 32, v7
	v_subrev_nc_u32_e32 v8, 28, v7
	v_sub_nc_u32_e32 v7, 29, v7
	v_lshlrev_b32_e32 v4, v8, v4
	v_cndmask_b32_e32 v7, v9, v7, vcc_lo
	v_and_b32_e32 v4, 7, v4
	v_cndmask_b32_e32 v4, v6, v4, vcc_lo
	v_lshl_add_u32 v6, v7, 23, 0x3b800000
	v_lshlrev_b32_e32 v4, 20, v4
	v_or3_b32 v4, v1, v6, v4
.LBB6_8239:                             ;   in Loop: Header=BB6_8085 Depth=2
	s_or_b32 exec_lo, exec_lo, s27
	v_mul_f32_e32 v1, v0, v4
	v_mov_b32_e32 v69, 0x80
	s_mov_b32 s27, exec_lo
	v_and_b32_e32 v4, 0x7f800000, v1
	v_cmpx_ne_u32_e32 0x7f800000, v4
	s_cbranch_execz .LBB6_8247
; %bb.8240:                             ;   in Loop: Header=BB6_8085 Depth=2
	v_mov_b32_e32 v69, 0
	s_mov_b32 s28, exec_lo
	v_cmpx_ne_u32_e32 0, v1
	s_cbranch_execz .LBB6_8246
; %bb.8241:                             ;   in Loop: Header=BB6_8085 Depth=2
	v_bfe_u32 v4, v1, 23, 8
	v_and_b32_e32 v6, 0x7fffff, v1
	v_sub_nc_u32_e32 v7, 0x78, v4
	v_cmp_gt_u32_e32 vcc_lo, 0x79, v4
	v_or_b32_e32 v8, 0x800000, v6
	v_cndmask_b32_e32 v7, 0, v7, vcc_lo
	v_cmp_eq_u32_e32 vcc_lo, 0, v4
	v_add_nc_u32_e32 v4, 0xffffff89, v4
	v_cndmask_b32_e64 v7, v7, 0x77, vcc_lo
	v_cndmask_b32_e32 v6, v8, v6, vcc_lo
	v_cndmask_b32_e64 v4, v4, 0xffffff8a, vcc_lo
	v_lshl_add_u32 v8, 0x100000, v7, -1
	v_lshrrev_b32_e32 v9, v7, v6
	v_lshlrev_b32_e64 v21, v7, 0x80000
	v_add_nc_u32_e32 v7, v7, v4
	v_and_b32_e32 v6, v8, v6
	v_bfe_u32 v16, v9, 20, 1
	v_cmp_eq_u32_e64 s12, v6, v21
	v_add_nc_u32_e32 v8, -1, v16
	v_cndmask_b32_e64 v6, 0, v8, s12
	v_lshrrev_b32_e32 v8, 23, v9
	s_mov_b32 s12, exec_lo
	v_add_nc_u32_e32 v6, v6, v9
	v_xor_b32_e32 v8, 1, v8
	v_and_b32_e32 v4, 0xfffff, v6
	v_add_nc_u32_e32 v6, v4, v9
                                        ; implicit-def: $vgpr4
	v_cmpx_ne_u32_e64 v7, v8
	s_xor_b32 s12, exec_lo, s12
; %bb.8242:                             ;   in Loop: Header=BB6_8085 Depth=2
	v_cmp_lt_u32_e32 vcc_lo, 0xffffff, v6
	v_sub_nc_u32_e32 v4, v7, v8
	v_cndmask_b32_e64 v7, 0, 1, vcc_lo
	v_add_co_ci_u32_e64 v4, null, 0, v4, vcc_lo
	v_lshrrev_b32_e32 v6, v7, v6
; %bb.8243:                             ;   in Loop: Header=BB6_8085 Depth=2
	s_andn2_saveexec_b32 s12, s12
; %bb.8244:                             ;   in Loop: Header=BB6_8085 Depth=2
	v_bfe_u32 v4, v6, 23, 1
; %bb.8245:                             ;   in Loop: Header=BB6_8085 Depth=2
	s_or_b32 exec_lo, exec_lo, s12
	v_lshrrev_b32_e32 v6, 20, v6
	v_cmp_gt_i32_e32 vcc_lo, 16, v4
	v_min_i32_e32 v7, 15, v4
	v_and_b32_sdwa v1, v1, v102 dst_sel:DWORD dst_unused:UNUSED_PAD src0_sel:BYTE_3 src1_sel:DWORD
	v_cndmask_b32_e32 v6, 7, v6, vcc_lo
	v_lshlrev_b32_e32 v7, 3, v7
	v_and_b32_e32 v8, 7, v6
	v_or_b32_e32 v4, v4, v6
	v_or3_b32 v1, v7, v1, v8
	v_cmp_ne_u32_e32 vcc_lo, 0, v4
	v_cndmask_b32_e32 v69, 0, v1, vcc_lo
.LBB6_8246:                             ;   in Loop: Header=BB6_8085 Depth=2
	s_or_b32 exec_lo, exec_lo, s28
.LBB6_8247:                             ;   in Loop: Header=BB6_8085 Depth=2
	s_or_b32 exec_lo, exec_lo, s27
	flat_load_ubyte v1, v[10:11] offset:352 slc
	s_mov_b32 s12, 0
	s_mov_b32 s27, exec_lo
	s_waitcnt vmcnt(0) lgkmcnt(0)
	v_cmpx_lt_i16_e32 0x7f, v1
	s_xor_b32 s27, exec_lo, s27
	s_cbranch_execz .LBB6_9201
; %bb.8248:                             ;   in Loop: Header=BB6_8085 Depth=2
	s_mov_b32 s12, -1
	s_mov_b32 s28, exec_lo
	v_cmpx_eq_u16_e32 0x80, v1
; %bb.8249:                             ;   in Loop: Header=BB6_8085 Depth=2
	s_xor_b32 s12, exec_lo, -1
; %bb.8250:                             ;   in Loop: Header=BB6_8085 Depth=2
	s_or_b32 exec_lo, exec_lo, s28
	s_and_b32 s12, s12, exec_lo
	s_or_saveexec_b32 s27, s27
	v_mov_b32_e32 v4, 0x7f800001
	s_xor_b32 exec_lo, exec_lo, s27
	s_cbranch_execnz .LBB6_9202
.LBB6_8251:                             ;   in Loop: Header=BB6_8085 Depth=2
	s_or_b32 exec_lo, exec_lo, s27
	s_and_saveexec_b32 s27, s12
	s_cbranch_execz .LBB6_8253
.LBB6_8252:                             ;   in Loop: Header=BB6_8085 Depth=2
	v_and_b32_e32 v4, 0xffff, v1
	v_lshlrev_b32_e32 v1, 24, v1
	v_and_b32_e32 v6, 7, v4
	v_bfe_u32 v9, v4, 3, 4
	v_and_b32_e32 v1, 0x80000000, v1
	v_ffbh_u32_e32 v7, v6
	v_cmp_eq_u32_e32 vcc_lo, 0, v9
	v_min_u32_e32 v7, 32, v7
	v_subrev_nc_u32_e32 v8, 28, v7
	v_sub_nc_u32_e32 v7, 29, v7
	v_lshlrev_b32_e32 v4, v8, v4
	v_cndmask_b32_e32 v7, v9, v7, vcc_lo
	v_and_b32_e32 v4, 7, v4
	v_cndmask_b32_e32 v4, v6, v4, vcc_lo
	v_lshl_add_u32 v6, v7, 23, 0x3b800000
	v_lshlrev_b32_e32 v4, 20, v4
	v_or3_b32 v4, v1, v6, v4
.LBB6_8253:                             ;   in Loop: Header=BB6_8085 Depth=2
	s_or_b32 exec_lo, exec_lo, s27
	v_mul_f32_e32 v1, v0, v4
	v_mov_b32_e32 v68, 0x80
	s_mov_b32 s27, exec_lo
	v_and_b32_e32 v4, 0x7f800000, v1
	v_cmpx_ne_u32_e32 0x7f800000, v4
	s_cbranch_execz .LBB6_8261
; %bb.8254:                             ;   in Loop: Header=BB6_8085 Depth=2
	v_mov_b32_e32 v68, 0
	s_mov_b32 s28, exec_lo
	v_cmpx_ne_u32_e32 0, v1
	s_cbranch_execz .LBB6_8260
; %bb.8255:                             ;   in Loop: Header=BB6_8085 Depth=2
	v_bfe_u32 v4, v1, 23, 8
	v_and_b32_e32 v6, 0x7fffff, v1
	v_sub_nc_u32_e32 v7, 0x78, v4
	v_cmp_gt_u32_e32 vcc_lo, 0x79, v4
	v_or_b32_e32 v8, 0x800000, v6
	v_cndmask_b32_e32 v7, 0, v7, vcc_lo
	v_cmp_eq_u32_e32 vcc_lo, 0, v4
	v_add_nc_u32_e32 v4, 0xffffff89, v4
	v_cndmask_b32_e64 v7, v7, 0x77, vcc_lo
	v_cndmask_b32_e32 v6, v8, v6, vcc_lo
	v_cndmask_b32_e64 v4, v4, 0xffffff8a, vcc_lo
	v_lshl_add_u32 v8, 0x100000, v7, -1
	v_lshrrev_b32_e32 v9, v7, v6
	v_lshlrev_b32_e64 v21, v7, 0x80000
	v_add_nc_u32_e32 v7, v7, v4
	v_and_b32_e32 v6, v8, v6
	v_bfe_u32 v16, v9, 20, 1
	v_cmp_eq_u32_e64 s12, v6, v21
	v_add_nc_u32_e32 v8, -1, v16
	v_cndmask_b32_e64 v6, 0, v8, s12
	v_lshrrev_b32_e32 v8, 23, v9
	s_mov_b32 s12, exec_lo
	v_add_nc_u32_e32 v6, v6, v9
	v_xor_b32_e32 v8, 1, v8
	v_and_b32_e32 v4, 0xfffff, v6
	v_add_nc_u32_e32 v6, v4, v9
                                        ; implicit-def: $vgpr4
	v_cmpx_ne_u32_e64 v7, v8
	s_xor_b32 s12, exec_lo, s12
; %bb.8256:                             ;   in Loop: Header=BB6_8085 Depth=2
	v_cmp_lt_u32_e32 vcc_lo, 0xffffff, v6
	v_sub_nc_u32_e32 v4, v7, v8
	v_cndmask_b32_e64 v7, 0, 1, vcc_lo
	v_add_co_ci_u32_e64 v4, null, 0, v4, vcc_lo
	v_lshrrev_b32_e32 v6, v7, v6
; %bb.8257:                             ;   in Loop: Header=BB6_8085 Depth=2
	s_andn2_saveexec_b32 s12, s12
; %bb.8258:                             ;   in Loop: Header=BB6_8085 Depth=2
	v_bfe_u32 v4, v6, 23, 1
; %bb.8259:                             ;   in Loop: Header=BB6_8085 Depth=2
	s_or_b32 exec_lo, exec_lo, s12
	v_lshrrev_b32_e32 v6, 20, v6
	v_cmp_gt_i32_e32 vcc_lo, 16, v4
	v_min_i32_e32 v7, 15, v4
	v_and_b32_sdwa v1, v1, v102 dst_sel:DWORD dst_unused:UNUSED_PAD src0_sel:BYTE_3 src1_sel:DWORD
	v_cndmask_b32_e32 v6, 7, v6, vcc_lo
	v_lshlrev_b32_e32 v7, 3, v7
	v_and_b32_e32 v8, 7, v6
	v_or_b32_e32 v4, v4, v6
	v_or3_b32 v1, v7, v1, v8
	v_cmp_ne_u32_e32 vcc_lo, 0, v4
	v_cndmask_b32_e32 v68, 0, v1, vcc_lo
.LBB6_8260:                             ;   in Loop: Header=BB6_8085 Depth=2
	s_or_b32 exec_lo, exec_lo, s28
.LBB6_8261:                             ;   in Loop: Header=BB6_8085 Depth=2
	s_or_b32 exec_lo, exec_lo, s27
	flat_load_ubyte v1, v[10:11] offset:384 slc
	s_mov_b32 s12, 0
	s_mov_b32 s27, exec_lo
	s_waitcnt vmcnt(0) lgkmcnt(0)
	v_cmpx_lt_i16_e32 0x7f, v1
	s_xor_b32 s27, exec_lo, s27
	s_cbranch_execz .LBB6_9203
; %bb.8262:                             ;   in Loop: Header=BB6_8085 Depth=2
	s_mov_b32 s12, -1
	s_mov_b32 s28, exec_lo
	v_cmpx_eq_u16_e32 0x80, v1
; %bb.8263:                             ;   in Loop: Header=BB6_8085 Depth=2
	s_xor_b32 s12, exec_lo, -1
; %bb.8264:                             ;   in Loop: Header=BB6_8085 Depth=2
	s_or_b32 exec_lo, exec_lo, s28
	s_and_b32 s12, s12, exec_lo
	s_or_saveexec_b32 s27, s27
	v_mov_b32_e32 v4, 0x7f800001
	s_xor_b32 exec_lo, exec_lo, s27
	s_cbranch_execnz .LBB6_9204
.LBB6_8265:                             ;   in Loop: Header=BB6_8085 Depth=2
	s_or_b32 exec_lo, exec_lo, s27
	s_and_saveexec_b32 s27, s12
	s_cbranch_execz .LBB6_8267
.LBB6_8266:                             ;   in Loop: Header=BB6_8085 Depth=2
	v_and_b32_e32 v4, 0xffff, v1
	v_lshlrev_b32_e32 v1, 24, v1
	v_and_b32_e32 v6, 7, v4
	v_bfe_u32 v9, v4, 3, 4
	v_and_b32_e32 v1, 0x80000000, v1
	v_ffbh_u32_e32 v7, v6
	v_cmp_eq_u32_e32 vcc_lo, 0, v9
	v_min_u32_e32 v7, 32, v7
	v_subrev_nc_u32_e32 v8, 28, v7
	v_sub_nc_u32_e32 v7, 29, v7
	v_lshlrev_b32_e32 v4, v8, v4
	v_cndmask_b32_e32 v7, v9, v7, vcc_lo
	v_and_b32_e32 v4, 7, v4
	v_cndmask_b32_e32 v4, v6, v4, vcc_lo
	v_lshl_add_u32 v6, v7, 23, 0x3b800000
	v_lshlrev_b32_e32 v4, 20, v4
	v_or3_b32 v4, v1, v6, v4
.LBB6_8267:                             ;   in Loop: Header=BB6_8085 Depth=2
	s_or_b32 exec_lo, exec_lo, s27
	v_mul_f32_e32 v1, v0, v4
	v_mov_b32_e32 v65, 0x80
	s_mov_b32 s27, exec_lo
	v_and_b32_e32 v4, 0x7f800000, v1
	v_cmpx_ne_u32_e32 0x7f800000, v4
	s_cbranch_execz .LBB6_8275
; %bb.8268:                             ;   in Loop: Header=BB6_8085 Depth=2
	v_mov_b32_e32 v65, 0
	s_mov_b32 s28, exec_lo
	v_cmpx_ne_u32_e32 0, v1
	s_cbranch_execz .LBB6_8274
; %bb.8269:                             ;   in Loop: Header=BB6_8085 Depth=2
	v_bfe_u32 v4, v1, 23, 8
	v_and_b32_e32 v6, 0x7fffff, v1
	v_sub_nc_u32_e32 v7, 0x78, v4
	v_cmp_gt_u32_e32 vcc_lo, 0x79, v4
	v_or_b32_e32 v8, 0x800000, v6
	v_cndmask_b32_e32 v7, 0, v7, vcc_lo
	v_cmp_eq_u32_e32 vcc_lo, 0, v4
	v_add_nc_u32_e32 v4, 0xffffff89, v4
	v_cndmask_b32_e64 v7, v7, 0x77, vcc_lo
	v_cndmask_b32_e32 v6, v8, v6, vcc_lo
	v_cndmask_b32_e64 v4, v4, 0xffffff8a, vcc_lo
	v_lshl_add_u32 v8, 0x100000, v7, -1
	v_lshrrev_b32_e32 v9, v7, v6
	v_lshlrev_b32_e64 v21, v7, 0x80000
	v_add_nc_u32_e32 v7, v7, v4
	v_and_b32_e32 v6, v8, v6
	v_bfe_u32 v16, v9, 20, 1
	v_cmp_eq_u32_e64 s12, v6, v21
	v_add_nc_u32_e32 v8, -1, v16
	v_cndmask_b32_e64 v6, 0, v8, s12
	v_lshrrev_b32_e32 v8, 23, v9
	s_mov_b32 s12, exec_lo
	v_add_nc_u32_e32 v6, v6, v9
	v_xor_b32_e32 v8, 1, v8
	v_and_b32_e32 v4, 0xfffff, v6
	v_add_nc_u32_e32 v6, v4, v9
                                        ; implicit-def: $vgpr4
	v_cmpx_ne_u32_e64 v7, v8
	s_xor_b32 s12, exec_lo, s12
; %bb.8270:                             ;   in Loop: Header=BB6_8085 Depth=2
	v_cmp_lt_u32_e32 vcc_lo, 0xffffff, v6
	v_sub_nc_u32_e32 v4, v7, v8
	v_cndmask_b32_e64 v7, 0, 1, vcc_lo
	v_add_co_ci_u32_e64 v4, null, 0, v4, vcc_lo
	v_lshrrev_b32_e32 v6, v7, v6
; %bb.8271:                             ;   in Loop: Header=BB6_8085 Depth=2
	s_andn2_saveexec_b32 s12, s12
; %bb.8272:                             ;   in Loop: Header=BB6_8085 Depth=2
	v_bfe_u32 v4, v6, 23, 1
; %bb.8273:                             ;   in Loop: Header=BB6_8085 Depth=2
	s_or_b32 exec_lo, exec_lo, s12
	v_lshrrev_b32_e32 v6, 20, v6
	v_cmp_gt_i32_e32 vcc_lo, 16, v4
	v_min_i32_e32 v7, 15, v4
	v_and_b32_sdwa v1, v1, v102 dst_sel:DWORD dst_unused:UNUSED_PAD src0_sel:BYTE_3 src1_sel:DWORD
	v_cndmask_b32_e32 v6, 7, v6, vcc_lo
	v_lshlrev_b32_e32 v7, 3, v7
	v_and_b32_e32 v8, 7, v6
	v_or_b32_e32 v4, v4, v6
	v_or3_b32 v1, v7, v1, v8
	v_cmp_ne_u32_e32 vcc_lo, 0, v4
	v_cndmask_b32_e32 v65, 0, v1, vcc_lo
.LBB6_8274:                             ;   in Loop: Header=BB6_8085 Depth=2
	s_or_b32 exec_lo, exec_lo, s28
.LBB6_8275:                             ;   in Loop: Header=BB6_8085 Depth=2
	s_or_b32 exec_lo, exec_lo, s27
	flat_load_ubyte v1, v[10:11] offset:416 slc
	s_mov_b32 s12, 0
	s_mov_b32 s27, exec_lo
	s_waitcnt vmcnt(0) lgkmcnt(0)
	v_cmpx_lt_i16_e32 0x7f, v1
	s_xor_b32 s27, exec_lo, s27
	s_cbranch_execz .LBB6_9205
; %bb.8276:                             ;   in Loop: Header=BB6_8085 Depth=2
	s_mov_b32 s12, -1
	s_mov_b32 s28, exec_lo
	v_cmpx_eq_u16_e32 0x80, v1
; %bb.8277:                             ;   in Loop: Header=BB6_8085 Depth=2
	s_xor_b32 s12, exec_lo, -1
; %bb.8278:                             ;   in Loop: Header=BB6_8085 Depth=2
	s_or_b32 exec_lo, exec_lo, s28
	s_and_b32 s12, s12, exec_lo
	s_or_saveexec_b32 s27, s27
	v_mov_b32_e32 v4, 0x7f800001
	s_xor_b32 exec_lo, exec_lo, s27
	s_cbranch_execnz .LBB6_9206
.LBB6_8279:                             ;   in Loop: Header=BB6_8085 Depth=2
	s_or_b32 exec_lo, exec_lo, s27
	s_and_saveexec_b32 s27, s12
	s_cbranch_execz .LBB6_8281
.LBB6_8280:                             ;   in Loop: Header=BB6_8085 Depth=2
	v_and_b32_e32 v4, 0xffff, v1
	v_lshlrev_b32_e32 v1, 24, v1
	v_and_b32_e32 v6, 7, v4
	v_bfe_u32 v9, v4, 3, 4
	v_and_b32_e32 v1, 0x80000000, v1
	v_ffbh_u32_e32 v7, v6
	v_cmp_eq_u32_e32 vcc_lo, 0, v9
	v_min_u32_e32 v7, 32, v7
	v_subrev_nc_u32_e32 v8, 28, v7
	v_sub_nc_u32_e32 v7, 29, v7
	v_lshlrev_b32_e32 v4, v8, v4
	v_cndmask_b32_e32 v7, v9, v7, vcc_lo
	v_and_b32_e32 v4, 7, v4
	v_cndmask_b32_e32 v4, v6, v4, vcc_lo
	v_lshl_add_u32 v6, v7, 23, 0x3b800000
	v_lshlrev_b32_e32 v4, 20, v4
	v_or3_b32 v4, v1, v6, v4
.LBB6_8281:                             ;   in Loop: Header=BB6_8085 Depth=2
	s_or_b32 exec_lo, exec_lo, s27
	v_mul_f32_e32 v1, v0, v4
	v_mov_b32_e32 v64, 0x80
	s_mov_b32 s27, exec_lo
	v_and_b32_e32 v4, 0x7f800000, v1
	v_cmpx_ne_u32_e32 0x7f800000, v4
	s_cbranch_execz .LBB6_8289
; %bb.8282:                             ;   in Loop: Header=BB6_8085 Depth=2
	v_mov_b32_e32 v64, 0
	s_mov_b32 s28, exec_lo
	v_cmpx_ne_u32_e32 0, v1
	s_cbranch_execz .LBB6_8288
; %bb.8283:                             ;   in Loop: Header=BB6_8085 Depth=2
	v_bfe_u32 v4, v1, 23, 8
	v_and_b32_e32 v6, 0x7fffff, v1
	v_sub_nc_u32_e32 v7, 0x78, v4
	v_cmp_gt_u32_e32 vcc_lo, 0x79, v4
	v_or_b32_e32 v8, 0x800000, v6
	v_cndmask_b32_e32 v7, 0, v7, vcc_lo
	v_cmp_eq_u32_e32 vcc_lo, 0, v4
	v_add_nc_u32_e32 v4, 0xffffff89, v4
	v_cndmask_b32_e64 v7, v7, 0x77, vcc_lo
	v_cndmask_b32_e32 v6, v8, v6, vcc_lo
	v_cndmask_b32_e64 v4, v4, 0xffffff8a, vcc_lo
	v_lshl_add_u32 v8, 0x100000, v7, -1
	v_lshrrev_b32_e32 v9, v7, v6
	v_lshlrev_b32_e64 v21, v7, 0x80000
	v_add_nc_u32_e32 v7, v7, v4
	v_and_b32_e32 v6, v8, v6
	v_bfe_u32 v16, v9, 20, 1
	v_cmp_eq_u32_e64 s12, v6, v21
	v_add_nc_u32_e32 v8, -1, v16
	v_cndmask_b32_e64 v6, 0, v8, s12
	v_lshrrev_b32_e32 v8, 23, v9
	s_mov_b32 s12, exec_lo
	v_add_nc_u32_e32 v6, v6, v9
	v_xor_b32_e32 v8, 1, v8
	v_and_b32_e32 v4, 0xfffff, v6
	v_add_nc_u32_e32 v6, v4, v9
                                        ; implicit-def: $vgpr4
	v_cmpx_ne_u32_e64 v7, v8
	s_xor_b32 s12, exec_lo, s12
; %bb.8284:                             ;   in Loop: Header=BB6_8085 Depth=2
	v_cmp_lt_u32_e32 vcc_lo, 0xffffff, v6
	v_sub_nc_u32_e32 v4, v7, v8
	v_cndmask_b32_e64 v7, 0, 1, vcc_lo
	v_add_co_ci_u32_e64 v4, null, 0, v4, vcc_lo
	v_lshrrev_b32_e32 v6, v7, v6
; %bb.8285:                             ;   in Loop: Header=BB6_8085 Depth=2
	s_andn2_saveexec_b32 s12, s12
; %bb.8286:                             ;   in Loop: Header=BB6_8085 Depth=2
	v_bfe_u32 v4, v6, 23, 1
; %bb.8287:                             ;   in Loop: Header=BB6_8085 Depth=2
	s_or_b32 exec_lo, exec_lo, s12
	v_lshrrev_b32_e32 v6, 20, v6
	v_cmp_gt_i32_e32 vcc_lo, 16, v4
	v_min_i32_e32 v7, 15, v4
	v_and_b32_sdwa v1, v1, v102 dst_sel:DWORD dst_unused:UNUSED_PAD src0_sel:BYTE_3 src1_sel:DWORD
	v_cndmask_b32_e32 v6, 7, v6, vcc_lo
	v_lshlrev_b32_e32 v7, 3, v7
	v_and_b32_e32 v8, 7, v6
	v_or_b32_e32 v4, v4, v6
	v_or3_b32 v1, v7, v1, v8
	v_cmp_ne_u32_e32 vcc_lo, 0, v4
	v_cndmask_b32_e32 v64, 0, v1, vcc_lo
.LBB6_8288:                             ;   in Loop: Header=BB6_8085 Depth=2
	s_or_b32 exec_lo, exec_lo, s28
.LBB6_8289:                             ;   in Loop: Header=BB6_8085 Depth=2
	s_or_b32 exec_lo, exec_lo, s27
	flat_load_ubyte v1, v[10:11] offset:448 slc
	s_mov_b32 s12, 0
	s_mov_b32 s27, exec_lo
	s_waitcnt vmcnt(0) lgkmcnt(0)
	v_cmpx_lt_i16_e32 0x7f, v1
	s_xor_b32 s27, exec_lo, s27
	s_cbranch_execz .LBB6_9207
; %bb.8290:                             ;   in Loop: Header=BB6_8085 Depth=2
	s_mov_b32 s12, -1
	s_mov_b32 s28, exec_lo
	v_cmpx_eq_u16_e32 0x80, v1
; %bb.8291:                             ;   in Loop: Header=BB6_8085 Depth=2
	s_xor_b32 s12, exec_lo, -1
; %bb.8292:                             ;   in Loop: Header=BB6_8085 Depth=2
	s_or_b32 exec_lo, exec_lo, s28
	s_and_b32 s12, s12, exec_lo
	s_or_saveexec_b32 s27, s27
	v_mov_b32_e32 v4, 0x7f800001
	s_xor_b32 exec_lo, exec_lo, s27
	s_cbranch_execnz .LBB6_9208
.LBB6_8293:                             ;   in Loop: Header=BB6_8085 Depth=2
	s_or_b32 exec_lo, exec_lo, s27
	s_and_saveexec_b32 s27, s12
	s_cbranch_execz .LBB6_8295
.LBB6_8294:                             ;   in Loop: Header=BB6_8085 Depth=2
	v_and_b32_e32 v4, 0xffff, v1
	v_lshlrev_b32_e32 v1, 24, v1
	v_and_b32_e32 v6, 7, v4
	v_bfe_u32 v9, v4, 3, 4
	v_and_b32_e32 v1, 0x80000000, v1
	v_ffbh_u32_e32 v7, v6
	v_cmp_eq_u32_e32 vcc_lo, 0, v9
	v_min_u32_e32 v7, 32, v7
	v_subrev_nc_u32_e32 v8, 28, v7
	v_sub_nc_u32_e32 v7, 29, v7
	v_lshlrev_b32_e32 v4, v8, v4
	v_cndmask_b32_e32 v7, v9, v7, vcc_lo
	v_and_b32_e32 v4, 7, v4
	v_cndmask_b32_e32 v4, v6, v4, vcc_lo
	v_lshl_add_u32 v6, v7, 23, 0x3b800000
	v_lshlrev_b32_e32 v4, 20, v4
	v_or3_b32 v4, v1, v6, v4
.LBB6_8295:                             ;   in Loop: Header=BB6_8085 Depth=2
	s_or_b32 exec_lo, exec_lo, s27
	v_mul_f32_e32 v1, v0, v4
	v_mov_b32_e32 v49, 0x80
	s_mov_b32 s27, exec_lo
	v_and_b32_e32 v4, 0x7f800000, v1
	v_cmpx_ne_u32_e32 0x7f800000, v4
	s_cbranch_execz .LBB6_8303
; %bb.8296:                             ;   in Loop: Header=BB6_8085 Depth=2
	v_mov_b32_e32 v49, 0
	s_mov_b32 s28, exec_lo
	v_cmpx_ne_u32_e32 0, v1
	s_cbranch_execz .LBB6_8302
; %bb.8297:                             ;   in Loop: Header=BB6_8085 Depth=2
	v_bfe_u32 v4, v1, 23, 8
	v_and_b32_e32 v6, 0x7fffff, v1
	v_sub_nc_u32_e32 v7, 0x78, v4
	v_cmp_gt_u32_e32 vcc_lo, 0x79, v4
	v_or_b32_e32 v8, 0x800000, v6
	v_cndmask_b32_e32 v7, 0, v7, vcc_lo
	v_cmp_eq_u32_e32 vcc_lo, 0, v4
	v_add_nc_u32_e32 v4, 0xffffff89, v4
	v_cndmask_b32_e64 v7, v7, 0x77, vcc_lo
	v_cndmask_b32_e32 v6, v8, v6, vcc_lo
	v_cndmask_b32_e64 v4, v4, 0xffffff8a, vcc_lo
	v_lshl_add_u32 v8, 0x100000, v7, -1
	v_lshrrev_b32_e32 v9, v7, v6
	v_lshlrev_b32_e64 v21, v7, 0x80000
	v_add_nc_u32_e32 v7, v7, v4
	v_and_b32_e32 v6, v8, v6
	v_bfe_u32 v16, v9, 20, 1
	v_cmp_eq_u32_e64 s12, v6, v21
	v_add_nc_u32_e32 v8, -1, v16
	v_cndmask_b32_e64 v6, 0, v8, s12
	v_lshrrev_b32_e32 v8, 23, v9
	s_mov_b32 s12, exec_lo
	v_add_nc_u32_e32 v6, v6, v9
	v_xor_b32_e32 v8, 1, v8
	v_and_b32_e32 v4, 0xfffff, v6
	v_add_nc_u32_e32 v6, v4, v9
                                        ; implicit-def: $vgpr4
	v_cmpx_ne_u32_e64 v7, v8
	s_xor_b32 s12, exec_lo, s12
; %bb.8298:                             ;   in Loop: Header=BB6_8085 Depth=2
	v_cmp_lt_u32_e32 vcc_lo, 0xffffff, v6
	v_sub_nc_u32_e32 v4, v7, v8
	v_cndmask_b32_e64 v7, 0, 1, vcc_lo
	v_add_co_ci_u32_e64 v4, null, 0, v4, vcc_lo
	v_lshrrev_b32_e32 v6, v7, v6
; %bb.8299:                             ;   in Loop: Header=BB6_8085 Depth=2
	s_andn2_saveexec_b32 s12, s12
; %bb.8300:                             ;   in Loop: Header=BB6_8085 Depth=2
	v_bfe_u32 v4, v6, 23, 1
; %bb.8301:                             ;   in Loop: Header=BB6_8085 Depth=2
	s_or_b32 exec_lo, exec_lo, s12
	v_lshrrev_b32_e32 v6, 20, v6
	v_cmp_gt_i32_e32 vcc_lo, 16, v4
	v_min_i32_e32 v7, 15, v4
	v_and_b32_sdwa v1, v1, v102 dst_sel:DWORD dst_unused:UNUSED_PAD src0_sel:BYTE_3 src1_sel:DWORD
	v_cndmask_b32_e32 v6, 7, v6, vcc_lo
	v_lshlrev_b32_e32 v7, 3, v7
	v_and_b32_e32 v8, 7, v6
	v_or_b32_e32 v4, v4, v6
	v_or3_b32 v1, v7, v1, v8
	v_cmp_ne_u32_e32 vcc_lo, 0, v4
	v_cndmask_b32_e32 v49, 0, v1, vcc_lo
.LBB6_8302:                             ;   in Loop: Header=BB6_8085 Depth=2
	s_or_b32 exec_lo, exec_lo, s28
.LBB6_8303:                             ;   in Loop: Header=BB6_8085 Depth=2
	s_or_b32 exec_lo, exec_lo, s27
	flat_load_ubyte v1, v[10:11] offset:480 slc
	s_mov_b32 s12, 0
	s_mov_b32 s27, exec_lo
	s_waitcnt vmcnt(0) lgkmcnt(0)
	v_cmpx_lt_i16_e32 0x7f, v1
	s_xor_b32 s27, exec_lo, s27
	s_cbranch_execz .LBB6_9209
; %bb.8304:                             ;   in Loop: Header=BB6_8085 Depth=2
	s_mov_b32 s12, -1
	s_mov_b32 s28, exec_lo
	v_cmpx_eq_u16_e32 0x80, v1
; %bb.8305:                             ;   in Loop: Header=BB6_8085 Depth=2
	s_xor_b32 s12, exec_lo, -1
; %bb.8306:                             ;   in Loop: Header=BB6_8085 Depth=2
	s_or_b32 exec_lo, exec_lo, s28
	s_and_b32 s12, s12, exec_lo
	s_or_saveexec_b32 s27, s27
	v_mov_b32_e32 v4, 0x7f800001
	s_xor_b32 exec_lo, exec_lo, s27
	s_cbranch_execnz .LBB6_9210
.LBB6_8307:                             ;   in Loop: Header=BB6_8085 Depth=2
	s_or_b32 exec_lo, exec_lo, s27
	s_and_saveexec_b32 s27, s12
	s_cbranch_execz .LBB6_8309
.LBB6_8308:                             ;   in Loop: Header=BB6_8085 Depth=2
	v_and_b32_e32 v4, 0xffff, v1
	v_lshlrev_b32_e32 v1, 24, v1
	v_and_b32_e32 v6, 7, v4
	v_bfe_u32 v9, v4, 3, 4
	v_and_b32_e32 v1, 0x80000000, v1
	v_ffbh_u32_e32 v7, v6
	v_cmp_eq_u32_e32 vcc_lo, 0, v9
	v_min_u32_e32 v7, 32, v7
	v_subrev_nc_u32_e32 v8, 28, v7
	v_sub_nc_u32_e32 v7, 29, v7
	v_lshlrev_b32_e32 v4, v8, v4
	v_cndmask_b32_e32 v7, v9, v7, vcc_lo
	v_and_b32_e32 v4, 7, v4
	v_cndmask_b32_e32 v4, v6, v4, vcc_lo
	v_lshl_add_u32 v6, v7, 23, 0x3b800000
	v_lshlrev_b32_e32 v4, 20, v4
	v_or3_b32 v4, v1, v6, v4
.LBB6_8309:                             ;   in Loop: Header=BB6_8085 Depth=2
	s_or_b32 exec_lo, exec_lo, s27
	v_mul_f32_e32 v1, v0, v4
	v_mov_b32_e32 v36, 0x80
	s_mov_b32 s27, exec_lo
	v_and_b32_e32 v4, 0x7f800000, v1
	v_cmpx_ne_u32_e32 0x7f800000, v4
	s_cbranch_execz .LBB6_8317
; %bb.8310:                             ;   in Loop: Header=BB6_8085 Depth=2
	v_mov_b32_e32 v36, 0
	s_mov_b32 s28, exec_lo
	v_cmpx_ne_u32_e32 0, v1
	s_cbranch_execz .LBB6_8316
; %bb.8311:                             ;   in Loop: Header=BB6_8085 Depth=2
	v_bfe_u32 v4, v1, 23, 8
	v_and_b32_e32 v6, 0x7fffff, v1
	v_sub_nc_u32_e32 v7, 0x78, v4
	v_cmp_gt_u32_e32 vcc_lo, 0x79, v4
	v_or_b32_e32 v8, 0x800000, v6
	v_cndmask_b32_e32 v7, 0, v7, vcc_lo
	v_cmp_eq_u32_e32 vcc_lo, 0, v4
	v_add_nc_u32_e32 v4, 0xffffff89, v4
	v_cndmask_b32_e64 v7, v7, 0x77, vcc_lo
	v_cndmask_b32_e32 v6, v8, v6, vcc_lo
	v_cndmask_b32_e64 v4, v4, 0xffffff8a, vcc_lo
	v_lshl_add_u32 v8, 0x100000, v7, -1
	v_lshrrev_b32_e32 v9, v7, v6
	v_lshlrev_b32_e64 v21, v7, 0x80000
	v_add_nc_u32_e32 v7, v7, v4
	v_and_b32_e32 v6, v8, v6
	v_bfe_u32 v16, v9, 20, 1
	v_cmp_eq_u32_e64 s12, v6, v21
	v_add_nc_u32_e32 v8, -1, v16
	v_cndmask_b32_e64 v6, 0, v8, s12
	v_lshrrev_b32_e32 v8, 23, v9
	s_mov_b32 s12, exec_lo
	v_add_nc_u32_e32 v6, v6, v9
	v_xor_b32_e32 v8, 1, v8
	v_and_b32_e32 v4, 0xfffff, v6
	v_add_nc_u32_e32 v6, v4, v9
                                        ; implicit-def: $vgpr4
	v_cmpx_ne_u32_e64 v7, v8
	s_xor_b32 s12, exec_lo, s12
; %bb.8312:                             ;   in Loop: Header=BB6_8085 Depth=2
	v_cmp_lt_u32_e32 vcc_lo, 0xffffff, v6
	v_sub_nc_u32_e32 v4, v7, v8
	v_cndmask_b32_e64 v7, 0, 1, vcc_lo
	v_add_co_ci_u32_e64 v4, null, 0, v4, vcc_lo
	v_lshrrev_b32_e32 v6, v7, v6
; %bb.8313:                             ;   in Loop: Header=BB6_8085 Depth=2
	s_andn2_saveexec_b32 s12, s12
; %bb.8314:                             ;   in Loop: Header=BB6_8085 Depth=2
	v_bfe_u32 v4, v6, 23, 1
; %bb.8315:                             ;   in Loop: Header=BB6_8085 Depth=2
	s_or_b32 exec_lo, exec_lo, s12
	v_lshrrev_b32_e32 v6, 20, v6
	v_cmp_gt_i32_e32 vcc_lo, 16, v4
	v_min_i32_e32 v7, 15, v4
	v_and_b32_sdwa v1, v1, v102 dst_sel:DWORD dst_unused:UNUSED_PAD src0_sel:BYTE_3 src1_sel:DWORD
	v_cndmask_b32_e32 v6, 7, v6, vcc_lo
	v_lshlrev_b32_e32 v7, 3, v7
	v_and_b32_e32 v8, 7, v6
	v_or_b32_e32 v4, v4, v6
	v_or3_b32 v1, v7, v1, v8
	v_cmp_ne_u32_e32 vcc_lo, 0, v4
	v_cndmask_b32_e32 v36, 0, v1, vcc_lo
.LBB6_8316:                             ;   in Loop: Header=BB6_8085 Depth=2
	s_or_b32 exec_lo, exec_lo, s28
.LBB6_8317:                             ;   in Loop: Header=BB6_8085 Depth=2
	s_or_b32 exec_lo, exec_lo, s27
	flat_load_ubyte v1, v[10:11] offset:512 slc
	s_mov_b32 s12, 0
	s_mov_b32 s27, exec_lo
	s_waitcnt vmcnt(0) lgkmcnt(0)
	v_cmpx_lt_i16_e32 0x7f, v1
	s_xor_b32 s27, exec_lo, s27
	s_cbranch_execz .LBB6_9211
; %bb.8318:                             ;   in Loop: Header=BB6_8085 Depth=2
	s_mov_b32 s12, -1
	s_mov_b32 s28, exec_lo
	v_cmpx_eq_u16_e32 0x80, v1
; %bb.8319:                             ;   in Loop: Header=BB6_8085 Depth=2
	s_xor_b32 s12, exec_lo, -1
; %bb.8320:                             ;   in Loop: Header=BB6_8085 Depth=2
	s_or_b32 exec_lo, exec_lo, s28
	s_and_b32 s12, s12, exec_lo
	s_or_saveexec_b32 s27, s27
	v_mov_b32_e32 v4, 0x7f800001
	s_xor_b32 exec_lo, exec_lo, s27
	s_cbranch_execnz .LBB6_9212
.LBB6_8321:                             ;   in Loop: Header=BB6_8085 Depth=2
	s_or_b32 exec_lo, exec_lo, s27
	s_and_saveexec_b32 s27, s12
	s_cbranch_execz .LBB6_8323
.LBB6_8322:                             ;   in Loop: Header=BB6_8085 Depth=2
	v_and_b32_e32 v4, 0xffff, v1
	v_lshlrev_b32_e32 v1, 24, v1
	v_and_b32_e32 v6, 7, v4
	v_bfe_u32 v9, v4, 3, 4
	v_and_b32_e32 v1, 0x80000000, v1
	v_ffbh_u32_e32 v7, v6
	v_cmp_eq_u32_e32 vcc_lo, 0, v9
	v_min_u32_e32 v7, 32, v7
	v_subrev_nc_u32_e32 v8, 28, v7
	v_sub_nc_u32_e32 v7, 29, v7
	v_lshlrev_b32_e32 v4, v8, v4
	v_cndmask_b32_e32 v7, v9, v7, vcc_lo
	v_and_b32_e32 v4, 7, v4
	v_cndmask_b32_e32 v4, v6, v4, vcc_lo
	v_lshl_add_u32 v6, v7, 23, 0x3b800000
	v_lshlrev_b32_e32 v4, 20, v4
	v_or3_b32 v4, v1, v6, v4
.LBB6_8323:                             ;   in Loop: Header=BB6_8085 Depth=2
	s_or_b32 exec_lo, exec_lo, s27
	v_mul_f32_e32 v1, v0, v4
	v_mov_b32_e32 v35, 0x80
	s_mov_b32 s27, exec_lo
	v_and_b32_e32 v4, 0x7f800000, v1
	v_cmpx_ne_u32_e32 0x7f800000, v4
	s_cbranch_execz .LBB6_8331
; %bb.8324:                             ;   in Loop: Header=BB6_8085 Depth=2
	v_mov_b32_e32 v35, 0
	s_mov_b32 s28, exec_lo
	v_cmpx_ne_u32_e32 0, v1
	s_cbranch_execz .LBB6_8330
; %bb.8325:                             ;   in Loop: Header=BB6_8085 Depth=2
	v_bfe_u32 v4, v1, 23, 8
	v_and_b32_e32 v6, 0x7fffff, v1
	v_sub_nc_u32_e32 v7, 0x78, v4
	v_cmp_gt_u32_e32 vcc_lo, 0x79, v4
	v_or_b32_e32 v8, 0x800000, v6
	v_cndmask_b32_e32 v7, 0, v7, vcc_lo
	v_cmp_eq_u32_e32 vcc_lo, 0, v4
	v_add_nc_u32_e32 v4, 0xffffff89, v4
	v_cndmask_b32_e64 v7, v7, 0x77, vcc_lo
	v_cndmask_b32_e32 v6, v8, v6, vcc_lo
	v_cndmask_b32_e64 v4, v4, 0xffffff8a, vcc_lo
	v_lshl_add_u32 v8, 0x100000, v7, -1
	v_lshrrev_b32_e32 v9, v7, v6
	v_lshlrev_b32_e64 v21, v7, 0x80000
	v_add_nc_u32_e32 v7, v7, v4
	v_and_b32_e32 v6, v8, v6
	v_bfe_u32 v16, v9, 20, 1
	v_cmp_eq_u32_e64 s12, v6, v21
	v_add_nc_u32_e32 v8, -1, v16
	v_cndmask_b32_e64 v6, 0, v8, s12
	v_lshrrev_b32_e32 v8, 23, v9
	s_mov_b32 s12, exec_lo
	v_add_nc_u32_e32 v6, v6, v9
	v_xor_b32_e32 v8, 1, v8
	v_and_b32_e32 v4, 0xfffff, v6
	v_add_nc_u32_e32 v6, v4, v9
                                        ; implicit-def: $vgpr4
	v_cmpx_ne_u32_e64 v7, v8
	s_xor_b32 s12, exec_lo, s12
; %bb.8326:                             ;   in Loop: Header=BB6_8085 Depth=2
	v_cmp_lt_u32_e32 vcc_lo, 0xffffff, v6
	v_sub_nc_u32_e32 v4, v7, v8
	v_cndmask_b32_e64 v7, 0, 1, vcc_lo
	v_add_co_ci_u32_e64 v4, null, 0, v4, vcc_lo
	v_lshrrev_b32_e32 v6, v7, v6
; %bb.8327:                             ;   in Loop: Header=BB6_8085 Depth=2
	s_andn2_saveexec_b32 s12, s12
; %bb.8328:                             ;   in Loop: Header=BB6_8085 Depth=2
	v_bfe_u32 v4, v6, 23, 1
; %bb.8329:                             ;   in Loop: Header=BB6_8085 Depth=2
	s_or_b32 exec_lo, exec_lo, s12
	v_lshrrev_b32_e32 v6, 20, v6
	v_cmp_gt_i32_e32 vcc_lo, 16, v4
	v_min_i32_e32 v7, 15, v4
	v_and_b32_sdwa v1, v1, v102 dst_sel:DWORD dst_unused:UNUSED_PAD src0_sel:BYTE_3 src1_sel:DWORD
	v_cndmask_b32_e32 v6, 7, v6, vcc_lo
	v_lshlrev_b32_e32 v7, 3, v7
	v_and_b32_e32 v8, 7, v6
	v_or_b32_e32 v4, v4, v6
	v_or3_b32 v1, v7, v1, v8
	v_cmp_ne_u32_e32 vcc_lo, 0, v4
	v_cndmask_b32_e32 v35, 0, v1, vcc_lo
.LBB6_8330:                             ;   in Loop: Header=BB6_8085 Depth=2
	s_or_b32 exec_lo, exec_lo, s28
.LBB6_8331:                             ;   in Loop: Header=BB6_8085 Depth=2
	s_or_b32 exec_lo, exec_lo, s27
	flat_load_ubyte v1, v[10:11] offset:544 slc
	s_mov_b32 s12, 0
	s_mov_b32 s27, exec_lo
	s_waitcnt vmcnt(0) lgkmcnt(0)
	v_cmpx_lt_i16_e32 0x7f, v1
	s_xor_b32 s27, exec_lo, s27
	s_cbranch_execz .LBB6_9213
; %bb.8332:                             ;   in Loop: Header=BB6_8085 Depth=2
	s_mov_b32 s12, -1
	s_mov_b32 s28, exec_lo
	v_cmpx_eq_u16_e32 0x80, v1
; %bb.8333:                             ;   in Loop: Header=BB6_8085 Depth=2
	s_xor_b32 s12, exec_lo, -1
; %bb.8334:                             ;   in Loop: Header=BB6_8085 Depth=2
	s_or_b32 exec_lo, exec_lo, s28
	s_and_b32 s12, s12, exec_lo
	s_or_saveexec_b32 s27, s27
	v_mov_b32_e32 v4, 0x7f800001
	s_xor_b32 exec_lo, exec_lo, s27
	s_cbranch_execnz .LBB6_9214
.LBB6_8335:                             ;   in Loop: Header=BB6_8085 Depth=2
	s_or_b32 exec_lo, exec_lo, s27
	s_and_saveexec_b32 s27, s12
	s_cbranch_execz .LBB6_8337
.LBB6_8336:                             ;   in Loop: Header=BB6_8085 Depth=2
	v_and_b32_e32 v4, 0xffff, v1
	v_lshlrev_b32_e32 v1, 24, v1
	v_and_b32_e32 v6, 7, v4
	v_bfe_u32 v9, v4, 3, 4
	v_and_b32_e32 v1, 0x80000000, v1
	v_ffbh_u32_e32 v7, v6
	v_cmp_eq_u32_e32 vcc_lo, 0, v9
	v_min_u32_e32 v7, 32, v7
	v_subrev_nc_u32_e32 v8, 28, v7
	v_sub_nc_u32_e32 v7, 29, v7
	v_lshlrev_b32_e32 v4, v8, v4
	v_cndmask_b32_e32 v7, v9, v7, vcc_lo
	v_and_b32_e32 v4, 7, v4
	v_cndmask_b32_e32 v4, v6, v4, vcc_lo
	v_lshl_add_u32 v6, v7, 23, 0x3b800000
	v_lshlrev_b32_e32 v4, 20, v4
	v_or3_b32 v4, v1, v6, v4
.LBB6_8337:                             ;   in Loop: Header=BB6_8085 Depth=2
	s_or_b32 exec_lo, exec_lo, s27
	v_mul_f32_e32 v1, v0, v4
	v_mov_b32_e32 v34, 0x80
	s_mov_b32 s27, exec_lo
	v_and_b32_e32 v4, 0x7f800000, v1
	v_cmpx_ne_u32_e32 0x7f800000, v4
	s_cbranch_execz .LBB6_8345
; %bb.8338:                             ;   in Loop: Header=BB6_8085 Depth=2
	v_mov_b32_e32 v34, 0
	s_mov_b32 s28, exec_lo
	v_cmpx_ne_u32_e32 0, v1
	s_cbranch_execz .LBB6_8344
; %bb.8339:                             ;   in Loop: Header=BB6_8085 Depth=2
	v_bfe_u32 v4, v1, 23, 8
	v_and_b32_e32 v6, 0x7fffff, v1
	v_sub_nc_u32_e32 v7, 0x78, v4
	v_cmp_gt_u32_e32 vcc_lo, 0x79, v4
	v_or_b32_e32 v8, 0x800000, v6
	v_cndmask_b32_e32 v7, 0, v7, vcc_lo
	v_cmp_eq_u32_e32 vcc_lo, 0, v4
	v_add_nc_u32_e32 v4, 0xffffff89, v4
	v_cndmask_b32_e64 v7, v7, 0x77, vcc_lo
	v_cndmask_b32_e32 v6, v8, v6, vcc_lo
	v_cndmask_b32_e64 v4, v4, 0xffffff8a, vcc_lo
	v_lshl_add_u32 v8, 0x100000, v7, -1
	v_lshrrev_b32_e32 v9, v7, v6
	v_lshlrev_b32_e64 v21, v7, 0x80000
	v_add_nc_u32_e32 v7, v7, v4
	v_and_b32_e32 v6, v8, v6
	v_bfe_u32 v16, v9, 20, 1
	v_cmp_eq_u32_e64 s12, v6, v21
	v_add_nc_u32_e32 v8, -1, v16
	v_cndmask_b32_e64 v6, 0, v8, s12
	v_lshrrev_b32_e32 v8, 23, v9
	s_mov_b32 s12, exec_lo
	v_add_nc_u32_e32 v6, v6, v9
	v_xor_b32_e32 v8, 1, v8
	v_and_b32_e32 v4, 0xfffff, v6
	v_add_nc_u32_e32 v6, v4, v9
                                        ; implicit-def: $vgpr4
	v_cmpx_ne_u32_e64 v7, v8
	s_xor_b32 s12, exec_lo, s12
; %bb.8340:                             ;   in Loop: Header=BB6_8085 Depth=2
	v_cmp_lt_u32_e32 vcc_lo, 0xffffff, v6
	v_sub_nc_u32_e32 v4, v7, v8
	v_cndmask_b32_e64 v7, 0, 1, vcc_lo
	v_add_co_ci_u32_e64 v4, null, 0, v4, vcc_lo
	v_lshrrev_b32_e32 v6, v7, v6
; %bb.8341:                             ;   in Loop: Header=BB6_8085 Depth=2
	s_andn2_saveexec_b32 s12, s12
; %bb.8342:                             ;   in Loop: Header=BB6_8085 Depth=2
	v_bfe_u32 v4, v6, 23, 1
; %bb.8343:                             ;   in Loop: Header=BB6_8085 Depth=2
	s_or_b32 exec_lo, exec_lo, s12
	v_lshrrev_b32_e32 v6, 20, v6
	v_cmp_gt_i32_e32 vcc_lo, 16, v4
	v_min_i32_e32 v7, 15, v4
	v_and_b32_sdwa v1, v1, v102 dst_sel:DWORD dst_unused:UNUSED_PAD src0_sel:BYTE_3 src1_sel:DWORD
	v_cndmask_b32_e32 v6, 7, v6, vcc_lo
	v_lshlrev_b32_e32 v7, 3, v7
	v_and_b32_e32 v8, 7, v6
	v_or_b32_e32 v4, v4, v6
	v_or3_b32 v1, v7, v1, v8
	v_cmp_ne_u32_e32 vcc_lo, 0, v4
	v_cndmask_b32_e32 v34, 0, v1, vcc_lo
.LBB6_8344:                             ;   in Loop: Header=BB6_8085 Depth=2
	s_or_b32 exec_lo, exec_lo, s28
.LBB6_8345:                             ;   in Loop: Header=BB6_8085 Depth=2
	s_or_b32 exec_lo, exec_lo, s27
	flat_load_ubyte v1, v[10:11] offset:576 slc
	s_mov_b32 s12, 0
	s_mov_b32 s27, exec_lo
	s_waitcnt vmcnt(0) lgkmcnt(0)
	v_cmpx_lt_i16_e32 0x7f, v1
	s_xor_b32 s27, exec_lo, s27
	s_cbranch_execz .LBB6_9215
; %bb.8346:                             ;   in Loop: Header=BB6_8085 Depth=2
	s_mov_b32 s12, -1
	s_mov_b32 s28, exec_lo
	v_cmpx_eq_u16_e32 0x80, v1
; %bb.8347:                             ;   in Loop: Header=BB6_8085 Depth=2
	s_xor_b32 s12, exec_lo, -1
; %bb.8348:                             ;   in Loop: Header=BB6_8085 Depth=2
	s_or_b32 exec_lo, exec_lo, s28
	s_and_b32 s12, s12, exec_lo
	s_or_saveexec_b32 s27, s27
	v_mov_b32_e32 v4, 0x7f800001
	s_xor_b32 exec_lo, exec_lo, s27
	s_cbranch_execnz .LBB6_9216
.LBB6_8349:                             ;   in Loop: Header=BB6_8085 Depth=2
	s_or_b32 exec_lo, exec_lo, s27
	s_and_saveexec_b32 s27, s12
	s_cbranch_execz .LBB6_8351
.LBB6_8350:                             ;   in Loop: Header=BB6_8085 Depth=2
	v_and_b32_e32 v4, 0xffff, v1
	v_lshlrev_b32_e32 v1, 24, v1
	v_and_b32_e32 v6, 7, v4
	v_bfe_u32 v9, v4, 3, 4
	v_and_b32_e32 v1, 0x80000000, v1
	v_ffbh_u32_e32 v7, v6
	v_cmp_eq_u32_e32 vcc_lo, 0, v9
	v_min_u32_e32 v7, 32, v7
	v_subrev_nc_u32_e32 v8, 28, v7
	v_sub_nc_u32_e32 v7, 29, v7
	v_lshlrev_b32_e32 v4, v8, v4
	v_cndmask_b32_e32 v7, v9, v7, vcc_lo
	v_and_b32_e32 v4, 7, v4
	v_cndmask_b32_e32 v4, v6, v4, vcc_lo
	v_lshl_add_u32 v6, v7, 23, 0x3b800000
	v_lshlrev_b32_e32 v4, 20, v4
	v_or3_b32 v4, v1, v6, v4
.LBB6_8351:                             ;   in Loop: Header=BB6_8085 Depth=2
	s_or_b32 exec_lo, exec_lo, s27
	v_mul_f32_e32 v1, v0, v4
	v_mov_b32_e32 v31, 0x80
	s_mov_b32 s27, exec_lo
	v_and_b32_e32 v4, 0x7f800000, v1
	v_cmpx_ne_u32_e32 0x7f800000, v4
	s_cbranch_execz .LBB6_8359
; %bb.8352:                             ;   in Loop: Header=BB6_8085 Depth=2
	v_mov_b32_e32 v31, 0
	s_mov_b32 s28, exec_lo
	v_cmpx_ne_u32_e32 0, v1
	s_cbranch_execz .LBB6_8358
; %bb.8353:                             ;   in Loop: Header=BB6_8085 Depth=2
	v_bfe_u32 v4, v1, 23, 8
	v_and_b32_e32 v6, 0x7fffff, v1
	v_sub_nc_u32_e32 v7, 0x78, v4
	v_cmp_gt_u32_e32 vcc_lo, 0x79, v4
	v_or_b32_e32 v8, 0x800000, v6
	v_cndmask_b32_e32 v7, 0, v7, vcc_lo
	v_cmp_eq_u32_e32 vcc_lo, 0, v4
	v_add_nc_u32_e32 v4, 0xffffff89, v4
	v_cndmask_b32_e64 v7, v7, 0x77, vcc_lo
	v_cndmask_b32_e32 v6, v8, v6, vcc_lo
	v_cndmask_b32_e64 v4, v4, 0xffffff8a, vcc_lo
	v_lshl_add_u32 v8, 0x100000, v7, -1
	v_lshrrev_b32_e32 v9, v7, v6
	v_lshlrev_b32_e64 v21, v7, 0x80000
	v_add_nc_u32_e32 v7, v7, v4
	v_and_b32_e32 v6, v8, v6
	v_bfe_u32 v16, v9, 20, 1
	v_cmp_eq_u32_e64 s12, v6, v21
	v_add_nc_u32_e32 v8, -1, v16
	v_cndmask_b32_e64 v6, 0, v8, s12
	v_lshrrev_b32_e32 v8, 23, v9
	s_mov_b32 s12, exec_lo
	v_add_nc_u32_e32 v6, v6, v9
	v_xor_b32_e32 v8, 1, v8
	v_and_b32_e32 v4, 0xfffff, v6
	v_add_nc_u32_e32 v6, v4, v9
                                        ; implicit-def: $vgpr4
	v_cmpx_ne_u32_e64 v7, v8
	s_xor_b32 s12, exec_lo, s12
; %bb.8354:                             ;   in Loop: Header=BB6_8085 Depth=2
	v_cmp_lt_u32_e32 vcc_lo, 0xffffff, v6
	v_sub_nc_u32_e32 v4, v7, v8
	v_cndmask_b32_e64 v7, 0, 1, vcc_lo
	v_add_co_ci_u32_e64 v4, null, 0, v4, vcc_lo
	v_lshrrev_b32_e32 v6, v7, v6
; %bb.8355:                             ;   in Loop: Header=BB6_8085 Depth=2
	s_andn2_saveexec_b32 s12, s12
; %bb.8356:                             ;   in Loop: Header=BB6_8085 Depth=2
	v_bfe_u32 v4, v6, 23, 1
; %bb.8357:                             ;   in Loop: Header=BB6_8085 Depth=2
	s_or_b32 exec_lo, exec_lo, s12
	v_lshrrev_b32_e32 v6, 20, v6
	v_cmp_gt_i32_e32 vcc_lo, 16, v4
	v_min_i32_e32 v7, 15, v4
	v_and_b32_sdwa v1, v1, v102 dst_sel:DWORD dst_unused:UNUSED_PAD src0_sel:BYTE_3 src1_sel:DWORD
	v_cndmask_b32_e32 v6, 7, v6, vcc_lo
	v_lshlrev_b32_e32 v7, 3, v7
	v_and_b32_e32 v8, 7, v6
	v_or_b32_e32 v4, v4, v6
	v_or3_b32 v1, v7, v1, v8
	v_cmp_ne_u32_e32 vcc_lo, 0, v4
	v_cndmask_b32_e32 v31, 0, v1, vcc_lo
.LBB6_8358:                             ;   in Loop: Header=BB6_8085 Depth=2
	s_or_b32 exec_lo, exec_lo, s28
.LBB6_8359:                             ;   in Loop: Header=BB6_8085 Depth=2
	s_or_b32 exec_lo, exec_lo, s27
	flat_load_ubyte v1, v[10:11] offset:608 slc
	s_mov_b32 s12, 0
	s_mov_b32 s27, exec_lo
	s_waitcnt vmcnt(0) lgkmcnt(0)
	v_cmpx_lt_i16_e32 0x7f, v1
	s_xor_b32 s27, exec_lo, s27
	s_cbranch_execz .LBB6_9217
; %bb.8360:                             ;   in Loop: Header=BB6_8085 Depth=2
	s_mov_b32 s12, -1
	s_mov_b32 s28, exec_lo
	v_cmpx_eq_u16_e32 0x80, v1
; %bb.8361:                             ;   in Loop: Header=BB6_8085 Depth=2
	s_xor_b32 s12, exec_lo, -1
; %bb.8362:                             ;   in Loop: Header=BB6_8085 Depth=2
	s_or_b32 exec_lo, exec_lo, s28
	s_and_b32 s12, s12, exec_lo
	s_or_saveexec_b32 s27, s27
	v_mov_b32_e32 v4, 0x7f800001
	s_xor_b32 exec_lo, exec_lo, s27
	s_cbranch_execnz .LBB6_9218
.LBB6_8363:                             ;   in Loop: Header=BB6_8085 Depth=2
	s_or_b32 exec_lo, exec_lo, s27
	s_and_saveexec_b32 s27, s12
	s_cbranch_execz .LBB6_8365
.LBB6_8364:                             ;   in Loop: Header=BB6_8085 Depth=2
	v_and_b32_e32 v4, 0xffff, v1
	v_lshlrev_b32_e32 v1, 24, v1
	v_and_b32_e32 v6, 7, v4
	v_bfe_u32 v9, v4, 3, 4
	v_and_b32_e32 v1, 0x80000000, v1
	v_ffbh_u32_e32 v7, v6
	v_cmp_eq_u32_e32 vcc_lo, 0, v9
	v_min_u32_e32 v7, 32, v7
	v_subrev_nc_u32_e32 v8, 28, v7
	v_sub_nc_u32_e32 v7, 29, v7
	v_lshlrev_b32_e32 v4, v8, v4
	v_cndmask_b32_e32 v7, v9, v7, vcc_lo
	v_and_b32_e32 v4, 7, v4
	v_cndmask_b32_e32 v4, v6, v4, vcc_lo
	v_lshl_add_u32 v6, v7, 23, 0x3b800000
	v_lshlrev_b32_e32 v4, 20, v4
	v_or3_b32 v4, v1, v6, v4
.LBB6_8365:                             ;   in Loop: Header=BB6_8085 Depth=2
	s_or_b32 exec_lo, exec_lo, s27
	v_mul_f32_e32 v1, v0, v4
	v_mov_b32_e32 v30, 0x80
	s_mov_b32 s27, exec_lo
	v_and_b32_e32 v4, 0x7f800000, v1
	v_cmpx_ne_u32_e32 0x7f800000, v4
	s_cbranch_execz .LBB6_8373
; %bb.8366:                             ;   in Loop: Header=BB6_8085 Depth=2
	v_mov_b32_e32 v30, 0
	s_mov_b32 s28, exec_lo
	v_cmpx_ne_u32_e32 0, v1
	s_cbranch_execz .LBB6_8372
; %bb.8367:                             ;   in Loop: Header=BB6_8085 Depth=2
	v_bfe_u32 v4, v1, 23, 8
	v_and_b32_e32 v6, 0x7fffff, v1
	v_sub_nc_u32_e32 v7, 0x78, v4
	v_cmp_gt_u32_e32 vcc_lo, 0x79, v4
	v_or_b32_e32 v8, 0x800000, v6
	v_cndmask_b32_e32 v7, 0, v7, vcc_lo
	v_cmp_eq_u32_e32 vcc_lo, 0, v4
	v_add_nc_u32_e32 v4, 0xffffff89, v4
	v_cndmask_b32_e64 v7, v7, 0x77, vcc_lo
	v_cndmask_b32_e32 v6, v8, v6, vcc_lo
	v_cndmask_b32_e64 v4, v4, 0xffffff8a, vcc_lo
	v_lshl_add_u32 v8, 0x100000, v7, -1
	v_lshrrev_b32_e32 v9, v7, v6
	v_lshlrev_b32_e64 v21, v7, 0x80000
	v_add_nc_u32_e32 v7, v7, v4
	v_and_b32_e32 v6, v8, v6
	v_bfe_u32 v16, v9, 20, 1
	v_cmp_eq_u32_e64 s12, v6, v21
	v_add_nc_u32_e32 v8, -1, v16
	v_cndmask_b32_e64 v6, 0, v8, s12
	v_lshrrev_b32_e32 v8, 23, v9
	s_mov_b32 s12, exec_lo
	v_add_nc_u32_e32 v6, v6, v9
	v_xor_b32_e32 v8, 1, v8
	v_and_b32_e32 v4, 0xfffff, v6
	v_add_nc_u32_e32 v6, v4, v9
                                        ; implicit-def: $vgpr4
	v_cmpx_ne_u32_e64 v7, v8
	s_xor_b32 s12, exec_lo, s12
; %bb.8368:                             ;   in Loop: Header=BB6_8085 Depth=2
	v_cmp_lt_u32_e32 vcc_lo, 0xffffff, v6
	v_sub_nc_u32_e32 v4, v7, v8
	v_cndmask_b32_e64 v7, 0, 1, vcc_lo
	v_add_co_ci_u32_e64 v4, null, 0, v4, vcc_lo
	v_lshrrev_b32_e32 v6, v7, v6
; %bb.8369:                             ;   in Loop: Header=BB6_8085 Depth=2
	s_andn2_saveexec_b32 s12, s12
; %bb.8370:                             ;   in Loop: Header=BB6_8085 Depth=2
	v_bfe_u32 v4, v6, 23, 1
; %bb.8371:                             ;   in Loop: Header=BB6_8085 Depth=2
	s_or_b32 exec_lo, exec_lo, s12
	v_lshrrev_b32_e32 v6, 20, v6
	v_cmp_gt_i32_e32 vcc_lo, 16, v4
	v_min_i32_e32 v7, 15, v4
	v_and_b32_sdwa v1, v1, v102 dst_sel:DWORD dst_unused:UNUSED_PAD src0_sel:BYTE_3 src1_sel:DWORD
	v_cndmask_b32_e32 v6, 7, v6, vcc_lo
	v_lshlrev_b32_e32 v7, 3, v7
	v_and_b32_e32 v8, 7, v6
	v_or_b32_e32 v4, v4, v6
	v_or3_b32 v1, v7, v1, v8
	v_cmp_ne_u32_e32 vcc_lo, 0, v4
	v_cndmask_b32_e32 v30, 0, v1, vcc_lo
.LBB6_8372:                             ;   in Loop: Header=BB6_8085 Depth=2
	s_or_b32 exec_lo, exec_lo, s28
.LBB6_8373:                             ;   in Loop: Header=BB6_8085 Depth=2
	s_or_b32 exec_lo, exec_lo, s27
	flat_load_ubyte v1, v[10:11] offset:640 slc
	s_mov_b32 s12, 0
	s_mov_b32 s27, exec_lo
	s_waitcnt vmcnt(0) lgkmcnt(0)
	v_cmpx_lt_i16_e32 0x7f, v1
	s_xor_b32 s27, exec_lo, s27
	s_cbranch_execz .LBB6_9219
; %bb.8374:                             ;   in Loop: Header=BB6_8085 Depth=2
	s_mov_b32 s12, -1
	s_mov_b32 s28, exec_lo
	v_cmpx_eq_u16_e32 0x80, v1
; %bb.8375:                             ;   in Loop: Header=BB6_8085 Depth=2
	s_xor_b32 s12, exec_lo, -1
; %bb.8376:                             ;   in Loop: Header=BB6_8085 Depth=2
	s_or_b32 exec_lo, exec_lo, s28
	s_and_b32 s12, s12, exec_lo
	s_or_saveexec_b32 s27, s27
	v_mov_b32_e32 v4, 0x7f800001
	s_xor_b32 exec_lo, exec_lo, s27
	s_cbranch_execnz .LBB6_9220
.LBB6_8377:                             ;   in Loop: Header=BB6_8085 Depth=2
	s_or_b32 exec_lo, exec_lo, s27
	s_and_saveexec_b32 s27, s12
	s_cbranch_execz .LBB6_8379
.LBB6_8378:                             ;   in Loop: Header=BB6_8085 Depth=2
	v_and_b32_e32 v4, 0xffff, v1
	v_lshlrev_b32_e32 v1, 24, v1
	v_and_b32_e32 v6, 7, v4
	v_bfe_u32 v9, v4, 3, 4
	v_and_b32_e32 v1, 0x80000000, v1
	v_ffbh_u32_e32 v7, v6
	v_cmp_eq_u32_e32 vcc_lo, 0, v9
	v_min_u32_e32 v7, 32, v7
	v_subrev_nc_u32_e32 v8, 28, v7
	v_sub_nc_u32_e32 v7, 29, v7
	v_lshlrev_b32_e32 v4, v8, v4
	v_cndmask_b32_e32 v7, v9, v7, vcc_lo
	v_and_b32_e32 v4, 7, v4
	v_cndmask_b32_e32 v4, v6, v4, vcc_lo
	v_lshl_add_u32 v6, v7, 23, 0x3b800000
	v_lshlrev_b32_e32 v4, 20, v4
	v_or3_b32 v4, v1, v6, v4
.LBB6_8379:                             ;   in Loop: Header=BB6_8085 Depth=2
	s_or_b32 exec_lo, exec_lo, s27
	v_mul_f32_e32 v1, v0, v4
	v_mov_b32_e32 v29, 0x80
	s_mov_b32 s27, exec_lo
	v_and_b32_e32 v4, 0x7f800000, v1
	v_cmpx_ne_u32_e32 0x7f800000, v4
	s_cbranch_execz .LBB6_8387
; %bb.8380:                             ;   in Loop: Header=BB6_8085 Depth=2
	v_mov_b32_e32 v29, 0
	s_mov_b32 s28, exec_lo
	v_cmpx_ne_u32_e32 0, v1
	s_cbranch_execz .LBB6_8386
; %bb.8381:                             ;   in Loop: Header=BB6_8085 Depth=2
	v_bfe_u32 v4, v1, 23, 8
	v_and_b32_e32 v6, 0x7fffff, v1
	v_sub_nc_u32_e32 v7, 0x78, v4
	v_cmp_gt_u32_e32 vcc_lo, 0x79, v4
	v_or_b32_e32 v8, 0x800000, v6
	v_cndmask_b32_e32 v7, 0, v7, vcc_lo
	v_cmp_eq_u32_e32 vcc_lo, 0, v4
	v_add_nc_u32_e32 v4, 0xffffff89, v4
	v_cndmask_b32_e64 v7, v7, 0x77, vcc_lo
	v_cndmask_b32_e32 v6, v8, v6, vcc_lo
	v_cndmask_b32_e64 v4, v4, 0xffffff8a, vcc_lo
	v_lshl_add_u32 v8, 0x100000, v7, -1
	v_lshrrev_b32_e32 v9, v7, v6
	v_lshlrev_b32_e64 v21, v7, 0x80000
	v_add_nc_u32_e32 v7, v7, v4
	v_and_b32_e32 v6, v8, v6
	v_bfe_u32 v16, v9, 20, 1
	v_cmp_eq_u32_e64 s12, v6, v21
	v_add_nc_u32_e32 v8, -1, v16
	v_cndmask_b32_e64 v6, 0, v8, s12
	v_lshrrev_b32_e32 v8, 23, v9
	s_mov_b32 s12, exec_lo
	v_add_nc_u32_e32 v6, v6, v9
	v_xor_b32_e32 v8, 1, v8
	v_and_b32_e32 v4, 0xfffff, v6
	v_add_nc_u32_e32 v6, v4, v9
                                        ; implicit-def: $vgpr4
	v_cmpx_ne_u32_e64 v7, v8
	s_xor_b32 s12, exec_lo, s12
; %bb.8382:                             ;   in Loop: Header=BB6_8085 Depth=2
	v_cmp_lt_u32_e32 vcc_lo, 0xffffff, v6
	v_sub_nc_u32_e32 v4, v7, v8
	v_cndmask_b32_e64 v7, 0, 1, vcc_lo
	v_add_co_ci_u32_e64 v4, null, 0, v4, vcc_lo
	v_lshrrev_b32_e32 v6, v7, v6
; %bb.8383:                             ;   in Loop: Header=BB6_8085 Depth=2
	s_andn2_saveexec_b32 s12, s12
; %bb.8384:                             ;   in Loop: Header=BB6_8085 Depth=2
	v_bfe_u32 v4, v6, 23, 1
; %bb.8385:                             ;   in Loop: Header=BB6_8085 Depth=2
	s_or_b32 exec_lo, exec_lo, s12
	v_lshrrev_b32_e32 v6, 20, v6
	v_cmp_gt_i32_e32 vcc_lo, 16, v4
	v_min_i32_e32 v7, 15, v4
	v_and_b32_sdwa v1, v1, v102 dst_sel:DWORD dst_unused:UNUSED_PAD src0_sel:BYTE_3 src1_sel:DWORD
	v_cndmask_b32_e32 v6, 7, v6, vcc_lo
	v_lshlrev_b32_e32 v7, 3, v7
	v_and_b32_e32 v8, 7, v6
	v_or_b32_e32 v4, v4, v6
	v_or3_b32 v1, v7, v1, v8
	v_cmp_ne_u32_e32 vcc_lo, 0, v4
	v_cndmask_b32_e32 v29, 0, v1, vcc_lo
.LBB6_8386:                             ;   in Loop: Header=BB6_8085 Depth=2
	s_or_b32 exec_lo, exec_lo, s28
.LBB6_8387:                             ;   in Loop: Header=BB6_8085 Depth=2
	s_or_b32 exec_lo, exec_lo, s27
	flat_load_ubyte v1, v[10:11] offset:672 slc
	s_mov_b32 s12, 0
	s_mov_b32 s27, exec_lo
	s_waitcnt vmcnt(0) lgkmcnt(0)
	v_cmpx_lt_i16_e32 0x7f, v1
	s_xor_b32 s27, exec_lo, s27
	s_cbranch_execz .LBB6_9221
; %bb.8388:                             ;   in Loop: Header=BB6_8085 Depth=2
	s_mov_b32 s12, -1
	s_mov_b32 s28, exec_lo
	v_cmpx_eq_u16_e32 0x80, v1
; %bb.8389:                             ;   in Loop: Header=BB6_8085 Depth=2
	s_xor_b32 s12, exec_lo, -1
; %bb.8390:                             ;   in Loop: Header=BB6_8085 Depth=2
	s_or_b32 exec_lo, exec_lo, s28
	s_and_b32 s12, s12, exec_lo
	s_or_saveexec_b32 s27, s27
	v_mov_b32_e32 v4, 0x7f800001
	s_xor_b32 exec_lo, exec_lo, s27
	s_cbranch_execnz .LBB6_9222
.LBB6_8391:                             ;   in Loop: Header=BB6_8085 Depth=2
	s_or_b32 exec_lo, exec_lo, s27
	s_and_saveexec_b32 s27, s12
	s_cbranch_execz .LBB6_8393
.LBB6_8392:                             ;   in Loop: Header=BB6_8085 Depth=2
	v_and_b32_e32 v4, 0xffff, v1
	v_lshlrev_b32_e32 v1, 24, v1
	v_and_b32_e32 v6, 7, v4
	v_bfe_u32 v9, v4, 3, 4
	v_and_b32_e32 v1, 0x80000000, v1
	v_ffbh_u32_e32 v7, v6
	v_cmp_eq_u32_e32 vcc_lo, 0, v9
	v_min_u32_e32 v7, 32, v7
	v_subrev_nc_u32_e32 v8, 28, v7
	v_sub_nc_u32_e32 v7, 29, v7
	v_lshlrev_b32_e32 v4, v8, v4
	v_cndmask_b32_e32 v7, v9, v7, vcc_lo
	v_and_b32_e32 v4, 7, v4
	v_cndmask_b32_e32 v4, v6, v4, vcc_lo
	v_lshl_add_u32 v6, v7, 23, 0x3b800000
	v_lshlrev_b32_e32 v4, 20, v4
	v_or3_b32 v4, v1, v6, v4
.LBB6_8393:                             ;   in Loop: Header=BB6_8085 Depth=2
	s_or_b32 exec_lo, exec_lo, s27
	v_mul_f32_e32 v1, v0, v4
	v_mov_b32_e32 v28, 0x80
	s_mov_b32 s27, exec_lo
	v_and_b32_e32 v4, 0x7f800000, v1
	v_cmpx_ne_u32_e32 0x7f800000, v4
	s_cbranch_execz .LBB6_8401
; %bb.8394:                             ;   in Loop: Header=BB6_8085 Depth=2
	v_mov_b32_e32 v28, 0
	s_mov_b32 s28, exec_lo
	v_cmpx_ne_u32_e32 0, v1
	s_cbranch_execz .LBB6_8400
; %bb.8395:                             ;   in Loop: Header=BB6_8085 Depth=2
	v_bfe_u32 v4, v1, 23, 8
	v_and_b32_e32 v6, 0x7fffff, v1
	v_sub_nc_u32_e32 v7, 0x78, v4
	v_cmp_gt_u32_e32 vcc_lo, 0x79, v4
	v_or_b32_e32 v8, 0x800000, v6
	v_cndmask_b32_e32 v7, 0, v7, vcc_lo
	v_cmp_eq_u32_e32 vcc_lo, 0, v4
	v_add_nc_u32_e32 v4, 0xffffff89, v4
	v_cndmask_b32_e64 v7, v7, 0x77, vcc_lo
	v_cndmask_b32_e32 v6, v8, v6, vcc_lo
	v_cndmask_b32_e64 v4, v4, 0xffffff8a, vcc_lo
	v_lshl_add_u32 v8, 0x100000, v7, -1
	v_lshrrev_b32_e32 v9, v7, v6
	v_lshlrev_b32_e64 v21, v7, 0x80000
	v_add_nc_u32_e32 v7, v7, v4
	v_and_b32_e32 v6, v8, v6
	v_bfe_u32 v16, v9, 20, 1
	v_cmp_eq_u32_e64 s12, v6, v21
	v_add_nc_u32_e32 v8, -1, v16
	v_cndmask_b32_e64 v6, 0, v8, s12
	v_lshrrev_b32_e32 v8, 23, v9
	s_mov_b32 s12, exec_lo
	v_add_nc_u32_e32 v6, v6, v9
	v_xor_b32_e32 v8, 1, v8
	v_and_b32_e32 v4, 0xfffff, v6
	v_add_nc_u32_e32 v6, v4, v9
                                        ; implicit-def: $vgpr4
	v_cmpx_ne_u32_e64 v7, v8
	s_xor_b32 s12, exec_lo, s12
; %bb.8396:                             ;   in Loop: Header=BB6_8085 Depth=2
	v_cmp_lt_u32_e32 vcc_lo, 0xffffff, v6
	v_sub_nc_u32_e32 v4, v7, v8
	v_cndmask_b32_e64 v7, 0, 1, vcc_lo
	v_add_co_ci_u32_e64 v4, null, 0, v4, vcc_lo
	v_lshrrev_b32_e32 v6, v7, v6
; %bb.8397:                             ;   in Loop: Header=BB6_8085 Depth=2
	s_andn2_saveexec_b32 s12, s12
; %bb.8398:                             ;   in Loop: Header=BB6_8085 Depth=2
	v_bfe_u32 v4, v6, 23, 1
; %bb.8399:                             ;   in Loop: Header=BB6_8085 Depth=2
	s_or_b32 exec_lo, exec_lo, s12
	v_lshrrev_b32_e32 v6, 20, v6
	v_cmp_gt_i32_e32 vcc_lo, 16, v4
	v_min_i32_e32 v7, 15, v4
	v_and_b32_sdwa v1, v1, v102 dst_sel:DWORD dst_unused:UNUSED_PAD src0_sel:BYTE_3 src1_sel:DWORD
	v_cndmask_b32_e32 v6, 7, v6, vcc_lo
	v_lshlrev_b32_e32 v7, 3, v7
	v_and_b32_e32 v8, 7, v6
	v_or_b32_e32 v4, v4, v6
	v_or3_b32 v1, v7, v1, v8
	v_cmp_ne_u32_e32 vcc_lo, 0, v4
	v_cndmask_b32_e32 v28, 0, v1, vcc_lo
.LBB6_8400:                             ;   in Loop: Header=BB6_8085 Depth=2
	s_or_b32 exec_lo, exec_lo, s28
.LBB6_8401:                             ;   in Loop: Header=BB6_8085 Depth=2
	s_or_b32 exec_lo, exec_lo, s27
	flat_load_ubyte v1, v[10:11] offset:704 slc
	s_mov_b32 s12, 0
	s_mov_b32 s27, exec_lo
	s_waitcnt vmcnt(0) lgkmcnt(0)
	v_cmpx_lt_i16_e32 0x7f, v1
	s_xor_b32 s27, exec_lo, s27
	s_cbranch_execz .LBB6_9223
; %bb.8402:                             ;   in Loop: Header=BB6_8085 Depth=2
	s_mov_b32 s12, -1
	s_mov_b32 s28, exec_lo
	v_cmpx_eq_u16_e32 0x80, v1
; %bb.8403:                             ;   in Loop: Header=BB6_8085 Depth=2
	s_xor_b32 s12, exec_lo, -1
; %bb.8404:                             ;   in Loop: Header=BB6_8085 Depth=2
	s_or_b32 exec_lo, exec_lo, s28
	s_and_b32 s12, s12, exec_lo
	s_or_saveexec_b32 s27, s27
	v_mov_b32_e32 v4, 0x7f800001
	s_xor_b32 exec_lo, exec_lo, s27
	s_cbranch_execnz .LBB6_9224
.LBB6_8405:                             ;   in Loop: Header=BB6_8085 Depth=2
	s_or_b32 exec_lo, exec_lo, s27
	s_and_saveexec_b32 s27, s12
	s_cbranch_execz .LBB6_8407
.LBB6_8406:                             ;   in Loop: Header=BB6_8085 Depth=2
	v_and_b32_e32 v4, 0xffff, v1
	v_lshlrev_b32_e32 v1, 24, v1
	v_and_b32_e32 v6, 7, v4
	v_bfe_u32 v9, v4, 3, 4
	v_and_b32_e32 v1, 0x80000000, v1
	v_ffbh_u32_e32 v7, v6
	v_cmp_eq_u32_e32 vcc_lo, 0, v9
	v_min_u32_e32 v7, 32, v7
	v_subrev_nc_u32_e32 v8, 28, v7
	v_sub_nc_u32_e32 v7, 29, v7
	v_lshlrev_b32_e32 v4, v8, v4
	v_cndmask_b32_e32 v7, v9, v7, vcc_lo
	v_and_b32_e32 v4, 7, v4
	v_cndmask_b32_e32 v4, v6, v4, vcc_lo
	v_lshl_add_u32 v6, v7, 23, 0x3b800000
	v_lshlrev_b32_e32 v4, 20, v4
	v_or3_b32 v4, v1, v6, v4
.LBB6_8407:                             ;   in Loop: Header=BB6_8085 Depth=2
	s_or_b32 exec_lo, exec_lo, s27
	v_mul_f32_e32 v1, v0, v4
	v_mov_b32_e32 v25, 0x80
	s_mov_b32 s27, exec_lo
	v_and_b32_e32 v4, 0x7f800000, v1
	v_cmpx_ne_u32_e32 0x7f800000, v4
	s_cbranch_execz .LBB6_8415
; %bb.8408:                             ;   in Loop: Header=BB6_8085 Depth=2
	v_mov_b32_e32 v25, 0
	s_mov_b32 s28, exec_lo
	v_cmpx_ne_u32_e32 0, v1
	s_cbranch_execz .LBB6_8414
; %bb.8409:                             ;   in Loop: Header=BB6_8085 Depth=2
	v_bfe_u32 v4, v1, 23, 8
	v_and_b32_e32 v6, 0x7fffff, v1
	v_sub_nc_u32_e32 v7, 0x78, v4
	v_cmp_gt_u32_e32 vcc_lo, 0x79, v4
	v_or_b32_e32 v8, 0x800000, v6
	v_cndmask_b32_e32 v7, 0, v7, vcc_lo
	v_cmp_eq_u32_e32 vcc_lo, 0, v4
	v_add_nc_u32_e32 v4, 0xffffff89, v4
	v_cndmask_b32_e64 v7, v7, 0x77, vcc_lo
	v_cndmask_b32_e32 v6, v8, v6, vcc_lo
	v_cndmask_b32_e64 v4, v4, 0xffffff8a, vcc_lo
	v_lshl_add_u32 v8, 0x100000, v7, -1
	v_lshrrev_b32_e32 v9, v7, v6
	v_lshlrev_b32_e64 v21, v7, 0x80000
	v_add_nc_u32_e32 v7, v7, v4
	v_and_b32_e32 v6, v8, v6
	v_bfe_u32 v16, v9, 20, 1
	v_cmp_eq_u32_e64 s12, v6, v21
	v_add_nc_u32_e32 v8, -1, v16
	v_cndmask_b32_e64 v6, 0, v8, s12
	v_lshrrev_b32_e32 v8, 23, v9
	s_mov_b32 s12, exec_lo
	v_add_nc_u32_e32 v6, v6, v9
	v_xor_b32_e32 v8, 1, v8
	v_and_b32_e32 v4, 0xfffff, v6
	v_add_nc_u32_e32 v6, v4, v9
                                        ; implicit-def: $vgpr4
	v_cmpx_ne_u32_e64 v7, v8
	s_xor_b32 s12, exec_lo, s12
; %bb.8410:                             ;   in Loop: Header=BB6_8085 Depth=2
	v_cmp_lt_u32_e32 vcc_lo, 0xffffff, v6
	v_sub_nc_u32_e32 v4, v7, v8
	v_cndmask_b32_e64 v7, 0, 1, vcc_lo
	v_add_co_ci_u32_e64 v4, null, 0, v4, vcc_lo
	v_lshrrev_b32_e32 v6, v7, v6
; %bb.8411:                             ;   in Loop: Header=BB6_8085 Depth=2
	s_andn2_saveexec_b32 s12, s12
; %bb.8412:                             ;   in Loop: Header=BB6_8085 Depth=2
	v_bfe_u32 v4, v6, 23, 1
; %bb.8413:                             ;   in Loop: Header=BB6_8085 Depth=2
	s_or_b32 exec_lo, exec_lo, s12
	v_lshrrev_b32_e32 v6, 20, v6
	v_cmp_gt_i32_e32 vcc_lo, 16, v4
	v_min_i32_e32 v7, 15, v4
	v_and_b32_sdwa v1, v1, v102 dst_sel:DWORD dst_unused:UNUSED_PAD src0_sel:BYTE_3 src1_sel:DWORD
	v_cndmask_b32_e32 v6, 7, v6, vcc_lo
	v_lshlrev_b32_e32 v7, 3, v7
	v_and_b32_e32 v8, 7, v6
	v_or_b32_e32 v4, v4, v6
	v_or3_b32 v1, v7, v1, v8
	v_cmp_ne_u32_e32 vcc_lo, 0, v4
	v_cndmask_b32_e32 v25, 0, v1, vcc_lo
.LBB6_8414:                             ;   in Loop: Header=BB6_8085 Depth=2
	s_or_b32 exec_lo, exec_lo, s28
.LBB6_8415:                             ;   in Loop: Header=BB6_8085 Depth=2
	s_or_b32 exec_lo, exec_lo, s27
	flat_load_ubyte v1, v[10:11] offset:736 slc
	s_mov_b32 s12, 0
	s_mov_b32 s27, exec_lo
	s_waitcnt vmcnt(0) lgkmcnt(0)
	v_cmpx_lt_i16_e32 0x7f, v1
	s_xor_b32 s27, exec_lo, s27
	s_cbranch_execz .LBB6_9225
; %bb.8416:                             ;   in Loop: Header=BB6_8085 Depth=2
	s_mov_b32 s12, -1
	s_mov_b32 s28, exec_lo
	v_cmpx_eq_u16_e32 0x80, v1
; %bb.8417:                             ;   in Loop: Header=BB6_8085 Depth=2
	s_xor_b32 s12, exec_lo, -1
; %bb.8418:                             ;   in Loop: Header=BB6_8085 Depth=2
	s_or_b32 exec_lo, exec_lo, s28
	s_and_b32 s12, s12, exec_lo
	s_or_saveexec_b32 s27, s27
	v_mov_b32_e32 v4, 0x7f800001
	s_xor_b32 exec_lo, exec_lo, s27
	s_cbranch_execnz .LBB6_9226
.LBB6_8419:                             ;   in Loop: Header=BB6_8085 Depth=2
	s_or_b32 exec_lo, exec_lo, s27
	s_and_saveexec_b32 s27, s12
	s_cbranch_execz .LBB6_8421
.LBB6_8420:                             ;   in Loop: Header=BB6_8085 Depth=2
	v_and_b32_e32 v4, 0xffff, v1
	v_lshlrev_b32_e32 v1, 24, v1
	v_and_b32_e32 v6, 7, v4
	v_bfe_u32 v9, v4, 3, 4
	v_and_b32_e32 v1, 0x80000000, v1
	v_ffbh_u32_e32 v7, v6
	v_cmp_eq_u32_e32 vcc_lo, 0, v9
	v_min_u32_e32 v7, 32, v7
	v_subrev_nc_u32_e32 v8, 28, v7
	v_sub_nc_u32_e32 v7, 29, v7
	v_lshlrev_b32_e32 v4, v8, v4
	v_cndmask_b32_e32 v7, v9, v7, vcc_lo
	v_and_b32_e32 v4, 7, v4
	v_cndmask_b32_e32 v4, v6, v4, vcc_lo
	v_lshl_add_u32 v6, v7, 23, 0x3b800000
	v_lshlrev_b32_e32 v4, 20, v4
	v_or3_b32 v4, v1, v6, v4
.LBB6_8421:                             ;   in Loop: Header=BB6_8085 Depth=2
	s_or_b32 exec_lo, exec_lo, s27
	v_mul_f32_e32 v1, v0, v4
	v_mov_b32_e32 v24, 0x80
	s_mov_b32 s27, exec_lo
	v_and_b32_e32 v4, 0x7f800000, v1
	v_cmpx_ne_u32_e32 0x7f800000, v4
	s_cbranch_execz .LBB6_8429
; %bb.8422:                             ;   in Loop: Header=BB6_8085 Depth=2
	v_mov_b32_e32 v24, 0
	s_mov_b32 s28, exec_lo
	v_cmpx_ne_u32_e32 0, v1
	s_cbranch_execz .LBB6_8428
; %bb.8423:                             ;   in Loop: Header=BB6_8085 Depth=2
	v_bfe_u32 v4, v1, 23, 8
	v_and_b32_e32 v6, 0x7fffff, v1
	v_sub_nc_u32_e32 v7, 0x78, v4
	v_cmp_gt_u32_e32 vcc_lo, 0x79, v4
	v_or_b32_e32 v8, 0x800000, v6
	v_cndmask_b32_e32 v7, 0, v7, vcc_lo
	v_cmp_eq_u32_e32 vcc_lo, 0, v4
	v_add_nc_u32_e32 v4, 0xffffff89, v4
	v_cndmask_b32_e64 v7, v7, 0x77, vcc_lo
	v_cndmask_b32_e32 v6, v8, v6, vcc_lo
	v_cndmask_b32_e64 v4, v4, 0xffffff8a, vcc_lo
	v_lshl_add_u32 v8, 0x100000, v7, -1
	v_lshrrev_b32_e32 v9, v7, v6
	v_lshlrev_b32_e64 v21, v7, 0x80000
	v_add_nc_u32_e32 v7, v7, v4
	v_and_b32_e32 v6, v8, v6
	v_bfe_u32 v16, v9, 20, 1
	v_cmp_eq_u32_e64 s12, v6, v21
	v_add_nc_u32_e32 v8, -1, v16
	v_cndmask_b32_e64 v6, 0, v8, s12
	v_lshrrev_b32_e32 v8, 23, v9
	s_mov_b32 s12, exec_lo
	v_add_nc_u32_e32 v6, v6, v9
	v_xor_b32_e32 v8, 1, v8
	v_and_b32_e32 v4, 0xfffff, v6
	v_add_nc_u32_e32 v6, v4, v9
                                        ; implicit-def: $vgpr4
	v_cmpx_ne_u32_e64 v7, v8
	s_xor_b32 s12, exec_lo, s12
; %bb.8424:                             ;   in Loop: Header=BB6_8085 Depth=2
	v_cmp_lt_u32_e32 vcc_lo, 0xffffff, v6
	v_sub_nc_u32_e32 v4, v7, v8
	v_cndmask_b32_e64 v7, 0, 1, vcc_lo
	v_add_co_ci_u32_e64 v4, null, 0, v4, vcc_lo
	v_lshrrev_b32_e32 v6, v7, v6
; %bb.8425:                             ;   in Loop: Header=BB6_8085 Depth=2
	s_andn2_saveexec_b32 s12, s12
; %bb.8426:                             ;   in Loop: Header=BB6_8085 Depth=2
	v_bfe_u32 v4, v6, 23, 1
; %bb.8427:                             ;   in Loop: Header=BB6_8085 Depth=2
	s_or_b32 exec_lo, exec_lo, s12
	v_lshrrev_b32_e32 v6, 20, v6
	v_cmp_gt_i32_e32 vcc_lo, 16, v4
	v_min_i32_e32 v7, 15, v4
	v_and_b32_sdwa v1, v1, v102 dst_sel:DWORD dst_unused:UNUSED_PAD src0_sel:BYTE_3 src1_sel:DWORD
	v_cndmask_b32_e32 v6, 7, v6, vcc_lo
	v_lshlrev_b32_e32 v7, 3, v7
	v_and_b32_e32 v8, 7, v6
	v_or_b32_e32 v4, v4, v6
	v_or3_b32 v1, v7, v1, v8
	v_cmp_ne_u32_e32 vcc_lo, 0, v4
	v_cndmask_b32_e32 v24, 0, v1, vcc_lo
.LBB6_8428:                             ;   in Loop: Header=BB6_8085 Depth=2
	s_or_b32 exec_lo, exec_lo, s28
.LBB6_8429:                             ;   in Loop: Header=BB6_8085 Depth=2
	s_or_b32 exec_lo, exec_lo, s27
	flat_load_ubyte v1, v[10:11] offset:768 slc
	s_mov_b32 s12, 0
	s_mov_b32 s27, exec_lo
	s_waitcnt vmcnt(0) lgkmcnt(0)
	v_cmpx_lt_i16_e32 0x7f, v1
	s_xor_b32 s27, exec_lo, s27
	s_cbranch_execz .LBB6_9227
; %bb.8430:                             ;   in Loop: Header=BB6_8085 Depth=2
	s_mov_b32 s12, -1
	s_mov_b32 s28, exec_lo
	v_cmpx_eq_u16_e32 0x80, v1
; %bb.8431:                             ;   in Loop: Header=BB6_8085 Depth=2
	s_xor_b32 s12, exec_lo, -1
; %bb.8432:                             ;   in Loop: Header=BB6_8085 Depth=2
	s_or_b32 exec_lo, exec_lo, s28
	s_and_b32 s12, s12, exec_lo
	s_or_saveexec_b32 s27, s27
	v_mov_b32_e32 v4, 0x7f800001
	s_xor_b32 exec_lo, exec_lo, s27
	s_cbranch_execnz .LBB6_9228
.LBB6_8433:                             ;   in Loop: Header=BB6_8085 Depth=2
	s_or_b32 exec_lo, exec_lo, s27
	s_and_saveexec_b32 s27, s12
	s_cbranch_execz .LBB6_8435
.LBB6_8434:                             ;   in Loop: Header=BB6_8085 Depth=2
	v_and_b32_e32 v4, 0xffff, v1
	v_lshlrev_b32_e32 v1, 24, v1
	v_and_b32_e32 v6, 7, v4
	v_bfe_u32 v9, v4, 3, 4
	v_and_b32_e32 v1, 0x80000000, v1
	v_ffbh_u32_e32 v7, v6
	v_cmp_eq_u32_e32 vcc_lo, 0, v9
	v_min_u32_e32 v7, 32, v7
	v_subrev_nc_u32_e32 v8, 28, v7
	v_sub_nc_u32_e32 v7, 29, v7
	v_lshlrev_b32_e32 v4, v8, v4
	v_cndmask_b32_e32 v7, v9, v7, vcc_lo
	v_and_b32_e32 v4, 7, v4
	v_cndmask_b32_e32 v4, v6, v4, vcc_lo
	v_lshl_add_u32 v6, v7, 23, 0x3b800000
	v_lshlrev_b32_e32 v4, 20, v4
	v_or3_b32 v4, v1, v6, v4
.LBB6_8435:                             ;   in Loop: Header=BB6_8085 Depth=2
	s_or_b32 exec_lo, exec_lo, s27
	v_mul_f32_e32 v1, v0, v4
	v_mov_b32_e32 v23, 0x80
	s_mov_b32 s27, exec_lo
	v_and_b32_e32 v4, 0x7f800000, v1
	v_cmpx_ne_u32_e32 0x7f800000, v4
	s_cbranch_execz .LBB6_8443
; %bb.8436:                             ;   in Loop: Header=BB6_8085 Depth=2
	v_mov_b32_e32 v23, 0
	s_mov_b32 s28, exec_lo
	v_cmpx_ne_u32_e32 0, v1
	s_cbranch_execz .LBB6_8442
; %bb.8437:                             ;   in Loop: Header=BB6_8085 Depth=2
	v_bfe_u32 v4, v1, 23, 8
	v_and_b32_e32 v6, 0x7fffff, v1
	v_sub_nc_u32_e32 v7, 0x78, v4
	v_cmp_gt_u32_e32 vcc_lo, 0x79, v4
	v_or_b32_e32 v8, 0x800000, v6
	v_cndmask_b32_e32 v7, 0, v7, vcc_lo
	v_cmp_eq_u32_e32 vcc_lo, 0, v4
	v_add_nc_u32_e32 v4, 0xffffff89, v4
	v_cndmask_b32_e64 v7, v7, 0x77, vcc_lo
	v_cndmask_b32_e32 v6, v8, v6, vcc_lo
	v_cndmask_b32_e64 v4, v4, 0xffffff8a, vcc_lo
	v_lshl_add_u32 v8, 0x100000, v7, -1
	v_lshrrev_b32_e32 v9, v7, v6
	v_lshlrev_b32_e64 v21, v7, 0x80000
	v_add_nc_u32_e32 v7, v7, v4
	v_and_b32_e32 v6, v8, v6
	v_bfe_u32 v16, v9, 20, 1
	v_cmp_eq_u32_e64 s12, v6, v21
	v_add_nc_u32_e32 v8, -1, v16
	v_cndmask_b32_e64 v6, 0, v8, s12
	v_lshrrev_b32_e32 v8, 23, v9
	s_mov_b32 s12, exec_lo
	v_add_nc_u32_e32 v6, v6, v9
	v_xor_b32_e32 v8, 1, v8
	v_and_b32_e32 v4, 0xfffff, v6
	v_add_nc_u32_e32 v6, v4, v9
                                        ; implicit-def: $vgpr4
	v_cmpx_ne_u32_e64 v7, v8
	s_xor_b32 s12, exec_lo, s12
; %bb.8438:                             ;   in Loop: Header=BB6_8085 Depth=2
	v_cmp_lt_u32_e32 vcc_lo, 0xffffff, v6
	v_sub_nc_u32_e32 v4, v7, v8
	v_cndmask_b32_e64 v7, 0, 1, vcc_lo
	v_add_co_ci_u32_e64 v4, null, 0, v4, vcc_lo
	v_lshrrev_b32_e32 v6, v7, v6
; %bb.8439:                             ;   in Loop: Header=BB6_8085 Depth=2
	s_andn2_saveexec_b32 s12, s12
; %bb.8440:                             ;   in Loop: Header=BB6_8085 Depth=2
	v_bfe_u32 v4, v6, 23, 1
; %bb.8441:                             ;   in Loop: Header=BB6_8085 Depth=2
	s_or_b32 exec_lo, exec_lo, s12
	v_lshrrev_b32_e32 v6, 20, v6
	v_cmp_gt_i32_e32 vcc_lo, 16, v4
	v_min_i32_e32 v7, 15, v4
	v_and_b32_sdwa v1, v1, v102 dst_sel:DWORD dst_unused:UNUSED_PAD src0_sel:BYTE_3 src1_sel:DWORD
	v_cndmask_b32_e32 v6, 7, v6, vcc_lo
	v_lshlrev_b32_e32 v7, 3, v7
	v_and_b32_e32 v8, 7, v6
	v_or_b32_e32 v4, v4, v6
	v_or3_b32 v1, v7, v1, v8
	v_cmp_ne_u32_e32 vcc_lo, 0, v4
	v_cndmask_b32_e32 v23, 0, v1, vcc_lo
.LBB6_8442:                             ;   in Loop: Header=BB6_8085 Depth=2
	s_or_b32 exec_lo, exec_lo, s28
.LBB6_8443:                             ;   in Loop: Header=BB6_8085 Depth=2
	s_or_b32 exec_lo, exec_lo, s27
	flat_load_ubyte v1, v[10:11] offset:800 slc
	s_mov_b32 s12, 0
	s_mov_b32 s27, exec_lo
	s_waitcnt vmcnt(0) lgkmcnt(0)
	v_cmpx_lt_i16_e32 0x7f, v1
	s_xor_b32 s27, exec_lo, s27
	s_cbranch_execz .LBB6_9229
; %bb.8444:                             ;   in Loop: Header=BB6_8085 Depth=2
	s_mov_b32 s12, -1
	s_mov_b32 s28, exec_lo
	v_cmpx_eq_u16_e32 0x80, v1
; %bb.8445:                             ;   in Loop: Header=BB6_8085 Depth=2
	s_xor_b32 s12, exec_lo, -1
; %bb.8446:                             ;   in Loop: Header=BB6_8085 Depth=2
	s_or_b32 exec_lo, exec_lo, s28
	s_and_b32 s12, s12, exec_lo
	s_or_saveexec_b32 s27, s27
	v_mov_b32_e32 v4, 0x7f800001
	s_xor_b32 exec_lo, exec_lo, s27
	s_cbranch_execnz .LBB6_9230
.LBB6_8447:                             ;   in Loop: Header=BB6_8085 Depth=2
	s_or_b32 exec_lo, exec_lo, s27
	s_and_saveexec_b32 s27, s12
	s_cbranch_execz .LBB6_8449
.LBB6_8448:                             ;   in Loop: Header=BB6_8085 Depth=2
	v_and_b32_e32 v4, 0xffff, v1
	v_lshlrev_b32_e32 v1, 24, v1
	v_and_b32_e32 v6, 7, v4
	v_bfe_u32 v9, v4, 3, 4
	v_and_b32_e32 v1, 0x80000000, v1
	v_ffbh_u32_e32 v7, v6
	v_cmp_eq_u32_e32 vcc_lo, 0, v9
	v_min_u32_e32 v7, 32, v7
	v_subrev_nc_u32_e32 v8, 28, v7
	v_sub_nc_u32_e32 v7, 29, v7
	v_lshlrev_b32_e32 v4, v8, v4
	v_cndmask_b32_e32 v7, v9, v7, vcc_lo
	v_and_b32_e32 v4, 7, v4
	v_cndmask_b32_e32 v4, v6, v4, vcc_lo
	v_lshl_add_u32 v6, v7, 23, 0x3b800000
	v_lshlrev_b32_e32 v4, 20, v4
	v_or3_b32 v4, v1, v6, v4
.LBB6_8449:                             ;   in Loop: Header=BB6_8085 Depth=2
	s_or_b32 exec_lo, exec_lo, s27
	v_mul_f32_e32 v1, v0, v4
	v_mov_b32_e32 v21, 0x80
	s_mov_b32 s27, exec_lo
	v_and_b32_e32 v4, 0x7f800000, v1
	v_cmpx_ne_u32_e32 0x7f800000, v4
	s_cbranch_execz .LBB6_8457
; %bb.8450:                             ;   in Loop: Header=BB6_8085 Depth=2
	v_mov_b32_e32 v21, 0
	s_mov_b32 s28, exec_lo
	v_cmpx_ne_u32_e32 0, v1
	s_cbranch_execz .LBB6_8456
; %bb.8451:                             ;   in Loop: Header=BB6_8085 Depth=2
	v_bfe_u32 v4, v1, 23, 8
	v_and_b32_e32 v6, 0x7fffff, v1
	v_sub_nc_u32_e32 v7, 0x78, v4
	v_cmp_gt_u32_e32 vcc_lo, 0x79, v4
	v_or_b32_e32 v8, 0x800000, v6
	v_cndmask_b32_e32 v7, 0, v7, vcc_lo
	v_cmp_eq_u32_e32 vcc_lo, 0, v4
	v_add_nc_u32_e32 v4, 0xffffff89, v4
	v_cndmask_b32_e64 v7, v7, 0x77, vcc_lo
	v_cndmask_b32_e32 v6, v8, v6, vcc_lo
	v_cndmask_b32_e64 v4, v4, 0xffffff8a, vcc_lo
	v_lshl_add_u32 v8, 0x100000, v7, -1
	v_lshrrev_b32_e32 v9, v7, v6
	v_lshlrev_b32_e64 v21, v7, 0x80000
	v_add_nc_u32_e32 v7, v7, v4
	v_and_b32_e32 v6, v8, v6
	v_bfe_u32 v16, v9, 20, 1
	v_cmp_eq_u32_e64 s12, v6, v21
	v_add_nc_u32_e32 v8, -1, v16
	v_cndmask_b32_e64 v6, 0, v8, s12
	v_lshrrev_b32_e32 v8, 23, v9
	s_mov_b32 s12, exec_lo
	v_add_nc_u32_e32 v6, v6, v9
	v_xor_b32_e32 v8, 1, v8
	v_and_b32_e32 v4, 0xfffff, v6
	v_add_nc_u32_e32 v6, v4, v9
                                        ; implicit-def: $vgpr4
	v_cmpx_ne_u32_e64 v7, v8
	s_xor_b32 s12, exec_lo, s12
; %bb.8452:                             ;   in Loop: Header=BB6_8085 Depth=2
	v_cmp_lt_u32_e32 vcc_lo, 0xffffff, v6
	v_sub_nc_u32_e32 v4, v7, v8
	v_cndmask_b32_e64 v7, 0, 1, vcc_lo
	v_add_co_ci_u32_e64 v4, null, 0, v4, vcc_lo
	v_lshrrev_b32_e32 v6, v7, v6
; %bb.8453:                             ;   in Loop: Header=BB6_8085 Depth=2
	s_andn2_saveexec_b32 s12, s12
; %bb.8454:                             ;   in Loop: Header=BB6_8085 Depth=2
	v_bfe_u32 v4, v6, 23, 1
; %bb.8455:                             ;   in Loop: Header=BB6_8085 Depth=2
	s_or_b32 exec_lo, exec_lo, s12
	v_lshrrev_b32_e32 v6, 20, v6
	v_cmp_gt_i32_e32 vcc_lo, 16, v4
	v_min_i32_e32 v7, 15, v4
	v_and_b32_sdwa v1, v1, v102 dst_sel:DWORD dst_unused:UNUSED_PAD src0_sel:BYTE_3 src1_sel:DWORD
	v_cndmask_b32_e32 v6, 7, v6, vcc_lo
	v_lshlrev_b32_e32 v7, 3, v7
	v_and_b32_e32 v8, 7, v6
	v_or_b32_e32 v4, v4, v6
	v_or3_b32 v1, v7, v1, v8
	v_cmp_ne_u32_e32 vcc_lo, 0, v4
	v_cndmask_b32_e32 v21, 0, v1, vcc_lo
.LBB6_8456:                             ;   in Loop: Header=BB6_8085 Depth=2
	s_or_b32 exec_lo, exec_lo, s28
.LBB6_8457:                             ;   in Loop: Header=BB6_8085 Depth=2
	s_or_b32 exec_lo, exec_lo, s27
	flat_load_ubyte v1, v[10:11] offset:832 slc
	s_mov_b32 s12, 0
	s_mov_b32 s27, exec_lo
	s_waitcnt vmcnt(0) lgkmcnt(0)
	v_cmpx_lt_i16_e32 0x7f, v1
	s_xor_b32 s27, exec_lo, s27
	s_cbranch_execz .LBB6_9231
; %bb.8458:                             ;   in Loop: Header=BB6_8085 Depth=2
	s_mov_b32 s12, -1
	s_mov_b32 s28, exec_lo
	v_cmpx_eq_u16_e32 0x80, v1
; %bb.8459:                             ;   in Loop: Header=BB6_8085 Depth=2
	s_xor_b32 s12, exec_lo, -1
; %bb.8460:                             ;   in Loop: Header=BB6_8085 Depth=2
	s_or_b32 exec_lo, exec_lo, s28
	s_and_b32 s12, s12, exec_lo
	s_or_saveexec_b32 s27, s27
	v_mov_b32_e32 v4, 0x7f800001
	s_xor_b32 exec_lo, exec_lo, s27
	s_cbranch_execnz .LBB6_9232
.LBB6_8461:                             ;   in Loop: Header=BB6_8085 Depth=2
	s_or_b32 exec_lo, exec_lo, s27
	s_and_saveexec_b32 s27, s12
	s_cbranch_execz .LBB6_8463
.LBB6_8462:                             ;   in Loop: Header=BB6_8085 Depth=2
	v_and_b32_e32 v4, 0xffff, v1
	v_lshlrev_b32_e32 v1, 24, v1
	v_and_b32_e32 v6, 7, v4
	v_bfe_u32 v9, v4, 3, 4
	v_and_b32_e32 v1, 0x80000000, v1
	v_ffbh_u32_e32 v7, v6
	v_cmp_eq_u32_e32 vcc_lo, 0, v9
	v_min_u32_e32 v7, 32, v7
	v_subrev_nc_u32_e32 v8, 28, v7
	v_sub_nc_u32_e32 v7, 29, v7
	v_lshlrev_b32_e32 v4, v8, v4
	v_cndmask_b32_e32 v7, v9, v7, vcc_lo
	v_and_b32_e32 v4, 7, v4
	v_cndmask_b32_e32 v4, v6, v4, vcc_lo
	v_lshl_add_u32 v6, v7, 23, 0x3b800000
	v_lshlrev_b32_e32 v4, 20, v4
	v_or3_b32 v4, v1, v6, v4
.LBB6_8463:                             ;   in Loop: Header=BB6_8085 Depth=2
	s_or_b32 exec_lo, exec_lo, s27
	v_mul_f32_e32 v1, v0, v4
	v_mov_b32_e32 v16, 0x80
	s_mov_b32 s27, exec_lo
	v_and_b32_e32 v4, 0x7f800000, v1
	v_cmpx_ne_u32_e32 0x7f800000, v4
	s_cbranch_execz .LBB6_8471
; %bb.8464:                             ;   in Loop: Header=BB6_8085 Depth=2
	v_mov_b32_e32 v16, 0
	s_mov_b32 s28, exec_lo
	v_cmpx_ne_u32_e32 0, v1
	s_cbranch_execz .LBB6_8470
; %bb.8465:                             ;   in Loop: Header=BB6_8085 Depth=2
	v_bfe_u32 v4, v1, 23, 8
	v_and_b32_e32 v6, 0x7fffff, v1
	v_sub_nc_u32_e32 v7, 0x78, v4
	v_cmp_gt_u32_e32 vcc_lo, 0x79, v4
	v_or_b32_e32 v8, 0x800000, v6
	v_cndmask_b32_e32 v7, 0, v7, vcc_lo
	v_cmp_eq_u32_e32 vcc_lo, 0, v4
	v_add_nc_u32_e32 v4, 0xffffff89, v4
	v_cndmask_b32_e64 v7, v7, 0x77, vcc_lo
	v_cndmask_b32_e32 v6, v8, v6, vcc_lo
	v_cndmask_b32_e64 v4, v4, 0xffffff8a, vcc_lo
	v_lshl_add_u32 v8, 0x100000, v7, -1
	v_lshrrev_b32_e32 v9, v7, v6
	v_lshlrev_b32_e64 v22, v7, 0x80000
	v_add_nc_u32_e32 v7, v7, v4
	v_and_b32_e32 v6, v8, v6
	v_bfe_u32 v16, v9, 20, 1
	v_cmp_eq_u32_e64 s12, v6, v22
	v_add_nc_u32_e32 v8, -1, v16
	v_cndmask_b32_e64 v6, 0, v8, s12
	v_lshrrev_b32_e32 v8, 23, v9
	s_mov_b32 s12, exec_lo
	v_add_nc_u32_e32 v6, v6, v9
	v_xor_b32_e32 v8, 1, v8
	v_and_b32_e32 v4, 0xfffff, v6
	v_add_nc_u32_e32 v6, v4, v9
                                        ; implicit-def: $vgpr4
	v_cmpx_ne_u32_e64 v7, v8
	s_xor_b32 s12, exec_lo, s12
; %bb.8466:                             ;   in Loop: Header=BB6_8085 Depth=2
	v_cmp_lt_u32_e32 vcc_lo, 0xffffff, v6
	v_sub_nc_u32_e32 v4, v7, v8
	v_cndmask_b32_e64 v7, 0, 1, vcc_lo
	v_add_co_ci_u32_e64 v4, null, 0, v4, vcc_lo
	v_lshrrev_b32_e32 v6, v7, v6
; %bb.8467:                             ;   in Loop: Header=BB6_8085 Depth=2
	s_andn2_saveexec_b32 s12, s12
; %bb.8468:                             ;   in Loop: Header=BB6_8085 Depth=2
	v_bfe_u32 v4, v6, 23, 1
; %bb.8469:                             ;   in Loop: Header=BB6_8085 Depth=2
	s_or_b32 exec_lo, exec_lo, s12
	v_lshrrev_b32_e32 v6, 20, v6
	v_cmp_gt_i32_e32 vcc_lo, 16, v4
	v_min_i32_e32 v7, 15, v4
	v_and_b32_sdwa v1, v1, v102 dst_sel:DWORD dst_unused:UNUSED_PAD src0_sel:BYTE_3 src1_sel:DWORD
	v_cndmask_b32_e32 v6, 7, v6, vcc_lo
	v_lshlrev_b32_e32 v7, 3, v7
	v_and_b32_e32 v8, 7, v6
	v_or_b32_e32 v4, v4, v6
	v_or3_b32 v1, v7, v1, v8
	v_cmp_ne_u32_e32 vcc_lo, 0, v4
	v_cndmask_b32_e32 v16, 0, v1, vcc_lo
.LBB6_8470:                             ;   in Loop: Header=BB6_8085 Depth=2
	s_or_b32 exec_lo, exec_lo, s28
.LBB6_8471:                             ;   in Loop: Header=BB6_8085 Depth=2
	s_or_b32 exec_lo, exec_lo, s27
	flat_load_ubyte v1, v[10:11] offset:864 slc
	s_mov_b32 s12, 0
	s_mov_b32 s27, exec_lo
	s_waitcnt vmcnt(0) lgkmcnt(0)
	v_cmpx_lt_i16_e32 0x7f, v1
	s_xor_b32 s27, exec_lo, s27
	s_cbranch_execz .LBB6_9233
; %bb.8472:                             ;   in Loop: Header=BB6_8085 Depth=2
	s_mov_b32 s12, -1
	s_mov_b32 s28, exec_lo
	v_cmpx_eq_u16_e32 0x80, v1
; %bb.8473:                             ;   in Loop: Header=BB6_8085 Depth=2
	s_xor_b32 s12, exec_lo, -1
; %bb.8474:                             ;   in Loop: Header=BB6_8085 Depth=2
	s_or_b32 exec_lo, exec_lo, s28
	s_and_b32 s12, s12, exec_lo
	s_or_saveexec_b32 s27, s27
	v_mov_b32_e32 v4, 0x7f800001
	s_xor_b32 exec_lo, exec_lo, s27
	s_cbranch_execnz .LBB6_9234
.LBB6_8475:                             ;   in Loop: Header=BB6_8085 Depth=2
	s_or_b32 exec_lo, exec_lo, s27
	s_and_saveexec_b32 s27, s12
	s_cbranch_execz .LBB6_8477
.LBB6_8476:                             ;   in Loop: Header=BB6_8085 Depth=2
	v_and_b32_e32 v4, 0xffff, v1
	v_lshlrev_b32_e32 v1, 24, v1
	v_and_b32_e32 v6, 7, v4
	v_bfe_u32 v9, v4, 3, 4
	v_and_b32_e32 v1, 0x80000000, v1
	v_ffbh_u32_e32 v7, v6
	v_cmp_eq_u32_e32 vcc_lo, 0, v9
	v_min_u32_e32 v7, 32, v7
	v_subrev_nc_u32_e32 v8, 28, v7
	v_sub_nc_u32_e32 v7, 29, v7
	v_lshlrev_b32_e32 v4, v8, v4
	v_cndmask_b32_e32 v7, v9, v7, vcc_lo
	v_and_b32_e32 v4, 7, v4
	v_cndmask_b32_e32 v4, v6, v4, vcc_lo
	v_lshl_add_u32 v6, v7, 23, 0x3b800000
	v_lshlrev_b32_e32 v4, 20, v4
	v_or3_b32 v4, v1, v6, v4
.LBB6_8477:                             ;   in Loop: Header=BB6_8085 Depth=2
	s_or_b32 exec_lo, exec_lo, s27
	v_mul_f32_e32 v1, v0, v4
	v_mov_b32_e32 v9, 0x80
	s_mov_b32 s27, exec_lo
	v_and_b32_e32 v4, 0x7f800000, v1
	v_cmpx_ne_u32_e32 0x7f800000, v4
	s_cbranch_execz .LBB6_8485
; %bb.8478:                             ;   in Loop: Header=BB6_8085 Depth=2
	v_mov_b32_e32 v9, 0
	s_mov_b32 s28, exec_lo
	v_cmpx_ne_u32_e32 0, v1
	s_cbranch_execz .LBB6_8484
; %bb.8479:                             ;   in Loop: Header=BB6_8085 Depth=2
	v_bfe_u32 v4, v1, 23, 8
	v_and_b32_e32 v6, 0x7fffff, v1
	v_sub_nc_u32_e32 v7, 0x78, v4
	v_cmp_gt_u32_e32 vcc_lo, 0x79, v4
	v_or_b32_e32 v8, 0x800000, v6
	v_cndmask_b32_e32 v7, 0, v7, vcc_lo
	v_cmp_eq_u32_e32 vcc_lo, 0, v4
	v_add_nc_u32_e32 v4, 0xffffff89, v4
	v_cndmask_b32_e64 v7, v7, 0x77, vcc_lo
	v_cndmask_b32_e32 v6, v8, v6, vcc_lo
	v_cndmask_b32_e64 v4, v4, 0xffffff8a, vcc_lo
	v_lshl_add_u32 v8, 0x100000, v7, -1
	v_lshrrev_b32_e32 v9, v7, v6
	v_lshlrev_b32_e64 v26, v7, 0x80000
	v_add_nc_u32_e32 v7, v7, v4
	v_and_b32_e32 v6, v8, v6
	v_bfe_u32 v22, v9, 20, 1
	v_cmp_eq_u32_e64 s12, v6, v26
	v_add_nc_u32_e32 v8, -1, v22
	v_cndmask_b32_e64 v6, 0, v8, s12
	v_lshrrev_b32_e32 v8, 23, v9
	s_mov_b32 s12, exec_lo
	v_add_nc_u32_e32 v6, v6, v9
	v_xor_b32_e32 v8, 1, v8
	v_and_b32_e32 v4, 0xfffff, v6
	v_add_nc_u32_e32 v6, v4, v9
                                        ; implicit-def: $vgpr4
	v_cmpx_ne_u32_e64 v7, v8
	s_xor_b32 s12, exec_lo, s12
; %bb.8480:                             ;   in Loop: Header=BB6_8085 Depth=2
	v_cmp_lt_u32_e32 vcc_lo, 0xffffff, v6
	v_sub_nc_u32_e32 v4, v7, v8
	v_cndmask_b32_e64 v7, 0, 1, vcc_lo
	v_add_co_ci_u32_e64 v4, null, 0, v4, vcc_lo
	v_lshrrev_b32_e32 v6, v7, v6
; %bb.8481:                             ;   in Loop: Header=BB6_8085 Depth=2
	s_andn2_saveexec_b32 s12, s12
; %bb.8482:                             ;   in Loop: Header=BB6_8085 Depth=2
	v_bfe_u32 v4, v6, 23, 1
; %bb.8483:                             ;   in Loop: Header=BB6_8085 Depth=2
	s_or_b32 exec_lo, exec_lo, s12
	v_lshrrev_b32_e32 v6, 20, v6
	v_cmp_gt_i32_e32 vcc_lo, 16, v4
	v_min_i32_e32 v7, 15, v4
	v_and_b32_sdwa v1, v1, v102 dst_sel:DWORD dst_unused:UNUSED_PAD src0_sel:BYTE_3 src1_sel:DWORD
	v_cndmask_b32_e32 v6, 7, v6, vcc_lo
	v_lshlrev_b32_e32 v7, 3, v7
	v_and_b32_e32 v8, 7, v6
	v_or_b32_e32 v4, v4, v6
	v_or3_b32 v1, v7, v1, v8
	v_cmp_ne_u32_e32 vcc_lo, 0, v4
	v_cndmask_b32_e32 v9, 0, v1, vcc_lo
.LBB6_8484:                             ;   in Loop: Header=BB6_8085 Depth=2
	s_or_b32 exec_lo, exec_lo, s28
.LBB6_8485:                             ;   in Loop: Header=BB6_8085 Depth=2
	s_or_b32 exec_lo, exec_lo, s27
	flat_load_ubyte v1, v[10:11] offset:896 slc
	s_mov_b32 s12, 0
	s_mov_b32 s27, exec_lo
	s_waitcnt vmcnt(0) lgkmcnt(0)
	v_cmpx_lt_i16_e32 0x7f, v1
	s_xor_b32 s27, exec_lo, s27
	s_cbranch_execz .LBB6_9235
; %bb.8486:                             ;   in Loop: Header=BB6_8085 Depth=2
	s_mov_b32 s12, -1
	s_mov_b32 s28, exec_lo
	v_cmpx_eq_u16_e32 0x80, v1
; %bb.8487:                             ;   in Loop: Header=BB6_8085 Depth=2
	s_xor_b32 s12, exec_lo, -1
; %bb.8488:                             ;   in Loop: Header=BB6_8085 Depth=2
	s_or_b32 exec_lo, exec_lo, s28
	s_and_b32 s12, s12, exec_lo
	s_or_saveexec_b32 s27, s27
	v_mov_b32_e32 v4, 0x7f800001
	s_xor_b32 exec_lo, exec_lo, s27
	s_cbranch_execnz .LBB6_9236
.LBB6_8489:                             ;   in Loop: Header=BB6_8085 Depth=2
	s_or_b32 exec_lo, exec_lo, s27
	s_and_saveexec_b32 s27, s12
	s_cbranch_execz .LBB6_8491
.LBB6_8490:                             ;   in Loop: Header=BB6_8085 Depth=2
	v_and_b32_e32 v4, 0xffff, v1
	v_lshlrev_b32_e32 v1, 24, v1
	v_and_b32_e32 v6, 7, v4
	v_bfe_u32 v22, v4, 3, 4
	v_and_b32_e32 v1, 0x80000000, v1
	v_ffbh_u32_e32 v7, v6
	v_cmp_eq_u32_e32 vcc_lo, 0, v22
	v_min_u32_e32 v7, 32, v7
	v_subrev_nc_u32_e32 v8, 28, v7
	v_sub_nc_u32_e32 v7, 29, v7
	v_lshlrev_b32_e32 v4, v8, v4
	v_cndmask_b32_e32 v7, v22, v7, vcc_lo
	v_and_b32_e32 v4, 7, v4
	v_cndmask_b32_e32 v4, v6, v4, vcc_lo
	v_lshl_add_u32 v6, v7, 23, 0x3b800000
	v_lshlrev_b32_e32 v4, 20, v4
	v_or3_b32 v4, v1, v6, v4
.LBB6_8491:                             ;   in Loop: Header=BB6_8085 Depth=2
	s_or_b32 exec_lo, exec_lo, s27
	v_mul_f32_e32 v1, v0, v4
	v_mov_b32_e32 v7, 0x80
	s_mov_b32 s27, exec_lo
	v_and_b32_e32 v4, 0x7f800000, v1
	v_cmpx_ne_u32_e32 0x7f800000, v4
	s_cbranch_execz .LBB6_8499
; %bb.8492:                             ;   in Loop: Header=BB6_8085 Depth=2
	v_mov_b32_e32 v7, 0
	s_mov_b32 s28, exec_lo
	v_cmpx_ne_u32_e32 0, v1
	s_cbranch_execz .LBB6_8498
; %bb.8493:                             ;   in Loop: Header=BB6_8085 Depth=2
	v_bfe_u32 v4, v1, 23, 8
	v_and_b32_e32 v6, 0x7fffff, v1
	v_sub_nc_u32_e32 v7, 0x78, v4
	v_cmp_gt_u32_e32 vcc_lo, 0x79, v4
	v_or_b32_e32 v8, 0x800000, v6
	v_cndmask_b32_e32 v7, 0, v7, vcc_lo
	v_cmp_eq_u32_e32 vcc_lo, 0, v4
	v_add_nc_u32_e32 v4, 0xffffff89, v4
	v_cndmask_b32_e64 v7, v7, 0x77, vcc_lo
	v_cndmask_b32_e32 v6, v8, v6, vcc_lo
	v_cndmask_b32_e64 v4, v4, 0xffffff8a, vcc_lo
	v_lshl_add_u32 v8, 0x100000, v7, -1
	v_lshrrev_b32_e32 v22, v7, v6
	v_lshlrev_b32_e64 v32, v7, 0x80000
	v_add_nc_u32_e32 v7, v7, v4
	v_and_b32_e32 v6, v8, v6
	v_bfe_u32 v26, v22, 20, 1
	v_cmp_eq_u32_e64 s12, v6, v32
	v_add_nc_u32_e32 v8, -1, v26
	v_cndmask_b32_e64 v6, 0, v8, s12
	v_lshrrev_b32_e32 v8, 23, v22
	s_mov_b32 s12, exec_lo
	v_add_nc_u32_e32 v6, v6, v22
	v_xor_b32_e32 v8, 1, v8
	v_and_b32_e32 v4, 0xfffff, v6
	v_add_nc_u32_e32 v6, v4, v22
                                        ; implicit-def: $vgpr4
	v_cmpx_ne_u32_e64 v7, v8
	s_xor_b32 s12, exec_lo, s12
; %bb.8494:                             ;   in Loop: Header=BB6_8085 Depth=2
	v_cmp_lt_u32_e32 vcc_lo, 0xffffff, v6
	v_sub_nc_u32_e32 v4, v7, v8
	v_cndmask_b32_e64 v7, 0, 1, vcc_lo
	v_add_co_ci_u32_e64 v4, null, 0, v4, vcc_lo
	v_lshrrev_b32_e32 v6, v7, v6
; %bb.8495:                             ;   in Loop: Header=BB6_8085 Depth=2
	s_andn2_saveexec_b32 s12, s12
; %bb.8496:                             ;   in Loop: Header=BB6_8085 Depth=2
	v_bfe_u32 v4, v6, 23, 1
; %bb.8497:                             ;   in Loop: Header=BB6_8085 Depth=2
	s_or_b32 exec_lo, exec_lo, s12
	v_lshrrev_b32_e32 v6, 20, v6
	v_cmp_gt_i32_e32 vcc_lo, 16, v4
	v_min_i32_e32 v7, 15, v4
	v_and_b32_sdwa v1, v1, v102 dst_sel:DWORD dst_unused:UNUSED_PAD src0_sel:BYTE_3 src1_sel:DWORD
	v_cndmask_b32_e32 v6, 7, v6, vcc_lo
	v_lshlrev_b32_e32 v7, 3, v7
	v_and_b32_e32 v8, 7, v6
	v_or_b32_e32 v4, v4, v6
	v_or3_b32 v1, v7, v1, v8
	v_cmp_ne_u32_e32 vcc_lo, 0, v4
	v_cndmask_b32_e32 v7, 0, v1, vcc_lo
.LBB6_8498:                             ;   in Loop: Header=BB6_8085 Depth=2
	s_or_b32 exec_lo, exec_lo, s28
.LBB6_8499:                             ;   in Loop: Header=BB6_8085 Depth=2
	s_or_b32 exec_lo, exec_lo, s27
	flat_load_ubyte v1, v[10:11] offset:928 slc
	s_mov_b32 s12, 0
	s_mov_b32 s27, exec_lo
	s_waitcnt vmcnt(0) lgkmcnt(0)
	v_cmpx_lt_i16_e32 0x7f, v1
	s_xor_b32 s27, exec_lo, s27
	s_cbranch_execz .LBB6_9237
; %bb.8500:                             ;   in Loop: Header=BB6_8085 Depth=2
	s_mov_b32 s12, -1
	s_mov_b32 s28, exec_lo
	v_cmpx_eq_u16_e32 0x80, v1
; %bb.8501:                             ;   in Loop: Header=BB6_8085 Depth=2
	s_xor_b32 s12, exec_lo, -1
; %bb.8502:                             ;   in Loop: Header=BB6_8085 Depth=2
	s_or_b32 exec_lo, exec_lo, s28
	s_and_b32 s12, s12, exec_lo
	s_or_saveexec_b32 s27, s27
	v_mov_b32_e32 v4, 0x7f800001
	s_xor_b32 exec_lo, exec_lo, s27
	s_cbranch_execnz .LBB6_9238
.LBB6_8503:                             ;   in Loop: Header=BB6_8085 Depth=2
	s_or_b32 exec_lo, exec_lo, s27
	s_and_saveexec_b32 s27, s12
	s_cbranch_execz .LBB6_8505
.LBB6_8504:                             ;   in Loop: Header=BB6_8085 Depth=2
	v_and_b32_e32 v4, 0xffff, v1
	v_lshlrev_b32_e32 v1, 24, v1
	v_and_b32_e32 v6, 7, v4
	v_bfe_u32 v26, v4, 3, 4
	v_and_b32_e32 v1, 0x80000000, v1
	v_ffbh_u32_e32 v8, v6
	v_cmp_eq_u32_e32 vcc_lo, 0, v26
	v_min_u32_e32 v8, 32, v8
	v_subrev_nc_u32_e32 v22, 28, v8
	v_sub_nc_u32_e32 v8, 29, v8
	v_lshlrev_b32_e32 v4, v22, v4
	v_cndmask_b32_e32 v8, v26, v8, vcc_lo
	v_and_b32_e32 v4, 7, v4
	v_cndmask_b32_e32 v4, v6, v4, vcc_lo
	v_lshl_add_u32 v6, v8, 23, 0x3b800000
	v_lshlrev_b32_e32 v4, 20, v4
	v_or3_b32 v4, v1, v6, v4
.LBB6_8505:                             ;   in Loop: Header=BB6_8085 Depth=2
	s_or_b32 exec_lo, exec_lo, s27
	v_mul_f32_e32 v1, v0, v4
	v_mov_b32_e32 v6, 0x80
	s_mov_b32 s27, exec_lo
	v_and_b32_e32 v4, 0x7f800000, v1
	v_cmpx_ne_u32_e32 0x7f800000, v4
	s_cbranch_execz .LBB6_8513
; %bb.8506:                             ;   in Loop: Header=BB6_8085 Depth=2
	v_mov_b32_e32 v6, 0
	s_mov_b32 s28, exec_lo
	v_cmpx_ne_u32_e32 0, v1
	s_cbranch_execz .LBB6_8512
; %bb.8507:                             ;   in Loop: Header=BB6_8085 Depth=2
	v_bfe_u32 v4, v1, 23, 8
	v_and_b32_e32 v6, 0x7fffff, v1
	v_sub_nc_u32_e32 v8, 0x78, v4
	v_cmp_gt_u32_e32 vcc_lo, 0x79, v4
	v_or_b32_e32 v22, 0x800000, v6
	v_cndmask_b32_e32 v8, 0, v8, vcc_lo
	v_cmp_eq_u32_e32 vcc_lo, 0, v4
	v_add_nc_u32_e32 v4, 0xffffff89, v4
	v_cndmask_b32_e64 v8, v8, 0x77, vcc_lo
	v_cndmask_b32_e32 v6, v22, v6, vcc_lo
	v_cndmask_b32_e64 v4, v4, 0xffffff8a, vcc_lo
	v_lshl_add_u32 v22, 0x100000, v8, -1
	v_lshrrev_b32_e32 v26, v8, v6
	v_lshlrev_b32_e64 v37, v8, 0x80000
	v_add_nc_u32_e32 v8, v8, v4
	v_and_b32_e32 v6, v22, v6
	v_bfe_u32 v32, v26, 20, 1
	v_cmp_eq_u32_e64 s12, v6, v37
	v_add_nc_u32_e32 v22, -1, v32
	v_cndmask_b32_e64 v6, 0, v22, s12
	v_lshrrev_b32_e32 v22, 23, v26
	s_mov_b32 s12, exec_lo
	v_add_nc_u32_e32 v6, v6, v26
	v_xor_b32_e32 v22, 1, v22
	v_and_b32_e32 v4, 0xfffff, v6
	v_add_nc_u32_e32 v6, v4, v26
                                        ; implicit-def: $vgpr4
	v_cmpx_ne_u32_e64 v8, v22
	s_xor_b32 s12, exec_lo, s12
; %bb.8508:                             ;   in Loop: Header=BB6_8085 Depth=2
	v_cmp_lt_u32_e32 vcc_lo, 0xffffff, v6
	v_sub_nc_u32_e32 v4, v8, v22
	v_cndmask_b32_e64 v8, 0, 1, vcc_lo
	v_add_co_ci_u32_e64 v4, null, 0, v4, vcc_lo
	v_lshrrev_b32_e32 v6, v8, v6
; %bb.8509:                             ;   in Loop: Header=BB6_8085 Depth=2
	s_andn2_saveexec_b32 s12, s12
; %bb.8510:                             ;   in Loop: Header=BB6_8085 Depth=2
	v_bfe_u32 v4, v6, 23, 1
; %bb.8511:                             ;   in Loop: Header=BB6_8085 Depth=2
	s_or_b32 exec_lo, exec_lo, s12
	v_lshrrev_b32_e32 v6, 20, v6
	v_cmp_gt_i32_e32 vcc_lo, 16, v4
	v_min_i32_e32 v8, 15, v4
	v_and_b32_sdwa v1, v1, v102 dst_sel:DWORD dst_unused:UNUSED_PAD src0_sel:BYTE_3 src1_sel:DWORD
	v_cndmask_b32_e32 v6, 7, v6, vcc_lo
	v_lshlrev_b32_e32 v8, 3, v8
	v_and_b32_e32 v22, 7, v6
	v_or_b32_e32 v4, v4, v6
	v_or3_b32 v1, v8, v1, v22
	v_cmp_ne_u32_e32 vcc_lo, 0, v4
	v_cndmask_b32_e32 v6, 0, v1, vcc_lo
.LBB6_8512:                             ;   in Loop: Header=BB6_8085 Depth=2
	s_or_b32 exec_lo, exec_lo, s28
.LBB6_8513:                             ;   in Loop: Header=BB6_8085 Depth=2
	s_or_b32 exec_lo, exec_lo, s27
	flat_load_ubyte v1, v[10:11] offset:960 slc
	s_mov_b32 s12, 0
	s_mov_b32 s27, exec_lo
	s_waitcnt vmcnt(0) lgkmcnt(0)
	v_cmpx_lt_i16_e32 0x7f, v1
	s_xor_b32 s27, exec_lo, s27
	s_cbranch_execz .LBB6_9239
; %bb.8514:                             ;   in Loop: Header=BB6_8085 Depth=2
	s_mov_b32 s12, -1
	s_mov_b32 s28, exec_lo
	v_cmpx_eq_u16_e32 0x80, v1
; %bb.8515:                             ;   in Loop: Header=BB6_8085 Depth=2
	s_xor_b32 s12, exec_lo, -1
; %bb.8516:                             ;   in Loop: Header=BB6_8085 Depth=2
	s_or_b32 exec_lo, exec_lo, s28
	s_and_b32 s12, s12, exec_lo
	s_or_saveexec_b32 s27, s27
	v_mov_b32_e32 v4, 0x7f800001
	s_xor_b32 exec_lo, exec_lo, s27
	s_cbranch_execnz .LBB6_9240
.LBB6_8517:                             ;   in Loop: Header=BB6_8085 Depth=2
	s_or_b32 exec_lo, exec_lo, s27
	s_and_saveexec_b32 s27, s12
	s_cbranch_execz .LBB6_8519
.LBB6_8518:                             ;   in Loop: Header=BB6_8085 Depth=2
	v_and_b32_e32 v4, 0xffff, v1
	v_lshlrev_b32_e32 v1, 24, v1
	v_and_b32_e32 v8, 7, v4
	v_bfe_u32 v32, v4, 3, 4
	v_and_b32_e32 v1, 0x80000000, v1
	v_ffbh_u32_e32 v22, v8
	v_cmp_eq_u32_e32 vcc_lo, 0, v32
	v_min_u32_e32 v22, 32, v22
	v_subrev_nc_u32_e32 v26, 28, v22
	v_sub_nc_u32_e32 v22, 29, v22
	v_lshlrev_b32_e32 v4, v26, v4
	v_cndmask_b32_e32 v22, v32, v22, vcc_lo
	v_and_b32_e32 v4, 7, v4
	v_cndmask_b32_e32 v4, v8, v4, vcc_lo
	v_lshl_add_u32 v8, v22, 23, 0x3b800000
	v_lshlrev_b32_e32 v4, 20, v4
	v_or3_b32 v4, v1, v8, v4
.LBB6_8519:                             ;   in Loop: Header=BB6_8085 Depth=2
	s_or_b32 exec_lo, exec_lo, s27
	v_mul_f32_e32 v1, v0, v4
	v_and_b32_e32 v4, 0x7f800000, v1
	v_cmp_ne_u32_e32 vcc_lo, 0x7f800000, v4
	v_mov_b32_e32 v4, 0x80
	s_and_saveexec_b32 s27, vcc_lo
	s_cbranch_execz .LBB6_8527
; %bb.8520:                             ;   in Loop: Header=BB6_8085 Depth=2
	v_mov_b32_e32 v4, 0
	s_mov_b32 s28, exec_lo
	v_cmpx_ne_u32_e32 0, v1
	s_cbranch_execz .LBB6_8526
; %bb.8521:                             ;   in Loop: Header=BB6_8085 Depth=2
	v_bfe_u32 v4, v1, 23, 8
	v_and_b32_e32 v8, 0x7fffff, v1
	v_sub_nc_u32_e32 v22, 0x78, v4
	v_cmp_gt_u32_e32 vcc_lo, 0x79, v4
	v_or_b32_e32 v26, 0x800000, v8
	v_cndmask_b32_e32 v22, 0, v22, vcc_lo
	v_cmp_eq_u32_e32 vcc_lo, 0, v4
	v_add_nc_u32_e32 v4, 0xffffff89, v4
	v_cndmask_b32_e64 v22, v22, 0x77, vcc_lo
	v_cndmask_b32_e32 v8, v26, v8, vcc_lo
	v_cndmask_b32_e64 v4, v4, 0xffffff8a, vcc_lo
	v_lshl_add_u32 v26, 0x100000, v22, -1
	v_lshrrev_b32_e32 v32, v22, v8
	v_lshlrev_b32_e64 v66, v22, 0x80000
	v_add_nc_u32_e32 v22, v22, v4
	v_and_b32_e32 v8, v26, v8
	v_bfe_u32 v37, v32, 20, 1
	v_cmp_eq_u32_e64 s12, v8, v66
	v_add_nc_u32_e32 v26, -1, v37
	v_cndmask_b32_e64 v8, 0, v26, s12
	v_lshrrev_b32_e32 v26, 23, v32
	s_mov_b32 s12, exec_lo
	v_add_nc_u32_e32 v8, v8, v32
	v_xor_b32_e32 v26, 1, v26
	v_and_b32_e32 v4, 0xfffff, v8
	v_add_nc_u32_e32 v8, v4, v32
                                        ; implicit-def: $vgpr4
	v_cmpx_ne_u32_e64 v22, v26
	s_xor_b32 s12, exec_lo, s12
; %bb.8522:                             ;   in Loop: Header=BB6_8085 Depth=2
	v_cmp_lt_u32_e32 vcc_lo, 0xffffff, v8
	v_sub_nc_u32_e32 v4, v22, v26
	v_cndmask_b32_e64 v22, 0, 1, vcc_lo
	v_add_co_ci_u32_e64 v4, null, 0, v4, vcc_lo
	v_lshrrev_b32_e32 v8, v22, v8
; %bb.8523:                             ;   in Loop: Header=BB6_8085 Depth=2
	s_andn2_saveexec_b32 s12, s12
; %bb.8524:                             ;   in Loop: Header=BB6_8085 Depth=2
	v_bfe_u32 v4, v8, 23, 1
; %bb.8525:                             ;   in Loop: Header=BB6_8085 Depth=2
	s_or_b32 exec_lo, exec_lo, s12
	v_lshrrev_b32_e32 v8, 20, v8
	v_cmp_gt_i32_e32 vcc_lo, 16, v4
	v_min_i32_e32 v22, 15, v4
	v_and_b32_sdwa v1, v1, v102 dst_sel:DWORD dst_unused:UNUSED_PAD src0_sel:BYTE_3 src1_sel:DWORD
	v_cndmask_b32_e32 v8, 7, v8, vcc_lo
	v_lshlrev_b32_e32 v22, 3, v22
	v_and_b32_e32 v26, 7, v8
	v_or_b32_e32 v4, v4, v8
	v_or3_b32 v1, v22, v1, v26
	v_cmp_ne_u32_e32 vcc_lo, 0, v4
	v_cndmask_b32_e32 v4, 0, v1, vcc_lo
.LBB6_8526:                             ;   in Loop: Header=BB6_8085 Depth=2
	s_or_b32 exec_lo, exec_lo, s28
.LBB6_8527:                             ;   in Loop: Header=BB6_8085 Depth=2
	s_or_b32 exec_lo, exec_lo, s27
	flat_load_ubyte v1, v[10:11] offset:992 slc
	s_mov_b32 s12, 0
	s_mov_b32 s27, exec_lo
	s_waitcnt vmcnt(0) lgkmcnt(0)
	v_cmpx_lt_i16_e32 0x7f, v1
	s_xor_b32 s27, exec_lo, s27
	s_cbranch_execz .LBB6_9241
; %bb.8528:                             ;   in Loop: Header=BB6_8085 Depth=2
	s_mov_b32 s12, -1
	s_mov_b32 s28, exec_lo
	v_cmpx_eq_u16_e32 0x80, v1
; %bb.8529:                             ;   in Loop: Header=BB6_8085 Depth=2
	s_xor_b32 s12, exec_lo, -1
; %bb.8530:                             ;   in Loop: Header=BB6_8085 Depth=2
	s_or_b32 exec_lo, exec_lo, s28
	s_and_b32 s12, s12, exec_lo
	s_or_saveexec_b32 s27, s27
	v_mov_b32_e32 v8, 0x7f800001
	s_xor_b32 exec_lo, exec_lo, s27
	s_cbranch_execnz .LBB6_9242
.LBB6_8531:                             ;   in Loop: Header=BB6_8085 Depth=2
	s_or_b32 exec_lo, exec_lo, s27
	s_and_saveexec_b32 s27, s12
	s_cbranch_execz .LBB6_8533
.LBB6_8532:                             ;   in Loop: Header=BB6_8085 Depth=2
	v_and_b32_e32 v8, 0xffff, v1
	v_lshlrev_b32_e32 v1, 24, v1
	v_and_b32_e32 v22, 7, v8
	v_bfe_u32 v37, v8, 3, 4
	v_and_b32_e32 v1, 0x80000000, v1
	v_ffbh_u32_e32 v26, v22
	v_cmp_eq_u32_e32 vcc_lo, 0, v37
	v_min_u32_e32 v26, 32, v26
	v_subrev_nc_u32_e32 v32, 28, v26
	v_sub_nc_u32_e32 v26, 29, v26
	v_lshlrev_b32_e32 v8, v32, v8
	v_cndmask_b32_e32 v26, v37, v26, vcc_lo
	v_and_b32_e32 v8, 7, v8
	v_cndmask_b32_e32 v8, v22, v8, vcc_lo
	v_lshl_add_u32 v22, v26, 23, 0x3b800000
	v_lshlrev_b32_e32 v8, 20, v8
	v_or3_b32 v8, v1, v22, v8
.LBB6_8533:                             ;   in Loop: Header=BB6_8085 Depth=2
	s_or_b32 exec_lo, exec_lo, s27
	v_mul_f32_e32 v0, v0, v8
	v_and_b32_e32 v1, 0x7f800000, v0
	v_cmp_ne_u32_e32 vcc_lo, 0x7f800000, v1
	v_mov_b32_e32 v1, 0x80
	s_and_saveexec_b32 s27, vcc_lo
	s_cbranch_execz .LBB6_8541
; %bb.8534:                             ;   in Loop: Header=BB6_8085 Depth=2
	v_mov_b32_e32 v1, 0
	s_mov_b32 s28, exec_lo
	v_cmpx_ne_u32_e32 0, v0
	s_cbranch_execz .LBB6_8540
; %bb.8535:                             ;   in Loop: Header=BB6_8085 Depth=2
	v_bfe_u32 v1, v0, 23, 8
	v_and_b32_e32 v8, 0x7fffff, v0
	v_sub_nc_u32_e32 v22, 0x78, v1
	v_cmp_gt_u32_e32 vcc_lo, 0x79, v1
	v_or_b32_e32 v26, 0x800000, v8
	v_cndmask_b32_e32 v22, 0, v22, vcc_lo
	v_cmp_eq_u32_e32 vcc_lo, 0, v1
	v_add_nc_u32_e32 v1, 0xffffff89, v1
	v_cndmask_b32_e64 v22, v22, 0x77, vcc_lo
	v_cndmask_b32_e32 v8, v26, v8, vcc_lo
	v_cndmask_b32_e64 v1, v1, 0xffffff8a, vcc_lo
	v_lshl_add_u32 v26, 0x100000, v22, -1
	v_lshrrev_b32_e32 v32, v22, v8
	v_lshlrev_b32_e64 v66, v22, 0x80000
	v_add_nc_u32_e32 v22, v22, v1
	v_and_b32_e32 v8, v26, v8
	v_bfe_u32 v37, v32, 20, 1
	v_cmp_eq_u32_e64 s12, v8, v66
	v_add_nc_u32_e32 v26, -1, v37
	v_cndmask_b32_e64 v8, 0, v26, s12
	v_lshrrev_b32_e32 v26, 23, v32
	s_mov_b32 s12, exec_lo
	v_add_nc_u32_e32 v8, v8, v32
	v_xor_b32_e32 v26, 1, v26
	v_and_b32_e32 v1, 0xfffff, v8
	v_add_nc_u32_e32 v8, v1, v32
                                        ; implicit-def: $vgpr1
	v_cmpx_ne_u32_e64 v22, v26
	s_xor_b32 s12, exec_lo, s12
; %bb.8536:                             ;   in Loop: Header=BB6_8085 Depth=2
	v_cmp_lt_u32_e32 vcc_lo, 0xffffff, v8
	v_sub_nc_u32_e32 v1, v22, v26
	v_cndmask_b32_e64 v22, 0, 1, vcc_lo
	v_add_co_ci_u32_e64 v1, null, 0, v1, vcc_lo
	v_lshrrev_b32_e32 v8, v22, v8
; %bb.8537:                             ;   in Loop: Header=BB6_8085 Depth=2
	s_andn2_saveexec_b32 s12, s12
; %bb.8538:                             ;   in Loop: Header=BB6_8085 Depth=2
	v_bfe_u32 v1, v8, 23, 1
; %bb.8539:                             ;   in Loop: Header=BB6_8085 Depth=2
	s_or_b32 exec_lo, exec_lo, s12
	v_lshrrev_b32_e32 v8, 20, v8
	v_cmp_gt_i32_e32 vcc_lo, 16, v1
	v_min_i32_e32 v22, 15, v1
	v_and_b32_sdwa v0, v0, v102 dst_sel:DWORD dst_unused:UNUSED_PAD src0_sel:BYTE_3 src1_sel:DWORD
	v_cndmask_b32_e32 v8, 7, v8, vcc_lo
	v_lshlrev_b32_e32 v22, 3, v22
	v_and_b32_e32 v26, 7, v8
	v_or_b32_e32 v1, v1, v8
	v_or3_b32 v0, v22, v0, v26
	v_cmp_ne_u32_e32 vcc_lo, 0, v1
	v_cndmask_b32_e32 v1, 0, v0, vcc_lo
.LBB6_8540:                             ;   in Loop: Header=BB6_8085 Depth=2
	s_or_b32 exec_lo, exec_lo, s28
.LBB6_8541:                             ;   in Loop: Header=BB6_8085 Depth=2
	s_or_b32 exec_lo, exec_lo, s27
	s_clause 0x1f
	flat_load_ubyte v62, v[12:13] slc
	flat_load_ubyte v61, v[12:13] offset:32 slc
	flat_load_ubyte v60, v[12:13] offset:64 slc
	;; [unrolled: 1-line block ×31, first 2 shown]
	v_cmp_gt_i16_sdwa s12, v5, v101 src0_sel:BYTE_0 src1_sel:DWORD
	s_mov_b32 s27, 0
	s_and_saveexec_b32 s28, s12
	s_xor_b32 s12, exec_lo, s28
	s_cbranch_execz .LBB6_9243
; %bb.8542:                             ;   in Loop: Header=BB6_8085 Depth=2
	v_cmp_eq_u16_sdwa s29, v5, v102 src0_sel:BYTE_0 src1_sel:DWORD
	s_mov_b32 s27, -1
	s_and_saveexec_b32 s28, s29
; %bb.8543:                             ;   in Loop: Header=BB6_8085 Depth=2
	s_xor_b32 s27, exec_lo, -1
; %bb.8544:                             ;   in Loop: Header=BB6_8085 Depth=2
	s_or_b32 exec_lo, exec_lo, s28
	s_and_b32 s27, s27, exec_lo
	s_or_saveexec_b32 s12, s12
	v_mov_b32_e32 v63, 0x7f800001
	s_xor_b32 exec_lo, exec_lo, s12
	s_cbranch_execnz .LBB6_9244
.LBB6_8545:                             ;   in Loop: Header=BB6_8085 Depth=2
	s_or_b32 exec_lo, exec_lo, s12
	s_and_saveexec_b32 s12, s27
	s_cbranch_execz .LBB6_8547
.LBB6_8546:                             ;   in Loop: Header=BB6_8085 Depth=2
	v_and_b32_e32 v63, 7, v5
	v_lshrrev_b16 v73, 3, v5
	v_ffbh_u32_e32 v72, v63
	v_and_b32_e32 v73, 15, v73
	v_min_u32_e32 v72, 32, v72
	v_cmp_eq_u32_e32 vcc_lo, 0, v73
	v_subrev_nc_u32_e32 v74, 28, v72
	v_sub_nc_u32_e32 v72, 29, v72
	v_lshlrev_b32_e32 v74, v74, v5
	v_lshlrev_b32_e32 v5, 24, v5
	v_cndmask_b32_e32 v72, v73, v72, vcc_lo
	v_and_b32_e32 v74, 7, v74
	v_and_b32_e32 v5, 0x80000000, v5
	v_lshl_add_u32 v72, v72, 23, 0x3b800000
	v_cndmask_b32_e32 v63, v63, v74, vcc_lo
	v_lshlrev_b32_e32 v63, 20, v63
	v_or3_b32 v63, v5, v72, v63
.LBB6_8547:                             ;   in Loop: Header=BB6_8085 Depth=2
	s_or_b32 exec_lo, exec_lo, s12
	s_waitcnt vmcnt(31) lgkmcnt(31)
	v_cmp_gt_i16_sdwa s12, v62, v101 src0_sel:BYTE_0 src1_sel:DWORD
	s_mov_b32 s27, 0
	s_and_saveexec_b32 s28, s12
	s_xor_b32 s12, exec_lo, s28
	s_cbranch_execz .LBB6_9245
; %bb.8548:                             ;   in Loop: Header=BB6_8085 Depth=2
	v_cmp_eq_u16_sdwa s29, v62, v102 src0_sel:BYTE_0 src1_sel:DWORD
	s_mov_b32 s27, -1
	s_and_saveexec_b32 s28, s29
; %bb.8549:                             ;   in Loop: Header=BB6_8085 Depth=2
	s_xor_b32 s27, exec_lo, -1
; %bb.8550:                             ;   in Loop: Header=BB6_8085 Depth=2
	s_or_b32 exec_lo, exec_lo, s28
	s_and_b32 s27, s27, exec_lo
	s_or_saveexec_b32 s12, s12
	v_mov_b32_e32 v5, 0x7f800001
	s_xor_b32 exec_lo, exec_lo, s12
	s_cbranch_execnz .LBB6_9246
.LBB6_8551:                             ;   in Loop: Header=BB6_8085 Depth=2
	s_or_b32 exec_lo, exec_lo, s12
	s_and_saveexec_b32 s12, s27
	s_cbranch_execz .LBB6_8553
.LBB6_8552:                             ;   in Loop: Header=BB6_8085 Depth=2
	v_and_b32_e32 v5, 7, v62
	v_lshrrev_b16 v73, 3, v62
	v_ffbh_u32_e32 v72, v5
	v_and_b32_e32 v73, 15, v73
	v_min_u32_e32 v72, 32, v72
	v_cmp_eq_u32_e32 vcc_lo, 0, v73
	v_subrev_nc_u32_e32 v74, 28, v72
	v_sub_nc_u32_e32 v72, 29, v72
	v_lshlrev_b32_e32 v74, v74, v62
	v_lshlrev_b32_e32 v62, 24, v62
	v_cndmask_b32_e32 v72, v73, v72, vcc_lo
	v_and_b32_e32 v74, 7, v74
	v_and_b32_e32 v62, 0x80000000, v62
	v_lshl_add_u32 v72, v72, 23, 0x3b800000
	v_cndmask_b32_e32 v5, v5, v74, vcc_lo
	v_lshlrev_b32_e32 v5, 20, v5
	v_or3_b32 v5, v62, v72, v5
.LBB6_8553:                             ;   in Loop: Header=BB6_8085 Depth=2
	s_or_b32 exec_lo, exec_lo, s12
	v_add_f32_e32 v62, v63, v5
	v_and_b32_e32 v5, 0x7f800000, v62
	v_cmp_ne_u32_e32 vcc_lo, 0x7f800000, v5
	v_mov_b32_e32 v5, 0x80
	s_and_saveexec_b32 s27, vcc_lo
	s_cbranch_execz .LBB6_8561
; %bb.8554:                             ;   in Loop: Header=BB6_8085 Depth=2
	v_mov_b32_e32 v5, 0
	s_mov_b32 s28, exec_lo
	v_cmpx_ne_u32_e32 0, v62
	s_cbranch_execz .LBB6_8560
; %bb.8555:                             ;   in Loop: Header=BB6_8085 Depth=2
	v_bfe_u32 v63, v62, 23, 8
	v_and_b32_e32 v5, 0x7fffff, v62
	v_cmp_gt_u32_e64 s12, 0x79, v63
	v_sub_nc_u32_e32 v72, 0x78, v63
	v_cmp_eq_u32_e32 vcc_lo, 0, v63
	v_or_b32_e32 v73, 0x800000, v5
	v_cndmask_b32_e64 v72, 0, v72, s12
	v_cndmask_b32_e32 v5, v73, v5, vcc_lo
	v_cndmask_b32_e64 v72, v72, 0x77, vcc_lo
	v_lshl_add_u32 v73, 0x100000, v72, -1
	v_lshlrev_b32_e64 v74, v72, 0x80000
	v_and_b32_e32 v73, v73, v5
	v_cmp_eq_u32_e64 s12, v73, v74
	v_lshrrev_b32_e32 v73, v72, v5
	v_add_nc_u32_e32 v5, 0xffffff89, v63
	v_lshrrev_b32_e32 v63, 23, v73
	v_cndmask_b32_e64 v5, v5, 0xffffff8a, vcc_lo
	v_xor_b32_e32 v63, 1, v63
	v_add_nc_u32_e32 v5, v72, v5
	v_bfe_u32 v72, v73, 20, 1
	v_add_nc_u32_e32 v72, -1, v72
	v_cndmask_b32_e64 v72, 0, v72, s12
	s_mov_b32 s12, exec_lo
	v_add_nc_u32_e32 v72, v72, v73
	v_and_b32_e32 v72, 0xfffff, v72
	v_add_nc_u32_e32 v73, v72, v73
                                        ; implicit-def: $vgpr72
	v_cmpx_ne_u32_e64 v5, v63
	s_xor_b32 s12, exec_lo, s12
; %bb.8556:                             ;   in Loop: Header=BB6_8085 Depth=2
	v_cmp_lt_u32_e32 vcc_lo, 0xffffff, v73
	v_sub_nc_u32_e32 v5, v5, v63
	v_cndmask_b32_e64 v63, 0, 1, vcc_lo
	v_add_co_ci_u32_e64 v72, null, 0, v5, vcc_lo
	v_lshrrev_b32_e32 v73, v63, v73
; %bb.8557:                             ;   in Loop: Header=BB6_8085 Depth=2
	s_andn2_saveexec_b32 s12, s12
; %bb.8558:                             ;   in Loop: Header=BB6_8085 Depth=2
	v_bfe_u32 v72, v73, 23, 1
; %bb.8559:                             ;   in Loop: Header=BB6_8085 Depth=2
	s_or_b32 exec_lo, exec_lo, s12
	v_lshrrev_b32_e32 v5, 20, v73
	v_cmp_gt_i32_e32 vcc_lo, 16, v72
	v_min_i32_e32 v63, 15, v72
	v_and_b32_sdwa v62, v62, v102 dst_sel:DWORD dst_unused:UNUSED_PAD src0_sel:BYTE_3 src1_sel:DWORD
	v_cndmask_b32_e32 v5, 7, v5, vcc_lo
	v_lshlrev_b32_e32 v63, 3, v63
	v_and_b32_e32 v73, 7, v5
	v_or_b32_e32 v5, v72, v5
	v_or3_b32 v62, v63, v62, v73
	v_cmp_ne_u32_e32 vcc_lo, 0, v5
	v_cndmask_b32_e32 v5, 0, v62, vcc_lo
.LBB6_8560:                             ;   in Loop: Header=BB6_8085 Depth=2
	s_or_b32 exec_lo, exec_lo, s28
.LBB6_8561:                             ;   in Loop: Header=BB6_8085 Depth=2
	s_or_b32 exec_lo, exec_lo, s27
	v_cmp_gt_i16_sdwa s27, v17, v101 src0_sel:BYTE_0 src1_sel:DWORD
	s_mov_b32 s12, 0
	s_and_saveexec_b32 s28, s27
	s_xor_b32 s27, exec_lo, s28
	s_cbranch_execz .LBB6_9247
; %bb.8562:                             ;   in Loop: Header=BB6_8085 Depth=2
	v_cmp_eq_u16_sdwa s29, v17, v102 src0_sel:BYTE_0 src1_sel:DWORD
	s_mov_b32 s12, -1
	s_and_saveexec_b32 s28, s29
; %bb.8563:                             ;   in Loop: Header=BB6_8085 Depth=2
	s_xor_b32 s12, exec_lo, -1
; %bb.8564:                             ;   in Loop: Header=BB6_8085 Depth=2
	s_or_b32 exec_lo, exec_lo, s28
	s_and_b32 s12, s12, exec_lo
	s_or_saveexec_b32 s27, s27
	v_mov_b32_e32 v62, 0x7f800001
	s_xor_b32 exec_lo, exec_lo, s27
	s_cbranch_execnz .LBB6_9248
.LBB6_8565:                             ;   in Loop: Header=BB6_8085 Depth=2
	s_or_b32 exec_lo, exec_lo, s27
	s_and_saveexec_b32 s27, s12
	s_cbranch_execz .LBB6_8567
.LBB6_8566:                             ;   in Loop: Header=BB6_8085 Depth=2
	v_and_b32_e32 v62, 7, v17
	v_lshrrev_b16 v72, 3, v17
	v_ffbh_u32_e32 v63, v62
	v_and_b32_e32 v72, 15, v72
	v_min_u32_e32 v63, 32, v63
	v_cmp_eq_u32_e32 vcc_lo, 0, v72
	v_subrev_nc_u32_e32 v73, 28, v63
	v_sub_nc_u32_e32 v63, 29, v63
	v_lshlrev_b32_e32 v73, v73, v17
	v_lshlrev_b32_e32 v17, 24, v17
	v_cndmask_b32_e32 v63, v72, v63, vcc_lo
	v_and_b32_e32 v73, 7, v73
	v_and_b32_e32 v17, 0x80000000, v17
	v_lshl_add_u32 v63, v63, 23, 0x3b800000
	v_cndmask_b32_e32 v62, v62, v73, vcc_lo
	v_lshlrev_b32_e32 v62, 20, v62
	v_or3_b32 v62, v17, v63, v62
.LBB6_8567:                             ;   in Loop: Header=BB6_8085 Depth=2
	s_or_b32 exec_lo, exec_lo, s27
	s_waitcnt vmcnt(30) lgkmcnt(30)
	v_cmp_gt_i16_sdwa s27, v61, v101 src0_sel:BYTE_0 src1_sel:DWORD
	s_mov_b32 s12, 0
	s_and_saveexec_b32 s28, s27
	s_xor_b32 s27, exec_lo, s28
	s_cbranch_execz .LBB6_9249
; %bb.8568:                             ;   in Loop: Header=BB6_8085 Depth=2
	v_cmp_eq_u16_sdwa s29, v61, v102 src0_sel:BYTE_0 src1_sel:DWORD
	s_mov_b32 s12, -1
	s_and_saveexec_b32 s28, s29
; %bb.8569:                             ;   in Loop: Header=BB6_8085 Depth=2
	s_xor_b32 s12, exec_lo, -1
; %bb.8570:                             ;   in Loop: Header=BB6_8085 Depth=2
	s_or_b32 exec_lo, exec_lo, s28
	s_and_b32 s12, s12, exec_lo
	s_or_saveexec_b32 s27, s27
	v_mov_b32_e32 v17, 0x7f800001
	s_xor_b32 exec_lo, exec_lo, s27
	s_cbranch_execnz .LBB6_9250
.LBB6_8571:                             ;   in Loop: Header=BB6_8085 Depth=2
	s_or_b32 exec_lo, exec_lo, s27
	s_and_saveexec_b32 s27, s12
	s_cbranch_execz .LBB6_8573
.LBB6_8572:                             ;   in Loop: Header=BB6_8085 Depth=2
	v_and_b32_e32 v17, 7, v61
	v_lshrrev_b16 v72, 3, v61
	v_ffbh_u32_e32 v63, v17
	v_and_b32_e32 v72, 15, v72
	v_min_u32_e32 v63, 32, v63
	v_cmp_eq_u32_e32 vcc_lo, 0, v72
	v_subrev_nc_u32_e32 v73, 28, v63
	v_sub_nc_u32_e32 v63, 29, v63
	v_lshlrev_b32_e32 v73, v73, v61
	v_lshlrev_b32_e32 v61, 24, v61
	v_cndmask_b32_e32 v63, v72, v63, vcc_lo
	v_and_b32_e32 v73, 7, v73
	v_and_b32_e32 v61, 0x80000000, v61
	v_lshl_add_u32 v63, v63, 23, 0x3b800000
	v_cndmask_b32_e32 v17, v17, v73, vcc_lo
	v_lshlrev_b32_e32 v17, 20, v17
	v_or3_b32 v17, v61, v63, v17
.LBB6_8573:                             ;   in Loop: Header=BB6_8085 Depth=2
	s_or_b32 exec_lo, exec_lo, s27
	v_add_f32_e32 v61, v62, v17
	v_and_b32_e32 v17, 0x7f800000, v61
	v_cmp_ne_u32_e32 vcc_lo, 0x7f800000, v17
	v_mov_b32_e32 v17, 0x80
	s_and_saveexec_b32 s27, vcc_lo
	s_cbranch_execz .LBB6_8581
; %bb.8574:                             ;   in Loop: Header=BB6_8085 Depth=2
	v_mov_b32_e32 v17, 0
	s_mov_b32 s28, exec_lo
	v_cmpx_ne_u32_e32 0, v61
	s_cbranch_execz .LBB6_8580
; %bb.8575:                             ;   in Loop: Header=BB6_8085 Depth=2
	v_bfe_u32 v62, v61, 23, 8
	v_and_b32_e32 v17, 0x7fffff, v61
	v_cmp_gt_u32_e64 s12, 0x79, v62
	v_sub_nc_u32_e32 v63, 0x78, v62
	v_cmp_eq_u32_e32 vcc_lo, 0, v62
	v_or_b32_e32 v72, 0x800000, v17
	v_cndmask_b32_e64 v63, 0, v63, s12
	v_cndmask_b32_e32 v17, v72, v17, vcc_lo
	v_cndmask_b32_e64 v63, v63, 0x77, vcc_lo
	v_lshl_add_u32 v72, 0x100000, v63, -1
	v_lshlrev_b32_e64 v73, v63, 0x80000
	v_and_b32_e32 v72, v72, v17
	v_cmp_eq_u32_e64 s12, v72, v73
	v_lshrrev_b32_e32 v72, v63, v17
	v_add_nc_u32_e32 v17, 0xffffff89, v62
	v_lshrrev_b32_e32 v62, 23, v72
	v_cndmask_b32_e64 v17, v17, 0xffffff8a, vcc_lo
	v_xor_b32_e32 v62, 1, v62
	v_add_nc_u32_e32 v17, v63, v17
	v_bfe_u32 v63, v72, 20, 1
	v_add_nc_u32_e32 v63, -1, v63
	v_cndmask_b32_e64 v63, 0, v63, s12
	s_mov_b32 s12, exec_lo
	v_add_nc_u32_e32 v63, v63, v72
	v_and_b32_e32 v63, 0xfffff, v63
	v_add_nc_u32_e32 v72, v63, v72
                                        ; implicit-def: $vgpr63
	v_cmpx_ne_u32_e64 v17, v62
	s_xor_b32 s12, exec_lo, s12
; %bb.8576:                             ;   in Loop: Header=BB6_8085 Depth=2
	v_cmp_lt_u32_e32 vcc_lo, 0xffffff, v72
	v_sub_nc_u32_e32 v17, v17, v62
	v_cndmask_b32_e64 v62, 0, 1, vcc_lo
	v_add_co_ci_u32_e64 v63, null, 0, v17, vcc_lo
	v_lshrrev_b32_e32 v72, v62, v72
; %bb.8577:                             ;   in Loop: Header=BB6_8085 Depth=2
	s_andn2_saveexec_b32 s12, s12
; %bb.8578:                             ;   in Loop: Header=BB6_8085 Depth=2
	v_bfe_u32 v63, v72, 23, 1
; %bb.8579:                             ;   in Loop: Header=BB6_8085 Depth=2
	s_or_b32 exec_lo, exec_lo, s12
	v_lshrrev_b32_e32 v17, 20, v72
	v_cmp_gt_i32_e32 vcc_lo, 16, v63
	v_min_i32_e32 v62, 15, v63
	v_and_b32_sdwa v61, v61, v102 dst_sel:DWORD dst_unused:UNUSED_PAD src0_sel:BYTE_3 src1_sel:DWORD
	v_cndmask_b32_e32 v17, 7, v17, vcc_lo
	v_lshlrev_b32_e32 v62, 3, v62
	v_and_b32_e32 v72, 7, v17
	v_or_b32_e32 v17, v63, v17
	v_or3_b32 v61, v62, v61, v72
	v_cmp_ne_u32_e32 vcc_lo, 0, v17
	v_cndmask_b32_e32 v17, 0, v61, vcc_lo
.LBB6_8580:                             ;   in Loop: Header=BB6_8085 Depth=2
	s_or_b32 exec_lo, exec_lo, s28
.LBB6_8581:                             ;   in Loop: Header=BB6_8085 Depth=2
	s_or_b32 exec_lo, exec_lo, s27
	v_cmp_gt_i16_sdwa s27, v27, v101 src0_sel:BYTE_0 src1_sel:DWORD
	s_mov_b32 s12, 0
	s_and_saveexec_b32 s28, s27
	s_xor_b32 s27, exec_lo, s28
	s_cbranch_execz .LBB6_9251
; %bb.8582:                             ;   in Loop: Header=BB6_8085 Depth=2
	v_cmp_eq_u16_sdwa s29, v27, v102 src0_sel:BYTE_0 src1_sel:DWORD
	s_mov_b32 s12, -1
	s_and_saveexec_b32 s28, s29
; %bb.8583:                             ;   in Loop: Header=BB6_8085 Depth=2
	s_xor_b32 s12, exec_lo, -1
; %bb.8584:                             ;   in Loop: Header=BB6_8085 Depth=2
	s_or_b32 exec_lo, exec_lo, s28
	s_and_b32 s12, s12, exec_lo
	s_or_saveexec_b32 s27, s27
	v_mov_b32_e32 v61, 0x7f800001
	s_xor_b32 exec_lo, exec_lo, s27
	s_cbranch_execnz .LBB6_9252
.LBB6_8585:                             ;   in Loop: Header=BB6_8085 Depth=2
	s_or_b32 exec_lo, exec_lo, s27
	s_and_saveexec_b32 s27, s12
	s_cbranch_execz .LBB6_8587
.LBB6_8586:                             ;   in Loop: Header=BB6_8085 Depth=2
	v_and_b32_e32 v61, 7, v27
	v_lshrrev_b16 v63, 3, v27
	v_ffbh_u32_e32 v62, v61
	v_and_b32_e32 v63, 15, v63
	v_min_u32_e32 v62, 32, v62
	v_cmp_eq_u32_e32 vcc_lo, 0, v63
	v_subrev_nc_u32_e32 v72, 28, v62
	v_sub_nc_u32_e32 v62, 29, v62
	v_lshlrev_b32_e32 v72, v72, v27
	v_lshlrev_b32_e32 v27, 24, v27
	v_cndmask_b32_e32 v62, v63, v62, vcc_lo
	v_and_b32_e32 v72, 7, v72
	v_and_b32_e32 v27, 0x80000000, v27
	v_lshl_add_u32 v62, v62, 23, 0x3b800000
	v_cndmask_b32_e32 v61, v61, v72, vcc_lo
	v_lshlrev_b32_e32 v61, 20, v61
	v_or3_b32 v61, v27, v62, v61
.LBB6_8587:                             ;   in Loop: Header=BB6_8085 Depth=2
	s_or_b32 exec_lo, exec_lo, s27
	s_waitcnt vmcnt(29) lgkmcnt(29)
	v_cmp_gt_i16_sdwa s27, v60, v101 src0_sel:BYTE_0 src1_sel:DWORD
	s_mov_b32 s12, 0
	s_and_saveexec_b32 s28, s27
	s_xor_b32 s27, exec_lo, s28
	s_cbranch_execz .LBB6_9253
; %bb.8588:                             ;   in Loop: Header=BB6_8085 Depth=2
	v_cmp_eq_u16_sdwa s29, v60, v102 src0_sel:BYTE_0 src1_sel:DWORD
	s_mov_b32 s12, -1
	s_and_saveexec_b32 s28, s29
; %bb.8589:                             ;   in Loop: Header=BB6_8085 Depth=2
	s_xor_b32 s12, exec_lo, -1
; %bb.8590:                             ;   in Loop: Header=BB6_8085 Depth=2
	s_or_b32 exec_lo, exec_lo, s28
	s_and_b32 s12, s12, exec_lo
	s_or_saveexec_b32 s27, s27
	v_mov_b32_e32 v27, 0x7f800001
	s_xor_b32 exec_lo, exec_lo, s27
	s_cbranch_execnz .LBB6_9254
.LBB6_8591:                             ;   in Loop: Header=BB6_8085 Depth=2
	s_or_b32 exec_lo, exec_lo, s27
	s_and_saveexec_b32 s27, s12
	s_cbranch_execz .LBB6_8593
.LBB6_8592:                             ;   in Loop: Header=BB6_8085 Depth=2
	v_and_b32_e32 v27, 7, v60
	v_lshrrev_b16 v63, 3, v60
	v_ffbh_u32_e32 v62, v27
	v_and_b32_e32 v63, 15, v63
	v_min_u32_e32 v62, 32, v62
	v_cmp_eq_u32_e32 vcc_lo, 0, v63
	v_subrev_nc_u32_e32 v72, 28, v62
	v_sub_nc_u32_e32 v62, 29, v62
	v_lshlrev_b32_e32 v72, v72, v60
	v_lshlrev_b32_e32 v60, 24, v60
	v_cndmask_b32_e32 v62, v63, v62, vcc_lo
	v_and_b32_e32 v72, 7, v72
	v_and_b32_e32 v60, 0x80000000, v60
	v_lshl_add_u32 v62, v62, 23, 0x3b800000
	v_cndmask_b32_e32 v27, v27, v72, vcc_lo
	v_lshlrev_b32_e32 v27, 20, v27
	v_or3_b32 v27, v60, v62, v27
.LBB6_8593:                             ;   in Loop: Header=BB6_8085 Depth=2
	s_or_b32 exec_lo, exec_lo, s27
	v_add_f32_e32 v60, v61, v27
	v_and_b32_e32 v27, 0x7f800000, v60
	v_cmp_ne_u32_e32 vcc_lo, 0x7f800000, v27
	v_mov_b32_e32 v27, 0x80
	s_and_saveexec_b32 s27, vcc_lo
	s_cbranch_execz .LBB6_8601
; %bb.8594:                             ;   in Loop: Header=BB6_8085 Depth=2
	v_mov_b32_e32 v27, 0
	s_mov_b32 s28, exec_lo
	v_cmpx_ne_u32_e32 0, v60
	s_cbranch_execz .LBB6_8600
; %bb.8595:                             ;   in Loop: Header=BB6_8085 Depth=2
	v_bfe_u32 v61, v60, 23, 8
	v_and_b32_e32 v27, 0x7fffff, v60
	v_cmp_gt_u32_e64 s12, 0x79, v61
	v_sub_nc_u32_e32 v62, 0x78, v61
	v_cmp_eq_u32_e32 vcc_lo, 0, v61
	v_or_b32_e32 v63, 0x800000, v27
	v_cndmask_b32_e64 v62, 0, v62, s12
	v_cndmask_b32_e32 v27, v63, v27, vcc_lo
	v_cndmask_b32_e64 v62, v62, 0x77, vcc_lo
	v_lshl_add_u32 v63, 0x100000, v62, -1
	v_lshlrev_b32_e64 v72, v62, 0x80000
	v_and_b32_e32 v63, v63, v27
	v_cmp_eq_u32_e64 s12, v63, v72
	v_lshrrev_b32_e32 v63, v62, v27
	v_add_nc_u32_e32 v27, 0xffffff89, v61
	v_lshrrev_b32_e32 v61, 23, v63
	v_cndmask_b32_e64 v27, v27, 0xffffff8a, vcc_lo
	v_xor_b32_e32 v61, 1, v61
	v_add_nc_u32_e32 v27, v62, v27
	v_bfe_u32 v62, v63, 20, 1
	v_add_nc_u32_e32 v62, -1, v62
	v_cndmask_b32_e64 v62, 0, v62, s12
	s_mov_b32 s12, exec_lo
	v_add_nc_u32_e32 v62, v62, v63
	v_and_b32_e32 v62, 0xfffff, v62
	v_add_nc_u32_e32 v63, v62, v63
                                        ; implicit-def: $vgpr62
	v_cmpx_ne_u32_e64 v27, v61
	s_xor_b32 s12, exec_lo, s12
; %bb.8596:                             ;   in Loop: Header=BB6_8085 Depth=2
	v_cmp_lt_u32_e32 vcc_lo, 0xffffff, v63
	v_sub_nc_u32_e32 v27, v27, v61
	v_cndmask_b32_e64 v61, 0, 1, vcc_lo
	v_add_co_ci_u32_e64 v62, null, 0, v27, vcc_lo
	v_lshrrev_b32_e32 v63, v61, v63
; %bb.8597:                             ;   in Loop: Header=BB6_8085 Depth=2
	s_andn2_saveexec_b32 s12, s12
; %bb.8598:                             ;   in Loop: Header=BB6_8085 Depth=2
	v_bfe_u32 v62, v63, 23, 1
; %bb.8599:                             ;   in Loop: Header=BB6_8085 Depth=2
	s_or_b32 exec_lo, exec_lo, s12
	v_lshrrev_b32_e32 v27, 20, v63
	v_cmp_gt_i32_e32 vcc_lo, 16, v62
	v_min_i32_e32 v61, 15, v62
	v_and_b32_sdwa v60, v60, v102 dst_sel:DWORD dst_unused:UNUSED_PAD src0_sel:BYTE_3 src1_sel:DWORD
	v_cndmask_b32_e32 v27, 7, v27, vcc_lo
	v_lshlrev_b32_e32 v61, 3, v61
	v_and_b32_e32 v63, 7, v27
	v_or_b32_e32 v27, v62, v27
	v_or3_b32 v60, v61, v60, v63
	v_cmp_ne_u32_e32 vcc_lo, 0, v27
	v_cndmask_b32_e32 v27, 0, v60, vcc_lo
.LBB6_8600:                             ;   in Loop: Header=BB6_8085 Depth=2
	s_or_b32 exec_lo, exec_lo, s28
.LBB6_8601:                             ;   in Loop: Header=BB6_8085 Depth=2
	s_or_b32 exec_lo, exec_lo, s27
	v_cmp_gt_i16_sdwa s27, v33, v101 src0_sel:BYTE_0 src1_sel:DWORD
	s_mov_b32 s12, 0
	s_and_saveexec_b32 s28, s27
	s_xor_b32 s27, exec_lo, s28
	s_cbranch_execz .LBB6_9255
; %bb.8602:                             ;   in Loop: Header=BB6_8085 Depth=2
	v_cmp_eq_u16_sdwa s29, v33, v102 src0_sel:BYTE_0 src1_sel:DWORD
	s_mov_b32 s12, -1
	s_and_saveexec_b32 s28, s29
; %bb.8603:                             ;   in Loop: Header=BB6_8085 Depth=2
	s_xor_b32 s12, exec_lo, -1
; %bb.8604:                             ;   in Loop: Header=BB6_8085 Depth=2
	s_or_b32 exec_lo, exec_lo, s28
	s_and_b32 s12, s12, exec_lo
	s_or_saveexec_b32 s27, s27
	v_mov_b32_e32 v60, 0x7f800001
	s_xor_b32 exec_lo, exec_lo, s27
	s_cbranch_execnz .LBB6_9256
.LBB6_8605:                             ;   in Loop: Header=BB6_8085 Depth=2
	s_or_b32 exec_lo, exec_lo, s27
	s_and_saveexec_b32 s27, s12
	s_cbranch_execz .LBB6_8607
.LBB6_8606:                             ;   in Loop: Header=BB6_8085 Depth=2
	v_and_b32_e32 v60, 7, v33
	v_lshrrev_b16 v62, 3, v33
	v_ffbh_u32_e32 v61, v60
	v_and_b32_e32 v62, 15, v62
	v_min_u32_e32 v61, 32, v61
	v_cmp_eq_u32_e32 vcc_lo, 0, v62
	v_subrev_nc_u32_e32 v63, 28, v61
	v_sub_nc_u32_e32 v61, 29, v61
	v_lshlrev_b32_e32 v63, v63, v33
	v_lshlrev_b32_e32 v33, 24, v33
	v_cndmask_b32_e32 v61, v62, v61, vcc_lo
	v_and_b32_e32 v63, 7, v63
	v_and_b32_e32 v33, 0x80000000, v33
	v_lshl_add_u32 v61, v61, 23, 0x3b800000
	v_cndmask_b32_e32 v60, v60, v63, vcc_lo
	v_lshlrev_b32_e32 v60, 20, v60
	v_or3_b32 v60, v33, v61, v60
.LBB6_8607:                             ;   in Loop: Header=BB6_8085 Depth=2
	s_or_b32 exec_lo, exec_lo, s27
	s_waitcnt vmcnt(28) lgkmcnt(28)
	v_cmp_gt_i16_sdwa s27, v59, v101 src0_sel:BYTE_0 src1_sel:DWORD
	s_mov_b32 s12, 0
	s_and_saveexec_b32 s28, s27
	s_xor_b32 s27, exec_lo, s28
	s_cbranch_execz .LBB6_9257
; %bb.8608:                             ;   in Loop: Header=BB6_8085 Depth=2
	v_cmp_eq_u16_sdwa s29, v59, v102 src0_sel:BYTE_0 src1_sel:DWORD
	s_mov_b32 s12, -1
	s_and_saveexec_b32 s28, s29
; %bb.8609:                             ;   in Loop: Header=BB6_8085 Depth=2
	s_xor_b32 s12, exec_lo, -1
; %bb.8610:                             ;   in Loop: Header=BB6_8085 Depth=2
	s_or_b32 exec_lo, exec_lo, s28
	s_and_b32 s12, s12, exec_lo
	s_or_saveexec_b32 s27, s27
	v_mov_b32_e32 v33, 0x7f800001
	s_xor_b32 exec_lo, exec_lo, s27
	s_cbranch_execnz .LBB6_9258
.LBB6_8611:                             ;   in Loop: Header=BB6_8085 Depth=2
	s_or_b32 exec_lo, exec_lo, s27
	s_and_saveexec_b32 s27, s12
	s_cbranch_execz .LBB6_8613
.LBB6_8612:                             ;   in Loop: Header=BB6_8085 Depth=2
	v_and_b32_e32 v33, 7, v59
	v_lshrrev_b16 v62, 3, v59
	v_ffbh_u32_e32 v61, v33
	v_and_b32_e32 v62, 15, v62
	v_min_u32_e32 v61, 32, v61
	v_cmp_eq_u32_e32 vcc_lo, 0, v62
	v_subrev_nc_u32_e32 v63, 28, v61
	v_sub_nc_u32_e32 v61, 29, v61
	v_lshlrev_b32_e32 v63, v63, v59
	v_lshlrev_b32_e32 v59, 24, v59
	v_cndmask_b32_e32 v61, v62, v61, vcc_lo
	v_and_b32_e32 v63, 7, v63
	v_and_b32_e32 v59, 0x80000000, v59
	v_lshl_add_u32 v61, v61, 23, 0x3b800000
	v_cndmask_b32_e32 v33, v33, v63, vcc_lo
	v_lshlrev_b32_e32 v33, 20, v33
	v_or3_b32 v33, v59, v61, v33
.LBB6_8613:                             ;   in Loop: Header=BB6_8085 Depth=2
	s_or_b32 exec_lo, exec_lo, s27
	v_add_f32_e32 v59, v60, v33
	v_and_b32_e32 v33, 0x7f800000, v59
	v_cmp_ne_u32_e32 vcc_lo, 0x7f800000, v33
	v_mov_b32_e32 v33, 0x80
	s_and_saveexec_b32 s27, vcc_lo
	s_cbranch_execz .LBB6_8621
; %bb.8614:                             ;   in Loop: Header=BB6_8085 Depth=2
	v_mov_b32_e32 v33, 0
	s_mov_b32 s28, exec_lo
	v_cmpx_ne_u32_e32 0, v59
	s_cbranch_execz .LBB6_8620
; %bb.8615:                             ;   in Loop: Header=BB6_8085 Depth=2
	v_bfe_u32 v33, v59, 23, 8
	v_and_b32_e32 v60, 0x7fffff, v59
	v_sub_nc_u32_e32 v61, 0x78, v33
	v_cmp_gt_u32_e32 vcc_lo, 0x79, v33
	v_or_b32_e32 v62, 0x800000, v60
	v_cndmask_b32_e32 v61, 0, v61, vcc_lo
	v_cmp_eq_u32_e32 vcc_lo, 0, v33
	v_add_nc_u32_e32 v33, 0xffffff89, v33
	v_cndmask_b32_e64 v61, v61, 0x77, vcc_lo
	v_cndmask_b32_e32 v60, v62, v60, vcc_lo
	v_cndmask_b32_e64 v33, v33, 0xffffff8a, vcc_lo
	v_lshl_add_u32 v62, 0x100000, v61, -1
	v_lshrrev_b32_e32 v63, v61, v60
	v_lshlrev_b32_e64 v73, v61, 0x80000
	v_add_nc_u32_e32 v61, v61, v33
	v_and_b32_e32 v60, v62, v60
	v_bfe_u32 v72, v63, 20, 1
	v_cmp_eq_u32_e64 s12, v60, v73
	v_add_nc_u32_e32 v62, -1, v72
	v_cndmask_b32_e64 v60, 0, v62, s12
	v_lshrrev_b32_e32 v62, 23, v63
	s_mov_b32 s12, exec_lo
	v_add_nc_u32_e32 v60, v60, v63
	v_xor_b32_e32 v62, 1, v62
	v_and_b32_e32 v33, 0xfffff, v60
	v_add_nc_u32_e32 v60, v33, v63
                                        ; implicit-def: $vgpr33
	v_cmpx_ne_u32_e64 v61, v62
	s_xor_b32 s12, exec_lo, s12
; %bb.8616:                             ;   in Loop: Header=BB6_8085 Depth=2
	v_cmp_lt_u32_e32 vcc_lo, 0xffffff, v60
	v_sub_nc_u32_e32 v33, v61, v62
	v_cndmask_b32_e64 v61, 0, 1, vcc_lo
	v_add_co_ci_u32_e64 v33, null, 0, v33, vcc_lo
	v_lshrrev_b32_e32 v60, v61, v60
; %bb.8617:                             ;   in Loop: Header=BB6_8085 Depth=2
	s_andn2_saveexec_b32 s12, s12
; %bb.8618:                             ;   in Loop: Header=BB6_8085 Depth=2
	v_bfe_u32 v33, v60, 23, 1
; %bb.8619:                             ;   in Loop: Header=BB6_8085 Depth=2
	s_or_b32 exec_lo, exec_lo, s12
	v_lshrrev_b32_e32 v60, 20, v60
	v_cmp_gt_i32_e32 vcc_lo, 16, v33
	v_min_i32_e32 v61, 15, v33
	v_and_b32_sdwa v59, v59, v102 dst_sel:DWORD dst_unused:UNUSED_PAD src0_sel:BYTE_3 src1_sel:DWORD
	v_cndmask_b32_e32 v60, 7, v60, vcc_lo
	v_lshlrev_b32_e32 v61, 3, v61
	v_and_b32_e32 v62, 7, v60
	v_or_b32_e32 v33, v33, v60
	v_or3_b32 v59, v61, v59, v62
	v_cmp_ne_u32_e32 vcc_lo, 0, v33
	v_cndmask_b32_e32 v33, 0, v59, vcc_lo
.LBB6_8620:                             ;   in Loop: Header=BB6_8085 Depth=2
	s_or_b32 exec_lo, exec_lo, s28
.LBB6_8621:                             ;   in Loop: Header=BB6_8085 Depth=2
	s_or_b32 exec_lo, exec_lo, s27
	v_cmp_gt_i16_sdwa s27, v48, v101 src0_sel:BYTE_0 src1_sel:DWORD
	s_mov_b32 s12, 0
	s_and_saveexec_b32 s28, s27
	s_xor_b32 s27, exec_lo, s28
	s_cbranch_execz .LBB6_9259
; %bb.8622:                             ;   in Loop: Header=BB6_8085 Depth=2
	v_cmp_eq_u16_sdwa s29, v48, v102 src0_sel:BYTE_0 src1_sel:DWORD
	s_mov_b32 s12, -1
	s_and_saveexec_b32 s28, s29
; %bb.8623:                             ;   in Loop: Header=BB6_8085 Depth=2
	s_xor_b32 s12, exec_lo, -1
; %bb.8624:                             ;   in Loop: Header=BB6_8085 Depth=2
	s_or_b32 exec_lo, exec_lo, s28
	s_and_b32 s12, s12, exec_lo
	s_or_saveexec_b32 s27, s27
	v_mov_b32_e32 v59, 0x7f800001
	s_xor_b32 exec_lo, exec_lo, s27
	s_cbranch_execnz .LBB6_9260
.LBB6_8625:                             ;   in Loop: Header=BB6_8085 Depth=2
	s_or_b32 exec_lo, exec_lo, s27
	s_and_saveexec_b32 s27, s12
	s_cbranch_execz .LBB6_8627
.LBB6_8626:                             ;   in Loop: Header=BB6_8085 Depth=2
	v_and_b32_e32 v59, 7, v48
	v_lshrrev_b16 v61, 3, v48
	v_ffbh_u32_e32 v60, v59
	v_and_b32_e32 v61, 15, v61
	v_min_u32_e32 v60, 32, v60
	v_cmp_eq_u32_e32 vcc_lo, 0, v61
	v_subrev_nc_u32_e32 v62, 28, v60
	v_sub_nc_u32_e32 v60, 29, v60
	v_lshlrev_b32_e32 v62, v62, v48
	v_lshlrev_b32_e32 v48, 24, v48
	v_cndmask_b32_e32 v60, v61, v60, vcc_lo
	v_and_b32_e32 v62, 7, v62
	v_and_b32_e32 v48, 0x80000000, v48
	v_lshl_add_u32 v60, v60, 23, 0x3b800000
	v_cndmask_b32_e32 v59, v59, v62, vcc_lo
	v_lshlrev_b32_e32 v59, 20, v59
	v_or3_b32 v59, v48, v60, v59
.LBB6_8627:                             ;   in Loop: Header=BB6_8085 Depth=2
	s_or_b32 exec_lo, exec_lo, s27
	s_waitcnt vmcnt(27) lgkmcnt(27)
	v_cmp_gt_i16_sdwa s27, v58, v101 src0_sel:BYTE_0 src1_sel:DWORD
	s_mov_b32 s12, 0
	s_and_saveexec_b32 s28, s27
	s_xor_b32 s27, exec_lo, s28
	s_cbranch_execz .LBB6_9261
; %bb.8628:                             ;   in Loop: Header=BB6_8085 Depth=2
	v_cmp_eq_u16_sdwa s29, v58, v102 src0_sel:BYTE_0 src1_sel:DWORD
	s_mov_b32 s12, -1
	s_and_saveexec_b32 s28, s29
; %bb.8629:                             ;   in Loop: Header=BB6_8085 Depth=2
	s_xor_b32 s12, exec_lo, -1
; %bb.8630:                             ;   in Loop: Header=BB6_8085 Depth=2
	s_or_b32 exec_lo, exec_lo, s28
	s_and_b32 s12, s12, exec_lo
	s_or_saveexec_b32 s27, s27
	v_mov_b32_e32 v48, 0x7f800001
	s_xor_b32 exec_lo, exec_lo, s27
	s_cbranch_execnz .LBB6_9262
.LBB6_8631:                             ;   in Loop: Header=BB6_8085 Depth=2
	s_or_b32 exec_lo, exec_lo, s27
	s_and_saveexec_b32 s27, s12
	s_cbranch_execz .LBB6_8633
.LBB6_8632:                             ;   in Loop: Header=BB6_8085 Depth=2
	v_and_b32_e32 v48, 7, v58
	v_lshrrev_b16 v61, 3, v58
	v_ffbh_u32_e32 v60, v48
	v_and_b32_e32 v61, 15, v61
	v_min_u32_e32 v60, 32, v60
	v_cmp_eq_u32_e32 vcc_lo, 0, v61
	v_subrev_nc_u32_e32 v62, 28, v60
	v_sub_nc_u32_e32 v60, 29, v60
	v_lshlrev_b32_e32 v62, v62, v58
	v_lshlrev_b32_e32 v58, 24, v58
	v_cndmask_b32_e32 v60, v61, v60, vcc_lo
	v_and_b32_e32 v62, 7, v62
	v_and_b32_e32 v58, 0x80000000, v58
	v_lshl_add_u32 v60, v60, 23, 0x3b800000
	v_cndmask_b32_e32 v48, v48, v62, vcc_lo
	v_lshlrev_b32_e32 v48, 20, v48
	v_or3_b32 v48, v58, v60, v48
.LBB6_8633:                             ;   in Loop: Header=BB6_8085 Depth=2
	s_or_b32 exec_lo, exec_lo, s27
	v_add_f32_e32 v58, v59, v48
	v_and_b32_e32 v48, 0x7f800000, v58
	v_cmp_ne_u32_e32 vcc_lo, 0x7f800000, v48
	v_mov_b32_e32 v48, 0x80
	s_and_saveexec_b32 s27, vcc_lo
	s_cbranch_execz .LBB6_8641
; %bb.8634:                             ;   in Loop: Header=BB6_8085 Depth=2
	v_mov_b32_e32 v48, 0
	s_mov_b32 s28, exec_lo
	v_cmpx_ne_u32_e32 0, v58
	s_cbranch_execz .LBB6_8640
; %bb.8635:                             ;   in Loop: Header=BB6_8085 Depth=2
	v_bfe_u32 v48, v58, 23, 8
	v_and_b32_e32 v59, 0x7fffff, v58
	v_sub_nc_u32_e32 v60, 0x78, v48
	v_cmp_gt_u32_e32 vcc_lo, 0x79, v48
	v_or_b32_e32 v61, 0x800000, v59
	v_cndmask_b32_e32 v60, 0, v60, vcc_lo
	v_cmp_eq_u32_e32 vcc_lo, 0, v48
	v_add_nc_u32_e32 v48, 0xffffff89, v48
	v_cndmask_b32_e64 v60, v60, 0x77, vcc_lo
	v_cndmask_b32_e32 v59, v61, v59, vcc_lo
	v_cndmask_b32_e64 v48, v48, 0xffffff8a, vcc_lo
	v_lshl_add_u32 v61, 0x100000, v60, -1
	v_lshrrev_b32_e32 v62, v60, v59
	v_lshlrev_b32_e64 v72, v60, 0x80000
	v_add_nc_u32_e32 v60, v60, v48
	v_and_b32_e32 v59, v61, v59
	v_bfe_u32 v63, v62, 20, 1
	v_cmp_eq_u32_e64 s12, v59, v72
	v_add_nc_u32_e32 v61, -1, v63
	v_cndmask_b32_e64 v59, 0, v61, s12
	v_lshrrev_b32_e32 v61, 23, v62
	s_mov_b32 s12, exec_lo
	v_add_nc_u32_e32 v59, v59, v62
	v_xor_b32_e32 v61, 1, v61
	v_and_b32_e32 v48, 0xfffff, v59
	v_add_nc_u32_e32 v59, v48, v62
                                        ; implicit-def: $vgpr48
	v_cmpx_ne_u32_e64 v60, v61
	s_xor_b32 s12, exec_lo, s12
; %bb.8636:                             ;   in Loop: Header=BB6_8085 Depth=2
	v_cmp_lt_u32_e32 vcc_lo, 0xffffff, v59
	v_sub_nc_u32_e32 v48, v60, v61
	v_cndmask_b32_e64 v60, 0, 1, vcc_lo
	v_add_co_ci_u32_e64 v48, null, 0, v48, vcc_lo
	v_lshrrev_b32_e32 v59, v60, v59
; %bb.8637:                             ;   in Loop: Header=BB6_8085 Depth=2
	s_andn2_saveexec_b32 s12, s12
; %bb.8638:                             ;   in Loop: Header=BB6_8085 Depth=2
	v_bfe_u32 v48, v59, 23, 1
; %bb.8639:                             ;   in Loop: Header=BB6_8085 Depth=2
	s_or_b32 exec_lo, exec_lo, s12
	v_lshrrev_b32_e32 v59, 20, v59
	v_cmp_gt_i32_e32 vcc_lo, 16, v48
	v_min_i32_e32 v60, 15, v48
	v_and_b32_sdwa v58, v58, v102 dst_sel:DWORD dst_unused:UNUSED_PAD src0_sel:BYTE_3 src1_sel:DWORD
	v_cndmask_b32_e32 v59, 7, v59, vcc_lo
	v_lshlrev_b32_e32 v60, 3, v60
	v_and_b32_e32 v61, 7, v59
	v_or_b32_e32 v48, v48, v59
	v_or3_b32 v58, v60, v58, v61
	v_cmp_ne_u32_e32 vcc_lo, 0, v48
	v_cndmask_b32_e32 v48, 0, v58, vcc_lo
.LBB6_8640:                             ;   in Loop: Header=BB6_8085 Depth=2
	s_or_b32 exec_lo, exec_lo, s28
.LBB6_8641:                             ;   in Loop: Header=BB6_8085 Depth=2
	s_or_b32 exec_lo, exec_lo, s27
	v_cmp_gt_i16_sdwa s27, v67, v101 src0_sel:BYTE_0 src1_sel:DWORD
	s_mov_b32 s12, 0
	s_and_saveexec_b32 s28, s27
	s_xor_b32 s27, exec_lo, s28
	s_cbranch_execz .LBB6_9263
; %bb.8642:                             ;   in Loop: Header=BB6_8085 Depth=2
	v_cmp_eq_u16_sdwa s29, v67, v102 src0_sel:BYTE_0 src1_sel:DWORD
	s_mov_b32 s12, -1
	s_and_saveexec_b32 s28, s29
; %bb.8643:                             ;   in Loop: Header=BB6_8085 Depth=2
	s_xor_b32 s12, exec_lo, -1
; %bb.8644:                             ;   in Loop: Header=BB6_8085 Depth=2
	s_or_b32 exec_lo, exec_lo, s28
	s_and_b32 s12, s12, exec_lo
	s_or_saveexec_b32 s27, s27
	v_mov_b32_e32 v58, 0x7f800001
	s_xor_b32 exec_lo, exec_lo, s27
	s_cbranch_execnz .LBB6_9264
.LBB6_8645:                             ;   in Loop: Header=BB6_8085 Depth=2
	s_or_b32 exec_lo, exec_lo, s27
	s_and_saveexec_b32 s27, s12
	s_cbranch_execz .LBB6_8647
.LBB6_8646:                             ;   in Loop: Header=BB6_8085 Depth=2
	v_and_b32_e32 v58, 7, v67
	v_lshrrev_b16 v60, 3, v67
	v_ffbh_u32_e32 v59, v58
	v_and_b32_e32 v60, 15, v60
	v_min_u32_e32 v59, 32, v59
	v_cmp_eq_u32_e32 vcc_lo, 0, v60
	v_subrev_nc_u32_e32 v61, 28, v59
	v_sub_nc_u32_e32 v59, 29, v59
	v_lshlrev_b32_e32 v61, v61, v67
	v_lshlrev_b32_e32 v67, 24, v67
	v_cndmask_b32_e32 v59, v60, v59, vcc_lo
	v_and_b32_e32 v61, 7, v61
	v_and_b32_e32 v67, 0x80000000, v67
	v_lshl_add_u32 v59, v59, 23, 0x3b800000
	v_cndmask_b32_e32 v58, v58, v61, vcc_lo
	v_lshlrev_b32_e32 v58, 20, v58
	v_or3_b32 v58, v67, v59, v58
.LBB6_8647:                             ;   in Loop: Header=BB6_8085 Depth=2
	s_or_b32 exec_lo, exec_lo, s27
	s_waitcnt vmcnt(26) lgkmcnt(26)
	v_cmp_gt_i16_sdwa s27, v57, v101 src0_sel:BYTE_0 src1_sel:DWORD
	s_mov_b32 s12, 0
	s_and_saveexec_b32 s28, s27
	s_xor_b32 s27, exec_lo, s28
	s_cbranch_execz .LBB6_9265
; %bb.8648:                             ;   in Loop: Header=BB6_8085 Depth=2
	v_cmp_eq_u16_sdwa s29, v57, v102 src0_sel:BYTE_0 src1_sel:DWORD
	s_mov_b32 s12, -1
	s_and_saveexec_b32 s28, s29
; %bb.8649:                             ;   in Loop: Header=BB6_8085 Depth=2
	s_xor_b32 s12, exec_lo, -1
; %bb.8650:                             ;   in Loop: Header=BB6_8085 Depth=2
	s_or_b32 exec_lo, exec_lo, s28
	s_and_b32 s12, s12, exec_lo
	s_or_saveexec_b32 s27, s27
	v_mov_b32_e32 v67, 0x7f800001
	s_xor_b32 exec_lo, exec_lo, s27
	s_cbranch_execnz .LBB6_9266
.LBB6_8651:                             ;   in Loop: Header=BB6_8085 Depth=2
	s_or_b32 exec_lo, exec_lo, s27
	s_and_saveexec_b32 s27, s12
	s_cbranch_execz .LBB6_8653
.LBB6_8652:                             ;   in Loop: Header=BB6_8085 Depth=2
	v_and_b32_e32 v67, 7, v57
	v_lshrrev_b16 v60, 3, v57
	v_ffbh_u32_e32 v59, v67
	v_and_b32_e32 v60, 15, v60
	v_min_u32_e32 v59, 32, v59
	v_cmp_eq_u32_e32 vcc_lo, 0, v60
	v_subrev_nc_u32_e32 v61, 28, v59
	v_sub_nc_u32_e32 v59, 29, v59
	v_lshlrev_b32_e32 v61, v61, v57
	v_lshlrev_b32_e32 v57, 24, v57
	v_cndmask_b32_e32 v59, v60, v59, vcc_lo
	v_and_b32_e32 v61, 7, v61
	v_and_b32_e32 v57, 0x80000000, v57
	v_lshl_add_u32 v59, v59, 23, 0x3b800000
	v_cndmask_b32_e32 v67, v67, v61, vcc_lo
	v_lshlrev_b32_e32 v67, 20, v67
	v_or3_b32 v67, v57, v59, v67
.LBB6_8653:                             ;   in Loop: Header=BB6_8085 Depth=2
	s_or_b32 exec_lo, exec_lo, s27
	v_add_f32_e32 v57, v58, v67
	v_and_b32_e32 v67, 0x7f800000, v57
	v_cmp_ne_u32_e32 vcc_lo, 0x7f800000, v67
	v_mov_b32_e32 v67, 0x80
	s_and_saveexec_b32 s27, vcc_lo
	s_cbranch_execz .LBB6_8661
; %bb.8654:                             ;   in Loop: Header=BB6_8085 Depth=2
	v_mov_b32_e32 v67, 0
	s_mov_b32 s28, exec_lo
	v_cmpx_ne_u32_e32 0, v57
	s_cbranch_execz .LBB6_8660
; %bb.8655:                             ;   in Loop: Header=BB6_8085 Depth=2
	v_bfe_u32 v67, v57, 23, 8
	v_and_b32_e32 v58, 0x7fffff, v57
	v_sub_nc_u32_e32 v59, 0x78, v67
	v_cmp_gt_u32_e32 vcc_lo, 0x79, v67
	v_or_b32_e32 v60, 0x800000, v58
	v_cndmask_b32_e32 v59, 0, v59, vcc_lo
	v_cmp_eq_u32_e32 vcc_lo, 0, v67
	v_add_nc_u32_e32 v67, 0xffffff89, v67
	v_cndmask_b32_e64 v59, v59, 0x77, vcc_lo
	v_cndmask_b32_e32 v58, v60, v58, vcc_lo
	v_cndmask_b32_e64 v67, v67, 0xffffff8a, vcc_lo
	v_lshl_add_u32 v60, 0x100000, v59, -1
	v_lshrrev_b32_e32 v61, v59, v58
	v_lshlrev_b32_e64 v63, v59, 0x80000
	v_add_nc_u32_e32 v59, v59, v67
	v_and_b32_e32 v58, v60, v58
	v_bfe_u32 v62, v61, 20, 1
	v_cmp_eq_u32_e64 s12, v58, v63
	v_add_nc_u32_e32 v60, -1, v62
	v_cndmask_b32_e64 v58, 0, v60, s12
	v_lshrrev_b32_e32 v60, 23, v61
	s_mov_b32 s12, exec_lo
	v_add_nc_u32_e32 v58, v58, v61
	v_xor_b32_e32 v60, 1, v60
	v_and_b32_e32 v67, 0xfffff, v58
	v_add_nc_u32_e32 v58, v67, v61
                                        ; implicit-def: $vgpr67
	v_cmpx_ne_u32_e64 v59, v60
	s_xor_b32 s12, exec_lo, s12
; %bb.8656:                             ;   in Loop: Header=BB6_8085 Depth=2
	v_cmp_lt_u32_e32 vcc_lo, 0xffffff, v58
	v_sub_nc_u32_e32 v67, v59, v60
	v_cndmask_b32_e64 v59, 0, 1, vcc_lo
	v_add_co_ci_u32_e64 v67, null, 0, v67, vcc_lo
	v_lshrrev_b32_e32 v58, v59, v58
; %bb.8657:                             ;   in Loop: Header=BB6_8085 Depth=2
	s_andn2_saveexec_b32 s12, s12
; %bb.8658:                             ;   in Loop: Header=BB6_8085 Depth=2
	v_bfe_u32 v67, v58, 23, 1
; %bb.8659:                             ;   in Loop: Header=BB6_8085 Depth=2
	s_or_b32 exec_lo, exec_lo, s12
	v_lshrrev_b32_e32 v58, 20, v58
	v_cmp_gt_i32_e32 vcc_lo, 16, v67
	v_min_i32_e32 v59, 15, v67
	v_and_b32_sdwa v57, v57, v102 dst_sel:DWORD dst_unused:UNUSED_PAD src0_sel:BYTE_3 src1_sel:DWORD
	v_cndmask_b32_e32 v58, 7, v58, vcc_lo
	v_lshlrev_b32_e32 v59, 3, v59
	v_and_b32_e32 v60, 7, v58
	v_or_b32_e32 v67, v67, v58
	v_or3_b32 v57, v59, v57, v60
	v_cmp_ne_u32_e32 vcc_lo, 0, v67
	v_cndmask_b32_e32 v67, 0, v57, vcc_lo
.LBB6_8660:                             ;   in Loop: Header=BB6_8085 Depth=2
	s_or_b32 exec_lo, exec_lo, s28
.LBB6_8661:                             ;   in Loop: Header=BB6_8085 Depth=2
	s_or_b32 exec_lo, exec_lo, s27
	v_cmp_gt_i16_sdwa s27, v80, v101 src0_sel:BYTE_0 src1_sel:DWORD
	s_mov_b32 s12, 0
	s_and_saveexec_b32 s28, s27
	s_xor_b32 s27, exec_lo, s28
	s_cbranch_execz .LBB6_9267
; %bb.8662:                             ;   in Loop: Header=BB6_8085 Depth=2
	v_cmp_eq_u16_sdwa s29, v80, v102 src0_sel:BYTE_0 src1_sel:DWORD
	s_mov_b32 s12, -1
	s_and_saveexec_b32 s28, s29
; %bb.8663:                             ;   in Loop: Header=BB6_8085 Depth=2
	s_xor_b32 s12, exec_lo, -1
; %bb.8664:                             ;   in Loop: Header=BB6_8085 Depth=2
	s_or_b32 exec_lo, exec_lo, s28
	s_and_b32 s12, s12, exec_lo
	s_or_saveexec_b32 s27, s27
	v_mov_b32_e32 v57, 0x7f800001
	s_xor_b32 exec_lo, exec_lo, s27
	s_cbranch_execnz .LBB6_9268
.LBB6_8665:                             ;   in Loop: Header=BB6_8085 Depth=2
	s_or_b32 exec_lo, exec_lo, s27
	s_and_saveexec_b32 s27, s12
	s_cbranch_execz .LBB6_8667
.LBB6_8666:                             ;   in Loop: Header=BB6_8085 Depth=2
	v_and_b32_e32 v57, 7, v80
	v_lshrrev_b16 v59, 3, v80
	v_ffbh_u32_e32 v58, v57
	v_and_b32_e32 v59, 15, v59
	v_min_u32_e32 v58, 32, v58
	v_cmp_eq_u32_e32 vcc_lo, 0, v59
	v_subrev_nc_u32_e32 v60, 28, v58
	v_sub_nc_u32_e32 v58, 29, v58
	v_lshlrev_b32_e32 v60, v60, v80
	v_lshlrev_b32_e32 v80, 24, v80
	v_cndmask_b32_e32 v58, v59, v58, vcc_lo
	v_and_b32_e32 v60, 7, v60
	v_and_b32_e32 v80, 0x80000000, v80
	v_lshl_add_u32 v58, v58, 23, 0x3b800000
	v_cndmask_b32_e32 v57, v57, v60, vcc_lo
	v_lshlrev_b32_e32 v57, 20, v57
	v_or3_b32 v57, v80, v58, v57
.LBB6_8667:                             ;   in Loop: Header=BB6_8085 Depth=2
	s_or_b32 exec_lo, exec_lo, s27
	s_waitcnt vmcnt(25) lgkmcnt(25)
	v_cmp_gt_i16_sdwa s27, v56, v101 src0_sel:BYTE_0 src1_sel:DWORD
	s_mov_b32 s12, 0
	s_and_saveexec_b32 s28, s27
	s_xor_b32 s27, exec_lo, s28
	s_cbranch_execz .LBB6_9269
; %bb.8668:                             ;   in Loop: Header=BB6_8085 Depth=2
	v_cmp_eq_u16_sdwa s29, v56, v102 src0_sel:BYTE_0 src1_sel:DWORD
	s_mov_b32 s12, -1
	s_and_saveexec_b32 s28, s29
; %bb.8669:                             ;   in Loop: Header=BB6_8085 Depth=2
	s_xor_b32 s12, exec_lo, -1
; %bb.8670:                             ;   in Loop: Header=BB6_8085 Depth=2
	s_or_b32 exec_lo, exec_lo, s28
	s_and_b32 s12, s12, exec_lo
	s_or_saveexec_b32 s27, s27
	v_mov_b32_e32 v80, 0x7f800001
	s_xor_b32 exec_lo, exec_lo, s27
	s_cbranch_execnz .LBB6_9270
.LBB6_8671:                             ;   in Loop: Header=BB6_8085 Depth=2
	s_or_b32 exec_lo, exec_lo, s27
	s_and_saveexec_b32 s27, s12
	s_cbranch_execz .LBB6_8673
.LBB6_8672:                             ;   in Loop: Header=BB6_8085 Depth=2
	v_and_b32_e32 v80, 7, v56
	v_lshrrev_b16 v59, 3, v56
	v_ffbh_u32_e32 v58, v80
	v_and_b32_e32 v59, 15, v59
	v_min_u32_e32 v58, 32, v58
	v_cmp_eq_u32_e32 vcc_lo, 0, v59
	v_subrev_nc_u32_e32 v60, 28, v58
	v_sub_nc_u32_e32 v58, 29, v58
	v_lshlrev_b32_e32 v60, v60, v56
	v_lshlrev_b32_e32 v56, 24, v56
	v_cndmask_b32_e32 v58, v59, v58, vcc_lo
	v_and_b32_e32 v60, 7, v60
	v_and_b32_e32 v56, 0x80000000, v56
	v_lshl_add_u32 v58, v58, 23, 0x3b800000
	v_cndmask_b32_e32 v80, v80, v60, vcc_lo
	v_lshlrev_b32_e32 v80, 20, v80
	v_or3_b32 v80, v56, v58, v80
.LBB6_8673:                             ;   in Loop: Header=BB6_8085 Depth=2
	s_or_b32 exec_lo, exec_lo, s27
	v_add_f32_e32 v56, v57, v80
	v_and_b32_e32 v80, 0x7f800000, v56
	v_cmp_ne_u32_e32 vcc_lo, 0x7f800000, v80
	v_mov_b32_e32 v80, 0x80
	s_and_saveexec_b32 s27, vcc_lo
	s_cbranch_execz .LBB6_8681
; %bb.8674:                             ;   in Loop: Header=BB6_8085 Depth=2
	v_mov_b32_e32 v80, 0
	s_mov_b32 s28, exec_lo
	v_cmpx_ne_u32_e32 0, v56
	s_cbranch_execz .LBB6_8680
; %bb.8675:                             ;   in Loop: Header=BB6_8085 Depth=2
	v_bfe_u32 v80, v56, 23, 8
	v_and_b32_e32 v57, 0x7fffff, v56
	v_sub_nc_u32_e32 v58, 0x78, v80
	v_cmp_gt_u32_e32 vcc_lo, 0x79, v80
	v_or_b32_e32 v59, 0x800000, v57
	v_cndmask_b32_e32 v58, 0, v58, vcc_lo
	v_cmp_eq_u32_e32 vcc_lo, 0, v80
	v_add_nc_u32_e32 v80, 0xffffff89, v80
	v_cndmask_b32_e64 v58, v58, 0x77, vcc_lo
	v_cndmask_b32_e32 v57, v59, v57, vcc_lo
	v_cndmask_b32_e64 v80, v80, 0xffffff8a, vcc_lo
	v_lshl_add_u32 v59, 0x100000, v58, -1
	v_lshrrev_b32_e32 v60, v58, v57
	v_lshlrev_b32_e64 v62, v58, 0x80000
	v_add_nc_u32_e32 v58, v58, v80
	v_and_b32_e32 v57, v59, v57
	v_bfe_u32 v61, v60, 20, 1
	v_cmp_eq_u32_e64 s12, v57, v62
	v_add_nc_u32_e32 v59, -1, v61
	v_cndmask_b32_e64 v57, 0, v59, s12
	v_lshrrev_b32_e32 v59, 23, v60
	s_mov_b32 s12, exec_lo
	v_add_nc_u32_e32 v57, v57, v60
	v_xor_b32_e32 v59, 1, v59
	v_and_b32_e32 v80, 0xfffff, v57
	v_add_nc_u32_e32 v57, v80, v60
                                        ; implicit-def: $vgpr80
	v_cmpx_ne_u32_e64 v58, v59
	s_xor_b32 s12, exec_lo, s12
; %bb.8676:                             ;   in Loop: Header=BB6_8085 Depth=2
	v_cmp_lt_u32_e32 vcc_lo, 0xffffff, v57
	v_sub_nc_u32_e32 v80, v58, v59
	v_cndmask_b32_e64 v58, 0, 1, vcc_lo
	v_add_co_ci_u32_e64 v80, null, 0, v80, vcc_lo
	v_lshrrev_b32_e32 v57, v58, v57
; %bb.8677:                             ;   in Loop: Header=BB6_8085 Depth=2
	s_andn2_saveexec_b32 s12, s12
; %bb.8678:                             ;   in Loop: Header=BB6_8085 Depth=2
	v_bfe_u32 v80, v57, 23, 1
; %bb.8679:                             ;   in Loop: Header=BB6_8085 Depth=2
	s_or_b32 exec_lo, exec_lo, s12
	v_lshrrev_b32_e32 v57, 20, v57
	v_cmp_gt_i32_e32 vcc_lo, 16, v80
	v_min_i32_e32 v58, 15, v80
	v_and_b32_sdwa v56, v56, v102 dst_sel:DWORD dst_unused:UNUSED_PAD src0_sel:BYTE_3 src1_sel:DWORD
	v_cndmask_b32_e32 v57, 7, v57, vcc_lo
	v_lshlrev_b32_e32 v58, 3, v58
	v_and_b32_e32 v59, 7, v57
	v_or_b32_e32 v80, v80, v57
	v_or3_b32 v56, v58, v56, v59
	v_cmp_ne_u32_e32 vcc_lo, 0, v80
	v_cndmask_b32_e32 v80, 0, v56, vcc_lo
.LBB6_8680:                             ;   in Loop: Header=BB6_8085 Depth=2
	s_or_b32 exec_lo, exec_lo, s28
.LBB6_8681:                             ;   in Loop: Header=BB6_8085 Depth=2
	s_or_b32 exec_lo, exec_lo, s27
	v_cmp_gt_i16_sdwa s27, v82, v101 src0_sel:BYTE_0 src1_sel:DWORD
	s_mov_b32 s12, 0
	s_and_saveexec_b32 s28, s27
	s_xor_b32 s27, exec_lo, s28
	s_cbranch_execz .LBB6_9271
; %bb.8682:                             ;   in Loop: Header=BB6_8085 Depth=2
	v_cmp_eq_u16_sdwa s29, v82, v102 src0_sel:BYTE_0 src1_sel:DWORD
	s_mov_b32 s12, -1
	s_and_saveexec_b32 s28, s29
; %bb.8683:                             ;   in Loop: Header=BB6_8085 Depth=2
	s_xor_b32 s12, exec_lo, -1
; %bb.8684:                             ;   in Loop: Header=BB6_8085 Depth=2
	s_or_b32 exec_lo, exec_lo, s28
	s_and_b32 s12, s12, exec_lo
	s_or_saveexec_b32 s27, s27
	v_mov_b32_e32 v56, 0x7f800001
	s_xor_b32 exec_lo, exec_lo, s27
	s_cbranch_execnz .LBB6_9272
.LBB6_8685:                             ;   in Loop: Header=BB6_8085 Depth=2
	s_or_b32 exec_lo, exec_lo, s27
	s_and_saveexec_b32 s27, s12
	s_cbranch_execz .LBB6_8687
.LBB6_8686:                             ;   in Loop: Header=BB6_8085 Depth=2
	v_and_b32_e32 v56, 7, v82
	v_lshrrev_b16 v58, 3, v82
	v_ffbh_u32_e32 v57, v56
	v_and_b32_e32 v58, 15, v58
	v_min_u32_e32 v57, 32, v57
	v_cmp_eq_u32_e32 vcc_lo, 0, v58
	v_subrev_nc_u32_e32 v59, 28, v57
	v_sub_nc_u32_e32 v57, 29, v57
	v_lshlrev_b32_e32 v59, v59, v82
	v_lshlrev_b32_e32 v82, 24, v82
	v_cndmask_b32_e32 v57, v58, v57, vcc_lo
	v_and_b32_e32 v59, 7, v59
	v_and_b32_e32 v82, 0x80000000, v82
	v_lshl_add_u32 v57, v57, 23, 0x3b800000
	v_cndmask_b32_e32 v56, v56, v59, vcc_lo
	v_lshlrev_b32_e32 v56, 20, v56
	v_or3_b32 v56, v82, v57, v56
.LBB6_8687:                             ;   in Loop: Header=BB6_8085 Depth=2
	s_or_b32 exec_lo, exec_lo, s27
	s_waitcnt vmcnt(24) lgkmcnt(24)
	v_cmp_gt_i16_sdwa s27, v47, v101 src0_sel:BYTE_0 src1_sel:DWORD
	s_mov_b32 s12, 0
	s_and_saveexec_b32 s28, s27
	s_xor_b32 s27, exec_lo, s28
	s_cbranch_execz .LBB6_9273
; %bb.8688:                             ;   in Loop: Header=BB6_8085 Depth=2
	v_cmp_eq_u16_sdwa s29, v47, v102 src0_sel:BYTE_0 src1_sel:DWORD
	s_mov_b32 s12, -1
	s_and_saveexec_b32 s28, s29
; %bb.8689:                             ;   in Loop: Header=BB6_8085 Depth=2
	s_xor_b32 s12, exec_lo, -1
; %bb.8690:                             ;   in Loop: Header=BB6_8085 Depth=2
	s_or_b32 exec_lo, exec_lo, s28
	s_and_b32 s12, s12, exec_lo
	s_or_saveexec_b32 s27, s27
	v_mov_b32_e32 v82, 0x7f800001
	s_xor_b32 exec_lo, exec_lo, s27
	s_cbranch_execnz .LBB6_9274
.LBB6_8691:                             ;   in Loop: Header=BB6_8085 Depth=2
	s_or_b32 exec_lo, exec_lo, s27
	s_and_saveexec_b32 s27, s12
	s_cbranch_execz .LBB6_8693
.LBB6_8692:                             ;   in Loop: Header=BB6_8085 Depth=2
	v_and_b32_e32 v82, 7, v47
	v_lshrrev_b16 v58, 3, v47
	v_ffbh_u32_e32 v57, v82
	v_and_b32_e32 v58, 15, v58
	v_min_u32_e32 v57, 32, v57
	v_cmp_eq_u32_e32 vcc_lo, 0, v58
	v_subrev_nc_u32_e32 v59, 28, v57
	v_sub_nc_u32_e32 v57, 29, v57
	v_lshlrev_b32_e32 v59, v59, v47
	v_lshlrev_b32_e32 v47, 24, v47
	v_cndmask_b32_e32 v57, v58, v57, vcc_lo
	v_and_b32_e32 v59, 7, v59
	v_and_b32_e32 v47, 0x80000000, v47
	v_lshl_add_u32 v57, v57, 23, 0x3b800000
	v_cndmask_b32_e32 v82, v82, v59, vcc_lo
	v_lshlrev_b32_e32 v82, 20, v82
	v_or3_b32 v82, v47, v57, v82
.LBB6_8693:                             ;   in Loop: Header=BB6_8085 Depth=2
	s_or_b32 exec_lo, exec_lo, s27
	v_add_f32_e32 v47, v56, v82
	v_and_b32_e32 v82, 0x7f800000, v47
	v_cmp_ne_u32_e32 vcc_lo, 0x7f800000, v82
	v_mov_b32_e32 v82, 0x80
	s_and_saveexec_b32 s27, vcc_lo
	s_cbranch_execz .LBB6_8701
; %bb.8694:                             ;   in Loop: Header=BB6_8085 Depth=2
	v_mov_b32_e32 v82, 0
	s_mov_b32 s28, exec_lo
	v_cmpx_ne_u32_e32 0, v47
	s_cbranch_execz .LBB6_8700
; %bb.8695:                             ;   in Loop: Header=BB6_8085 Depth=2
	v_bfe_u32 v82, v47, 23, 8
	v_and_b32_e32 v56, 0x7fffff, v47
	v_sub_nc_u32_e32 v57, 0x78, v82
	v_cmp_gt_u32_e32 vcc_lo, 0x79, v82
	v_or_b32_e32 v58, 0x800000, v56
	v_cndmask_b32_e32 v57, 0, v57, vcc_lo
	v_cmp_eq_u32_e32 vcc_lo, 0, v82
	v_add_nc_u32_e32 v82, 0xffffff89, v82
	v_cndmask_b32_e64 v57, v57, 0x77, vcc_lo
	v_cndmask_b32_e32 v56, v58, v56, vcc_lo
	v_cndmask_b32_e64 v82, v82, 0xffffff8a, vcc_lo
	v_lshl_add_u32 v58, 0x100000, v57, -1
	v_lshrrev_b32_e32 v59, v57, v56
	v_lshlrev_b32_e64 v61, v57, 0x80000
	v_add_nc_u32_e32 v57, v57, v82
	v_and_b32_e32 v56, v58, v56
	v_bfe_u32 v60, v59, 20, 1
	v_cmp_eq_u32_e64 s12, v56, v61
	v_add_nc_u32_e32 v58, -1, v60
	v_cndmask_b32_e64 v56, 0, v58, s12
	v_lshrrev_b32_e32 v58, 23, v59
	s_mov_b32 s12, exec_lo
	v_add_nc_u32_e32 v56, v56, v59
	v_xor_b32_e32 v58, 1, v58
	v_and_b32_e32 v82, 0xfffff, v56
	v_add_nc_u32_e32 v56, v82, v59
                                        ; implicit-def: $vgpr82
	v_cmpx_ne_u32_e64 v57, v58
	s_xor_b32 s12, exec_lo, s12
; %bb.8696:                             ;   in Loop: Header=BB6_8085 Depth=2
	v_cmp_lt_u32_e32 vcc_lo, 0xffffff, v56
	v_sub_nc_u32_e32 v82, v57, v58
	v_cndmask_b32_e64 v57, 0, 1, vcc_lo
	v_add_co_ci_u32_e64 v82, null, 0, v82, vcc_lo
	v_lshrrev_b32_e32 v56, v57, v56
; %bb.8697:                             ;   in Loop: Header=BB6_8085 Depth=2
	s_andn2_saveexec_b32 s12, s12
; %bb.8698:                             ;   in Loop: Header=BB6_8085 Depth=2
	v_bfe_u32 v82, v56, 23, 1
; %bb.8699:                             ;   in Loop: Header=BB6_8085 Depth=2
	s_or_b32 exec_lo, exec_lo, s12
	v_lshrrev_b32_e32 v56, 20, v56
	v_cmp_gt_i32_e32 vcc_lo, 16, v82
	v_min_i32_e32 v57, 15, v82
	v_and_b32_sdwa v47, v47, v102 dst_sel:DWORD dst_unused:UNUSED_PAD src0_sel:BYTE_3 src1_sel:DWORD
	v_cndmask_b32_e32 v56, 7, v56, vcc_lo
	v_lshlrev_b32_e32 v57, 3, v57
	v_and_b32_e32 v58, 7, v56
	v_or_b32_e32 v82, v82, v56
	v_or3_b32 v47, v57, v47, v58
	v_cmp_ne_u32_e32 vcc_lo, 0, v82
	v_cndmask_b32_e32 v82, 0, v47, vcc_lo
.LBB6_8700:                             ;   in Loop: Header=BB6_8085 Depth=2
	s_or_b32 exec_lo, exec_lo, s28
.LBB6_8701:                             ;   in Loop: Header=BB6_8085 Depth=2
	s_or_b32 exec_lo, exec_lo, s27
	v_cmp_gt_i16_sdwa s27, v71, v101 src0_sel:BYTE_0 src1_sel:DWORD
	s_mov_b32 s12, 0
	s_and_saveexec_b32 s28, s27
	s_xor_b32 s27, exec_lo, s28
	s_cbranch_execz .LBB6_9275
; %bb.8702:                             ;   in Loop: Header=BB6_8085 Depth=2
	v_cmp_eq_u16_sdwa s29, v71, v102 src0_sel:BYTE_0 src1_sel:DWORD
	s_mov_b32 s12, -1
	s_and_saveexec_b32 s28, s29
; %bb.8703:                             ;   in Loop: Header=BB6_8085 Depth=2
	s_xor_b32 s12, exec_lo, -1
; %bb.8704:                             ;   in Loop: Header=BB6_8085 Depth=2
	s_or_b32 exec_lo, exec_lo, s28
	s_and_b32 s12, s12, exec_lo
	s_or_saveexec_b32 s27, s27
	v_mov_b32_e32 v47, 0x7f800001
	s_xor_b32 exec_lo, exec_lo, s27
	s_cbranch_execnz .LBB6_9276
.LBB6_8705:                             ;   in Loop: Header=BB6_8085 Depth=2
	s_or_b32 exec_lo, exec_lo, s27
	s_and_saveexec_b32 s27, s12
	s_cbranch_execz .LBB6_8707
.LBB6_8706:                             ;   in Loop: Header=BB6_8085 Depth=2
	v_and_b32_e32 v47, 7, v71
	v_lshrrev_b16 v57, 3, v71
	v_ffbh_u32_e32 v56, v47
	v_and_b32_e32 v57, 15, v57
	v_min_u32_e32 v56, 32, v56
	v_cmp_eq_u32_e32 vcc_lo, 0, v57
	v_subrev_nc_u32_e32 v58, 28, v56
	v_sub_nc_u32_e32 v56, 29, v56
	v_lshlrev_b32_e32 v58, v58, v71
	v_lshlrev_b32_e32 v71, 24, v71
	v_cndmask_b32_e32 v56, v57, v56, vcc_lo
	v_and_b32_e32 v58, 7, v58
	v_and_b32_e32 v71, 0x80000000, v71
	v_lshl_add_u32 v56, v56, 23, 0x3b800000
	v_cndmask_b32_e32 v47, v47, v58, vcc_lo
	v_lshlrev_b32_e32 v47, 20, v47
	v_or3_b32 v47, v71, v56, v47
.LBB6_8707:                             ;   in Loop: Header=BB6_8085 Depth=2
	s_or_b32 exec_lo, exec_lo, s27
	s_waitcnt vmcnt(23) lgkmcnt(23)
	v_cmp_gt_i16_sdwa s27, v46, v101 src0_sel:BYTE_0 src1_sel:DWORD
	s_mov_b32 s12, 0
	s_and_saveexec_b32 s28, s27
	s_xor_b32 s27, exec_lo, s28
	s_cbranch_execz .LBB6_9277
; %bb.8708:                             ;   in Loop: Header=BB6_8085 Depth=2
	v_cmp_eq_u16_sdwa s29, v46, v102 src0_sel:BYTE_0 src1_sel:DWORD
	s_mov_b32 s12, -1
	s_and_saveexec_b32 s28, s29
; %bb.8709:                             ;   in Loop: Header=BB6_8085 Depth=2
	s_xor_b32 s12, exec_lo, -1
; %bb.8710:                             ;   in Loop: Header=BB6_8085 Depth=2
	s_or_b32 exec_lo, exec_lo, s28
	s_and_b32 s12, s12, exec_lo
	s_or_saveexec_b32 s27, s27
	v_mov_b32_e32 v71, 0x7f800001
	s_xor_b32 exec_lo, exec_lo, s27
	s_cbranch_execnz .LBB6_9278
.LBB6_8711:                             ;   in Loop: Header=BB6_8085 Depth=2
	s_or_b32 exec_lo, exec_lo, s27
	s_and_saveexec_b32 s27, s12
	s_cbranch_execz .LBB6_8713
.LBB6_8712:                             ;   in Loop: Header=BB6_8085 Depth=2
	v_and_b32_e32 v71, 7, v46
	v_lshrrev_b16 v57, 3, v46
	v_ffbh_u32_e32 v56, v71
	v_and_b32_e32 v57, 15, v57
	v_min_u32_e32 v56, 32, v56
	v_cmp_eq_u32_e32 vcc_lo, 0, v57
	v_subrev_nc_u32_e32 v58, 28, v56
	v_sub_nc_u32_e32 v56, 29, v56
	v_lshlrev_b32_e32 v58, v58, v46
	v_lshlrev_b32_e32 v46, 24, v46
	v_cndmask_b32_e32 v56, v57, v56, vcc_lo
	v_and_b32_e32 v58, 7, v58
	v_and_b32_e32 v46, 0x80000000, v46
	v_lshl_add_u32 v56, v56, 23, 0x3b800000
	v_cndmask_b32_e32 v71, v71, v58, vcc_lo
	v_lshlrev_b32_e32 v71, 20, v71
	v_or3_b32 v71, v46, v56, v71
.LBB6_8713:                             ;   in Loop: Header=BB6_8085 Depth=2
	s_or_b32 exec_lo, exec_lo, s27
	v_add_f32_e32 v46, v47, v71
	v_and_b32_e32 v71, 0x7f800000, v46
	v_cmp_ne_u32_e32 vcc_lo, 0x7f800000, v71
	v_mov_b32_e32 v71, 0x80
	s_and_saveexec_b32 s27, vcc_lo
	s_cbranch_execz .LBB6_8721
; %bb.8714:                             ;   in Loop: Header=BB6_8085 Depth=2
	v_mov_b32_e32 v71, 0
	s_mov_b32 s28, exec_lo
	v_cmpx_ne_u32_e32 0, v46
	s_cbranch_execz .LBB6_8720
; %bb.8715:                             ;   in Loop: Header=BB6_8085 Depth=2
	v_bfe_u32 v71, v46, 23, 8
	v_and_b32_e32 v47, 0x7fffff, v46
	v_sub_nc_u32_e32 v56, 0x78, v71
	v_cmp_gt_u32_e32 vcc_lo, 0x79, v71
	v_or_b32_e32 v57, 0x800000, v47
	v_cndmask_b32_e32 v56, 0, v56, vcc_lo
	v_cmp_eq_u32_e32 vcc_lo, 0, v71
	v_add_nc_u32_e32 v71, 0xffffff89, v71
	v_cndmask_b32_e64 v56, v56, 0x77, vcc_lo
	v_cndmask_b32_e32 v47, v57, v47, vcc_lo
	v_cndmask_b32_e64 v71, v71, 0xffffff8a, vcc_lo
	v_lshl_add_u32 v57, 0x100000, v56, -1
	v_lshrrev_b32_e32 v58, v56, v47
	v_lshlrev_b32_e64 v60, v56, 0x80000
	v_add_nc_u32_e32 v56, v56, v71
	v_and_b32_e32 v47, v57, v47
	v_bfe_u32 v59, v58, 20, 1
	v_cmp_eq_u32_e64 s12, v47, v60
	v_add_nc_u32_e32 v57, -1, v59
	v_cndmask_b32_e64 v47, 0, v57, s12
	v_lshrrev_b32_e32 v57, 23, v58
	s_mov_b32 s12, exec_lo
	v_add_nc_u32_e32 v47, v47, v58
	v_xor_b32_e32 v57, 1, v57
	v_and_b32_e32 v71, 0xfffff, v47
	v_add_nc_u32_e32 v47, v71, v58
                                        ; implicit-def: $vgpr71
	v_cmpx_ne_u32_e64 v56, v57
	s_xor_b32 s12, exec_lo, s12
; %bb.8716:                             ;   in Loop: Header=BB6_8085 Depth=2
	v_cmp_lt_u32_e32 vcc_lo, 0xffffff, v47
	v_sub_nc_u32_e32 v71, v56, v57
	v_cndmask_b32_e64 v56, 0, 1, vcc_lo
	v_add_co_ci_u32_e64 v71, null, 0, v71, vcc_lo
	v_lshrrev_b32_e32 v47, v56, v47
; %bb.8717:                             ;   in Loop: Header=BB6_8085 Depth=2
	s_andn2_saveexec_b32 s12, s12
; %bb.8718:                             ;   in Loop: Header=BB6_8085 Depth=2
	v_bfe_u32 v71, v47, 23, 1
; %bb.8719:                             ;   in Loop: Header=BB6_8085 Depth=2
	s_or_b32 exec_lo, exec_lo, s12
	v_lshrrev_b32_e32 v47, 20, v47
	v_cmp_gt_i32_e32 vcc_lo, 16, v71
	v_min_i32_e32 v56, 15, v71
	v_and_b32_sdwa v46, v46, v102 dst_sel:DWORD dst_unused:UNUSED_PAD src0_sel:BYTE_3 src1_sel:DWORD
	v_cndmask_b32_e32 v47, 7, v47, vcc_lo
	v_lshlrev_b32_e32 v56, 3, v56
	v_and_b32_e32 v57, 7, v47
	v_or_b32_e32 v71, v71, v47
	v_or3_b32 v46, v56, v46, v57
	v_cmp_ne_u32_e32 vcc_lo, 0, v71
	v_cndmask_b32_e32 v71, 0, v46, vcc_lo
.LBB6_8720:                             ;   in Loop: Header=BB6_8085 Depth=2
	s_or_b32 exec_lo, exec_lo, s28
.LBB6_8721:                             ;   in Loop: Header=BB6_8085 Depth=2
	s_or_b32 exec_lo, exec_lo, s27
	v_cmp_gt_i16_sdwa s27, v70, v101 src0_sel:BYTE_0 src1_sel:DWORD
	s_mov_b32 s12, 0
	s_and_saveexec_b32 s28, s27
	s_xor_b32 s27, exec_lo, s28
	s_cbranch_execz .LBB6_9279
; %bb.8722:                             ;   in Loop: Header=BB6_8085 Depth=2
	v_cmp_eq_u16_sdwa s29, v70, v102 src0_sel:BYTE_0 src1_sel:DWORD
	s_mov_b32 s12, -1
	s_and_saveexec_b32 s28, s29
; %bb.8723:                             ;   in Loop: Header=BB6_8085 Depth=2
	s_xor_b32 s12, exec_lo, -1
; %bb.8724:                             ;   in Loop: Header=BB6_8085 Depth=2
	s_or_b32 exec_lo, exec_lo, s28
	s_and_b32 s12, s12, exec_lo
	s_or_saveexec_b32 s27, s27
	v_mov_b32_e32 v46, 0x7f800001
	s_xor_b32 exec_lo, exec_lo, s27
	s_cbranch_execnz .LBB6_9280
.LBB6_8725:                             ;   in Loop: Header=BB6_8085 Depth=2
	s_or_b32 exec_lo, exec_lo, s27
	s_and_saveexec_b32 s27, s12
	s_cbranch_execz .LBB6_8727
.LBB6_8726:                             ;   in Loop: Header=BB6_8085 Depth=2
	v_and_b32_e32 v46, 7, v70
	v_lshrrev_b16 v56, 3, v70
	v_ffbh_u32_e32 v47, v46
	v_and_b32_e32 v56, 15, v56
	v_min_u32_e32 v47, 32, v47
	v_cmp_eq_u32_e32 vcc_lo, 0, v56
	v_subrev_nc_u32_e32 v57, 28, v47
	v_sub_nc_u32_e32 v47, 29, v47
	v_lshlrev_b32_e32 v57, v57, v70
	v_lshlrev_b32_e32 v70, 24, v70
	v_cndmask_b32_e32 v47, v56, v47, vcc_lo
	v_and_b32_e32 v57, 7, v57
	v_and_b32_e32 v70, 0x80000000, v70
	v_lshl_add_u32 v47, v47, 23, 0x3b800000
	v_cndmask_b32_e32 v46, v46, v57, vcc_lo
	v_lshlrev_b32_e32 v46, 20, v46
	v_or3_b32 v46, v70, v47, v46
.LBB6_8727:                             ;   in Loop: Header=BB6_8085 Depth=2
	s_or_b32 exec_lo, exec_lo, s27
	s_waitcnt vmcnt(22) lgkmcnt(22)
	v_cmp_gt_i16_sdwa s27, v45, v101 src0_sel:BYTE_0 src1_sel:DWORD
	s_mov_b32 s12, 0
	s_and_saveexec_b32 s28, s27
	s_xor_b32 s27, exec_lo, s28
	s_cbranch_execz .LBB6_9281
; %bb.8728:                             ;   in Loop: Header=BB6_8085 Depth=2
	v_cmp_eq_u16_sdwa s29, v45, v102 src0_sel:BYTE_0 src1_sel:DWORD
	s_mov_b32 s12, -1
	s_and_saveexec_b32 s28, s29
; %bb.8729:                             ;   in Loop: Header=BB6_8085 Depth=2
	s_xor_b32 s12, exec_lo, -1
; %bb.8730:                             ;   in Loop: Header=BB6_8085 Depth=2
	s_or_b32 exec_lo, exec_lo, s28
	s_and_b32 s12, s12, exec_lo
	s_or_saveexec_b32 s27, s27
	v_mov_b32_e32 v70, 0x7f800001
	s_xor_b32 exec_lo, exec_lo, s27
	s_cbranch_execnz .LBB6_9282
.LBB6_8731:                             ;   in Loop: Header=BB6_8085 Depth=2
	s_or_b32 exec_lo, exec_lo, s27
	s_and_saveexec_b32 s27, s12
	s_cbranch_execz .LBB6_8733
.LBB6_8732:                             ;   in Loop: Header=BB6_8085 Depth=2
	v_and_b32_e32 v70, 7, v45
	v_lshrrev_b16 v56, 3, v45
	v_ffbh_u32_e32 v47, v70
	v_and_b32_e32 v56, 15, v56
	v_min_u32_e32 v47, 32, v47
	v_cmp_eq_u32_e32 vcc_lo, 0, v56
	v_subrev_nc_u32_e32 v57, 28, v47
	v_sub_nc_u32_e32 v47, 29, v47
	v_lshlrev_b32_e32 v57, v57, v45
	v_lshlrev_b32_e32 v45, 24, v45
	v_cndmask_b32_e32 v47, v56, v47, vcc_lo
	v_and_b32_e32 v57, 7, v57
	v_and_b32_e32 v45, 0x80000000, v45
	v_lshl_add_u32 v47, v47, 23, 0x3b800000
	v_cndmask_b32_e32 v70, v70, v57, vcc_lo
	v_lshlrev_b32_e32 v70, 20, v70
	v_or3_b32 v70, v45, v47, v70
.LBB6_8733:                             ;   in Loop: Header=BB6_8085 Depth=2
	s_or_b32 exec_lo, exec_lo, s27
	v_add_f32_e32 v45, v46, v70
	v_and_b32_e32 v70, 0x7f800000, v45
	v_cmp_ne_u32_e32 vcc_lo, 0x7f800000, v70
	v_mov_b32_e32 v70, 0x80
	s_and_saveexec_b32 s27, vcc_lo
	s_cbranch_execz .LBB6_8741
; %bb.8734:                             ;   in Loop: Header=BB6_8085 Depth=2
	v_mov_b32_e32 v70, 0
	s_mov_b32 s28, exec_lo
	v_cmpx_ne_u32_e32 0, v45
	s_cbranch_execz .LBB6_8740
; %bb.8735:                             ;   in Loop: Header=BB6_8085 Depth=2
	v_bfe_u32 v70, v45, 23, 8
	v_and_b32_e32 v46, 0x7fffff, v45
	v_sub_nc_u32_e32 v47, 0x78, v70
	v_cmp_gt_u32_e32 vcc_lo, 0x79, v70
	v_or_b32_e32 v56, 0x800000, v46
	v_cndmask_b32_e32 v47, 0, v47, vcc_lo
	v_cmp_eq_u32_e32 vcc_lo, 0, v70
	v_add_nc_u32_e32 v70, 0xffffff89, v70
	v_cndmask_b32_e64 v47, v47, 0x77, vcc_lo
	v_cndmask_b32_e32 v46, v56, v46, vcc_lo
	v_cndmask_b32_e64 v70, v70, 0xffffff8a, vcc_lo
	v_lshl_add_u32 v56, 0x100000, v47, -1
	v_lshrrev_b32_e32 v57, v47, v46
	v_lshlrev_b32_e64 v59, v47, 0x80000
	v_add_nc_u32_e32 v47, v47, v70
	v_and_b32_e32 v46, v56, v46
	v_bfe_u32 v58, v57, 20, 1
	v_cmp_eq_u32_e64 s12, v46, v59
	v_add_nc_u32_e32 v56, -1, v58
	v_cndmask_b32_e64 v46, 0, v56, s12
	v_lshrrev_b32_e32 v56, 23, v57
	s_mov_b32 s12, exec_lo
	v_add_nc_u32_e32 v46, v46, v57
	v_xor_b32_e32 v56, 1, v56
	v_and_b32_e32 v70, 0xfffff, v46
	v_add_nc_u32_e32 v46, v70, v57
                                        ; implicit-def: $vgpr70
	v_cmpx_ne_u32_e64 v47, v56
	s_xor_b32 s12, exec_lo, s12
; %bb.8736:                             ;   in Loop: Header=BB6_8085 Depth=2
	v_cmp_lt_u32_e32 vcc_lo, 0xffffff, v46
	v_sub_nc_u32_e32 v70, v47, v56
	v_cndmask_b32_e64 v47, 0, 1, vcc_lo
	v_add_co_ci_u32_e64 v70, null, 0, v70, vcc_lo
	v_lshrrev_b32_e32 v46, v47, v46
; %bb.8737:                             ;   in Loop: Header=BB6_8085 Depth=2
	s_andn2_saveexec_b32 s12, s12
; %bb.8738:                             ;   in Loop: Header=BB6_8085 Depth=2
	v_bfe_u32 v70, v46, 23, 1
; %bb.8739:                             ;   in Loop: Header=BB6_8085 Depth=2
	s_or_b32 exec_lo, exec_lo, s12
	v_lshrrev_b32_e32 v46, 20, v46
	v_cmp_gt_i32_e32 vcc_lo, 16, v70
	v_min_i32_e32 v47, 15, v70
	v_and_b32_sdwa v45, v45, v102 dst_sel:DWORD dst_unused:UNUSED_PAD src0_sel:BYTE_3 src1_sel:DWORD
	v_cndmask_b32_e32 v46, 7, v46, vcc_lo
	v_lshlrev_b32_e32 v47, 3, v47
	v_and_b32_e32 v56, 7, v46
	v_or_b32_e32 v70, v70, v46
	v_or3_b32 v45, v47, v45, v56
	v_cmp_ne_u32_e32 vcc_lo, 0, v70
	v_cndmask_b32_e32 v70, 0, v45, vcc_lo
.LBB6_8740:                             ;   in Loop: Header=BB6_8085 Depth=2
	s_or_b32 exec_lo, exec_lo, s28
.LBB6_8741:                             ;   in Loop: Header=BB6_8085 Depth=2
	s_or_b32 exec_lo, exec_lo, s27
	v_cmp_gt_i16_sdwa s27, v69, v101 src0_sel:BYTE_0 src1_sel:DWORD
	s_mov_b32 s12, 0
	s_and_saveexec_b32 s28, s27
	s_xor_b32 s27, exec_lo, s28
	s_cbranch_execz .LBB6_9283
; %bb.8742:                             ;   in Loop: Header=BB6_8085 Depth=2
	v_cmp_eq_u16_sdwa s29, v69, v102 src0_sel:BYTE_0 src1_sel:DWORD
	s_mov_b32 s12, -1
	s_and_saveexec_b32 s28, s29
; %bb.8743:                             ;   in Loop: Header=BB6_8085 Depth=2
	s_xor_b32 s12, exec_lo, -1
; %bb.8744:                             ;   in Loop: Header=BB6_8085 Depth=2
	s_or_b32 exec_lo, exec_lo, s28
	s_and_b32 s12, s12, exec_lo
	s_or_saveexec_b32 s27, s27
	v_mov_b32_e32 v45, 0x7f800001
	s_xor_b32 exec_lo, exec_lo, s27
	s_cbranch_execnz .LBB6_9284
.LBB6_8745:                             ;   in Loop: Header=BB6_8085 Depth=2
	s_or_b32 exec_lo, exec_lo, s27
	s_and_saveexec_b32 s27, s12
	s_cbranch_execz .LBB6_8747
.LBB6_8746:                             ;   in Loop: Header=BB6_8085 Depth=2
	v_and_b32_e32 v45, 7, v69
	v_lshrrev_b16 v47, 3, v69
	v_ffbh_u32_e32 v46, v45
	v_and_b32_e32 v47, 15, v47
	v_min_u32_e32 v46, 32, v46
	v_cmp_eq_u32_e32 vcc_lo, 0, v47
	v_subrev_nc_u32_e32 v56, 28, v46
	v_sub_nc_u32_e32 v46, 29, v46
	v_lshlrev_b32_e32 v56, v56, v69
	v_lshlrev_b32_e32 v69, 24, v69
	v_cndmask_b32_e32 v46, v47, v46, vcc_lo
	v_and_b32_e32 v56, 7, v56
	v_and_b32_e32 v69, 0x80000000, v69
	v_lshl_add_u32 v46, v46, 23, 0x3b800000
	v_cndmask_b32_e32 v45, v45, v56, vcc_lo
	v_lshlrev_b32_e32 v45, 20, v45
	v_or3_b32 v45, v69, v46, v45
.LBB6_8747:                             ;   in Loop: Header=BB6_8085 Depth=2
	s_or_b32 exec_lo, exec_lo, s27
	s_waitcnt vmcnt(21) lgkmcnt(21)
	v_cmp_gt_i16_sdwa s27, v44, v101 src0_sel:BYTE_0 src1_sel:DWORD
	s_mov_b32 s12, 0
	s_and_saveexec_b32 s28, s27
	s_xor_b32 s27, exec_lo, s28
	s_cbranch_execz .LBB6_9285
; %bb.8748:                             ;   in Loop: Header=BB6_8085 Depth=2
	v_cmp_eq_u16_sdwa s29, v44, v102 src0_sel:BYTE_0 src1_sel:DWORD
	s_mov_b32 s12, -1
	s_and_saveexec_b32 s28, s29
; %bb.8749:                             ;   in Loop: Header=BB6_8085 Depth=2
	s_xor_b32 s12, exec_lo, -1
; %bb.8750:                             ;   in Loop: Header=BB6_8085 Depth=2
	s_or_b32 exec_lo, exec_lo, s28
	s_and_b32 s12, s12, exec_lo
	s_or_saveexec_b32 s27, s27
	v_mov_b32_e32 v69, 0x7f800001
	s_xor_b32 exec_lo, exec_lo, s27
	s_cbranch_execnz .LBB6_9286
.LBB6_8751:                             ;   in Loop: Header=BB6_8085 Depth=2
	s_or_b32 exec_lo, exec_lo, s27
	s_and_saveexec_b32 s27, s12
	s_cbranch_execz .LBB6_8753
.LBB6_8752:                             ;   in Loop: Header=BB6_8085 Depth=2
	v_and_b32_e32 v69, 7, v44
	v_lshrrev_b16 v47, 3, v44
	v_ffbh_u32_e32 v46, v69
	v_and_b32_e32 v47, 15, v47
	v_min_u32_e32 v46, 32, v46
	v_cmp_eq_u32_e32 vcc_lo, 0, v47
	v_subrev_nc_u32_e32 v56, 28, v46
	v_sub_nc_u32_e32 v46, 29, v46
	v_lshlrev_b32_e32 v56, v56, v44
	v_lshlrev_b32_e32 v44, 24, v44
	v_cndmask_b32_e32 v46, v47, v46, vcc_lo
	v_and_b32_e32 v56, 7, v56
	v_and_b32_e32 v44, 0x80000000, v44
	v_lshl_add_u32 v46, v46, 23, 0x3b800000
	v_cndmask_b32_e32 v69, v69, v56, vcc_lo
	v_lshlrev_b32_e32 v69, 20, v69
	v_or3_b32 v69, v44, v46, v69
.LBB6_8753:                             ;   in Loop: Header=BB6_8085 Depth=2
	s_or_b32 exec_lo, exec_lo, s27
	v_add_f32_e32 v44, v45, v69
	v_and_b32_e32 v69, 0x7f800000, v44
	v_cmp_ne_u32_e32 vcc_lo, 0x7f800000, v69
	v_mov_b32_e32 v69, 0x80
	s_and_saveexec_b32 s27, vcc_lo
	s_cbranch_execz .LBB6_8761
; %bb.8754:                             ;   in Loop: Header=BB6_8085 Depth=2
	v_mov_b32_e32 v69, 0
	s_mov_b32 s28, exec_lo
	v_cmpx_ne_u32_e32 0, v44
	s_cbranch_execz .LBB6_8760
; %bb.8755:                             ;   in Loop: Header=BB6_8085 Depth=2
	v_bfe_u32 v69, v44, 23, 8
	v_and_b32_e32 v45, 0x7fffff, v44
	v_sub_nc_u32_e32 v46, 0x78, v69
	v_cmp_gt_u32_e32 vcc_lo, 0x79, v69
	v_or_b32_e32 v47, 0x800000, v45
	v_cndmask_b32_e32 v46, 0, v46, vcc_lo
	v_cmp_eq_u32_e32 vcc_lo, 0, v69
	v_add_nc_u32_e32 v69, 0xffffff89, v69
	v_cndmask_b32_e64 v46, v46, 0x77, vcc_lo
	v_cndmask_b32_e32 v45, v47, v45, vcc_lo
	v_cndmask_b32_e64 v69, v69, 0xffffff8a, vcc_lo
	v_lshl_add_u32 v47, 0x100000, v46, -1
	v_lshrrev_b32_e32 v56, v46, v45
	v_lshlrev_b32_e64 v58, v46, 0x80000
	v_add_nc_u32_e32 v46, v46, v69
	v_and_b32_e32 v45, v47, v45
	v_bfe_u32 v57, v56, 20, 1
	v_cmp_eq_u32_e64 s12, v45, v58
	v_add_nc_u32_e32 v47, -1, v57
	v_cndmask_b32_e64 v45, 0, v47, s12
	v_lshrrev_b32_e32 v47, 23, v56
	s_mov_b32 s12, exec_lo
	v_add_nc_u32_e32 v45, v45, v56
	v_xor_b32_e32 v47, 1, v47
	v_and_b32_e32 v69, 0xfffff, v45
	v_add_nc_u32_e32 v45, v69, v56
                                        ; implicit-def: $vgpr69
	v_cmpx_ne_u32_e64 v46, v47
	s_xor_b32 s12, exec_lo, s12
; %bb.8756:                             ;   in Loop: Header=BB6_8085 Depth=2
	v_cmp_lt_u32_e32 vcc_lo, 0xffffff, v45
	v_sub_nc_u32_e32 v69, v46, v47
	v_cndmask_b32_e64 v46, 0, 1, vcc_lo
	v_add_co_ci_u32_e64 v69, null, 0, v69, vcc_lo
	v_lshrrev_b32_e32 v45, v46, v45
; %bb.8757:                             ;   in Loop: Header=BB6_8085 Depth=2
	s_andn2_saveexec_b32 s12, s12
; %bb.8758:                             ;   in Loop: Header=BB6_8085 Depth=2
	v_bfe_u32 v69, v45, 23, 1
; %bb.8759:                             ;   in Loop: Header=BB6_8085 Depth=2
	s_or_b32 exec_lo, exec_lo, s12
	v_lshrrev_b32_e32 v45, 20, v45
	v_cmp_gt_i32_e32 vcc_lo, 16, v69
	v_min_i32_e32 v46, 15, v69
	v_and_b32_sdwa v44, v44, v102 dst_sel:DWORD dst_unused:UNUSED_PAD src0_sel:BYTE_3 src1_sel:DWORD
	v_cndmask_b32_e32 v45, 7, v45, vcc_lo
	v_lshlrev_b32_e32 v46, 3, v46
	v_and_b32_e32 v47, 7, v45
	v_or_b32_e32 v69, v69, v45
	v_or3_b32 v44, v46, v44, v47
	v_cmp_ne_u32_e32 vcc_lo, 0, v69
	v_cndmask_b32_e32 v69, 0, v44, vcc_lo
.LBB6_8760:                             ;   in Loop: Header=BB6_8085 Depth=2
	s_or_b32 exec_lo, exec_lo, s28
.LBB6_8761:                             ;   in Loop: Header=BB6_8085 Depth=2
	s_or_b32 exec_lo, exec_lo, s27
	v_cmp_gt_i16_sdwa s27, v68, v101 src0_sel:BYTE_0 src1_sel:DWORD
	s_mov_b32 s12, 0
	s_and_saveexec_b32 s28, s27
	s_xor_b32 s27, exec_lo, s28
	s_cbranch_execz .LBB6_9287
; %bb.8762:                             ;   in Loop: Header=BB6_8085 Depth=2
	v_cmp_eq_u16_sdwa s29, v68, v102 src0_sel:BYTE_0 src1_sel:DWORD
	s_mov_b32 s12, -1
	s_and_saveexec_b32 s28, s29
; %bb.8763:                             ;   in Loop: Header=BB6_8085 Depth=2
	s_xor_b32 s12, exec_lo, -1
; %bb.8764:                             ;   in Loop: Header=BB6_8085 Depth=2
	s_or_b32 exec_lo, exec_lo, s28
	s_and_b32 s12, s12, exec_lo
	s_or_saveexec_b32 s27, s27
	v_mov_b32_e32 v44, 0x7f800001
	s_xor_b32 exec_lo, exec_lo, s27
	s_cbranch_execnz .LBB6_9288
.LBB6_8765:                             ;   in Loop: Header=BB6_8085 Depth=2
	s_or_b32 exec_lo, exec_lo, s27
	s_and_saveexec_b32 s27, s12
	s_cbranch_execz .LBB6_8767
.LBB6_8766:                             ;   in Loop: Header=BB6_8085 Depth=2
	v_and_b32_e32 v44, 7, v68
	v_lshrrev_b16 v46, 3, v68
	v_ffbh_u32_e32 v45, v44
	v_and_b32_e32 v46, 15, v46
	v_min_u32_e32 v45, 32, v45
	v_cmp_eq_u32_e32 vcc_lo, 0, v46
	v_subrev_nc_u32_e32 v47, 28, v45
	v_sub_nc_u32_e32 v45, 29, v45
	v_lshlrev_b32_e32 v47, v47, v68
	v_lshlrev_b32_e32 v68, 24, v68
	v_cndmask_b32_e32 v45, v46, v45, vcc_lo
	v_and_b32_e32 v47, 7, v47
	v_and_b32_e32 v68, 0x80000000, v68
	v_lshl_add_u32 v45, v45, 23, 0x3b800000
	v_cndmask_b32_e32 v44, v44, v47, vcc_lo
	v_lshlrev_b32_e32 v44, 20, v44
	v_or3_b32 v44, v68, v45, v44
.LBB6_8767:                             ;   in Loop: Header=BB6_8085 Depth=2
	s_or_b32 exec_lo, exec_lo, s27
	s_waitcnt vmcnt(20) lgkmcnt(20)
	v_cmp_gt_i16_sdwa s27, v43, v101 src0_sel:BYTE_0 src1_sel:DWORD
	s_mov_b32 s12, 0
	s_and_saveexec_b32 s28, s27
	s_xor_b32 s27, exec_lo, s28
	s_cbranch_execz .LBB6_9289
; %bb.8768:                             ;   in Loop: Header=BB6_8085 Depth=2
	v_cmp_eq_u16_sdwa s29, v43, v102 src0_sel:BYTE_0 src1_sel:DWORD
	s_mov_b32 s12, -1
	s_and_saveexec_b32 s28, s29
; %bb.8769:                             ;   in Loop: Header=BB6_8085 Depth=2
	s_xor_b32 s12, exec_lo, -1
; %bb.8770:                             ;   in Loop: Header=BB6_8085 Depth=2
	s_or_b32 exec_lo, exec_lo, s28
	s_and_b32 s12, s12, exec_lo
	s_or_saveexec_b32 s27, s27
	v_mov_b32_e32 v68, 0x7f800001
	s_xor_b32 exec_lo, exec_lo, s27
	s_cbranch_execnz .LBB6_9290
.LBB6_8771:                             ;   in Loop: Header=BB6_8085 Depth=2
	s_or_b32 exec_lo, exec_lo, s27
	s_and_saveexec_b32 s27, s12
	s_cbranch_execz .LBB6_8773
.LBB6_8772:                             ;   in Loop: Header=BB6_8085 Depth=2
	v_and_b32_e32 v68, 7, v43
	v_lshrrev_b16 v46, 3, v43
	v_ffbh_u32_e32 v45, v68
	v_and_b32_e32 v46, 15, v46
	v_min_u32_e32 v45, 32, v45
	v_cmp_eq_u32_e32 vcc_lo, 0, v46
	v_subrev_nc_u32_e32 v47, 28, v45
	v_sub_nc_u32_e32 v45, 29, v45
	v_lshlrev_b32_e32 v47, v47, v43
	v_lshlrev_b32_e32 v43, 24, v43
	v_cndmask_b32_e32 v45, v46, v45, vcc_lo
	v_and_b32_e32 v47, 7, v47
	v_and_b32_e32 v43, 0x80000000, v43
	v_lshl_add_u32 v45, v45, 23, 0x3b800000
	v_cndmask_b32_e32 v68, v68, v47, vcc_lo
	v_lshlrev_b32_e32 v68, 20, v68
	v_or3_b32 v68, v43, v45, v68
.LBB6_8773:                             ;   in Loop: Header=BB6_8085 Depth=2
	s_or_b32 exec_lo, exec_lo, s27
	v_add_f32_e32 v43, v44, v68
	v_and_b32_e32 v68, 0x7f800000, v43
	v_cmp_ne_u32_e32 vcc_lo, 0x7f800000, v68
	v_mov_b32_e32 v68, 0x80
	s_and_saveexec_b32 s27, vcc_lo
	s_cbranch_execz .LBB6_8781
; %bb.8774:                             ;   in Loop: Header=BB6_8085 Depth=2
	v_mov_b32_e32 v68, 0
	s_mov_b32 s28, exec_lo
	v_cmpx_ne_u32_e32 0, v43
	s_cbranch_execz .LBB6_8780
; %bb.8775:                             ;   in Loop: Header=BB6_8085 Depth=2
	v_bfe_u32 v68, v43, 23, 8
	v_and_b32_e32 v44, 0x7fffff, v43
	v_sub_nc_u32_e32 v45, 0x78, v68
	v_cmp_gt_u32_e32 vcc_lo, 0x79, v68
	v_or_b32_e32 v46, 0x800000, v44
	v_cndmask_b32_e32 v45, 0, v45, vcc_lo
	v_cmp_eq_u32_e32 vcc_lo, 0, v68
	v_add_nc_u32_e32 v68, 0xffffff89, v68
	v_cndmask_b32_e64 v45, v45, 0x77, vcc_lo
	v_cndmask_b32_e32 v44, v46, v44, vcc_lo
	v_cndmask_b32_e64 v68, v68, 0xffffff8a, vcc_lo
	v_lshl_add_u32 v46, 0x100000, v45, -1
	v_lshrrev_b32_e32 v47, v45, v44
	v_lshlrev_b32_e64 v57, v45, 0x80000
	v_add_nc_u32_e32 v45, v45, v68
	v_and_b32_e32 v44, v46, v44
	v_bfe_u32 v56, v47, 20, 1
	v_cmp_eq_u32_e64 s12, v44, v57
	v_add_nc_u32_e32 v46, -1, v56
	v_cndmask_b32_e64 v44, 0, v46, s12
	v_lshrrev_b32_e32 v46, 23, v47
	s_mov_b32 s12, exec_lo
	v_add_nc_u32_e32 v44, v44, v47
	v_xor_b32_e32 v46, 1, v46
	v_and_b32_e32 v68, 0xfffff, v44
	v_add_nc_u32_e32 v44, v68, v47
                                        ; implicit-def: $vgpr68
	v_cmpx_ne_u32_e64 v45, v46
	s_xor_b32 s12, exec_lo, s12
; %bb.8776:                             ;   in Loop: Header=BB6_8085 Depth=2
	v_cmp_lt_u32_e32 vcc_lo, 0xffffff, v44
	v_sub_nc_u32_e32 v68, v45, v46
	v_cndmask_b32_e64 v45, 0, 1, vcc_lo
	v_add_co_ci_u32_e64 v68, null, 0, v68, vcc_lo
	v_lshrrev_b32_e32 v44, v45, v44
; %bb.8777:                             ;   in Loop: Header=BB6_8085 Depth=2
	s_andn2_saveexec_b32 s12, s12
; %bb.8778:                             ;   in Loop: Header=BB6_8085 Depth=2
	v_bfe_u32 v68, v44, 23, 1
; %bb.8779:                             ;   in Loop: Header=BB6_8085 Depth=2
	s_or_b32 exec_lo, exec_lo, s12
	v_lshrrev_b32_e32 v44, 20, v44
	v_cmp_gt_i32_e32 vcc_lo, 16, v68
	v_min_i32_e32 v45, 15, v68
	v_and_b32_sdwa v43, v43, v102 dst_sel:DWORD dst_unused:UNUSED_PAD src0_sel:BYTE_3 src1_sel:DWORD
	v_cndmask_b32_e32 v44, 7, v44, vcc_lo
	v_lshlrev_b32_e32 v45, 3, v45
	v_and_b32_e32 v46, 7, v44
	v_or_b32_e32 v68, v68, v44
	v_or3_b32 v43, v45, v43, v46
	v_cmp_ne_u32_e32 vcc_lo, 0, v68
	v_cndmask_b32_e32 v68, 0, v43, vcc_lo
.LBB6_8780:                             ;   in Loop: Header=BB6_8085 Depth=2
	s_or_b32 exec_lo, exec_lo, s28
.LBB6_8781:                             ;   in Loop: Header=BB6_8085 Depth=2
	s_or_b32 exec_lo, exec_lo, s27
	v_cmp_gt_i16_sdwa s27, v65, v101 src0_sel:BYTE_0 src1_sel:DWORD
	s_mov_b32 s12, 0
	s_and_saveexec_b32 s28, s27
	s_xor_b32 s27, exec_lo, s28
	s_cbranch_execz .LBB6_9291
; %bb.8782:                             ;   in Loop: Header=BB6_8085 Depth=2
	v_cmp_eq_u16_sdwa s29, v65, v102 src0_sel:BYTE_0 src1_sel:DWORD
	s_mov_b32 s12, -1
	s_and_saveexec_b32 s28, s29
; %bb.8783:                             ;   in Loop: Header=BB6_8085 Depth=2
	s_xor_b32 s12, exec_lo, -1
; %bb.8784:                             ;   in Loop: Header=BB6_8085 Depth=2
	s_or_b32 exec_lo, exec_lo, s28
	s_and_b32 s12, s12, exec_lo
	s_or_saveexec_b32 s27, s27
	v_mov_b32_e32 v43, 0x7f800001
	s_xor_b32 exec_lo, exec_lo, s27
	s_cbranch_execnz .LBB6_9292
.LBB6_8785:                             ;   in Loop: Header=BB6_8085 Depth=2
	s_or_b32 exec_lo, exec_lo, s27
	s_and_saveexec_b32 s27, s12
	s_cbranch_execz .LBB6_8787
.LBB6_8786:                             ;   in Loop: Header=BB6_8085 Depth=2
	v_and_b32_e32 v43, 7, v65
	v_lshrrev_b16 v45, 3, v65
	v_ffbh_u32_e32 v44, v43
	v_and_b32_e32 v45, 15, v45
	v_min_u32_e32 v44, 32, v44
	v_cmp_eq_u32_e32 vcc_lo, 0, v45
	v_subrev_nc_u32_e32 v46, 28, v44
	v_sub_nc_u32_e32 v44, 29, v44
	v_lshlrev_b32_e32 v46, v46, v65
	v_lshlrev_b32_e32 v65, 24, v65
	v_cndmask_b32_e32 v44, v45, v44, vcc_lo
	v_and_b32_e32 v46, 7, v46
	v_and_b32_e32 v65, 0x80000000, v65
	v_lshl_add_u32 v44, v44, 23, 0x3b800000
	v_cndmask_b32_e32 v43, v43, v46, vcc_lo
	v_lshlrev_b32_e32 v43, 20, v43
	v_or3_b32 v43, v65, v44, v43
.LBB6_8787:                             ;   in Loop: Header=BB6_8085 Depth=2
	s_or_b32 exec_lo, exec_lo, s27
	s_waitcnt vmcnt(19) lgkmcnt(19)
	v_cmp_gt_i16_sdwa s27, v42, v101 src0_sel:BYTE_0 src1_sel:DWORD
	s_mov_b32 s12, 0
	s_and_saveexec_b32 s28, s27
	s_xor_b32 s27, exec_lo, s28
	s_cbranch_execz .LBB6_9293
; %bb.8788:                             ;   in Loop: Header=BB6_8085 Depth=2
	v_cmp_eq_u16_sdwa s29, v42, v102 src0_sel:BYTE_0 src1_sel:DWORD
	s_mov_b32 s12, -1
	s_and_saveexec_b32 s28, s29
; %bb.8789:                             ;   in Loop: Header=BB6_8085 Depth=2
	s_xor_b32 s12, exec_lo, -1
; %bb.8790:                             ;   in Loop: Header=BB6_8085 Depth=2
	s_or_b32 exec_lo, exec_lo, s28
	s_and_b32 s12, s12, exec_lo
	s_or_saveexec_b32 s27, s27
	v_mov_b32_e32 v65, 0x7f800001
	s_xor_b32 exec_lo, exec_lo, s27
	s_cbranch_execnz .LBB6_9294
.LBB6_8791:                             ;   in Loop: Header=BB6_8085 Depth=2
	s_or_b32 exec_lo, exec_lo, s27
	s_and_saveexec_b32 s27, s12
	s_cbranch_execz .LBB6_8793
.LBB6_8792:                             ;   in Loop: Header=BB6_8085 Depth=2
	v_and_b32_e32 v65, 7, v42
	v_lshrrev_b16 v45, 3, v42
	v_ffbh_u32_e32 v44, v65
	v_and_b32_e32 v45, 15, v45
	v_min_u32_e32 v44, 32, v44
	v_cmp_eq_u32_e32 vcc_lo, 0, v45
	v_subrev_nc_u32_e32 v46, 28, v44
	v_sub_nc_u32_e32 v44, 29, v44
	v_lshlrev_b32_e32 v46, v46, v42
	v_lshlrev_b32_e32 v42, 24, v42
	v_cndmask_b32_e32 v44, v45, v44, vcc_lo
	v_and_b32_e32 v46, 7, v46
	v_and_b32_e32 v42, 0x80000000, v42
	v_lshl_add_u32 v44, v44, 23, 0x3b800000
	v_cndmask_b32_e32 v65, v65, v46, vcc_lo
	v_lshlrev_b32_e32 v65, 20, v65
	v_or3_b32 v65, v42, v44, v65
.LBB6_8793:                             ;   in Loop: Header=BB6_8085 Depth=2
	s_or_b32 exec_lo, exec_lo, s27
	v_add_f32_e32 v42, v43, v65
	v_and_b32_e32 v65, 0x7f800000, v42
	v_cmp_ne_u32_e32 vcc_lo, 0x7f800000, v65
	v_mov_b32_e32 v65, 0x80
	s_and_saveexec_b32 s27, vcc_lo
	s_cbranch_execz .LBB6_8801
; %bb.8794:                             ;   in Loop: Header=BB6_8085 Depth=2
	v_mov_b32_e32 v65, 0
	s_mov_b32 s28, exec_lo
	v_cmpx_ne_u32_e32 0, v42
	s_cbranch_execz .LBB6_8800
; %bb.8795:                             ;   in Loop: Header=BB6_8085 Depth=2
	v_bfe_u32 v65, v42, 23, 8
	v_and_b32_e32 v43, 0x7fffff, v42
	v_sub_nc_u32_e32 v44, 0x78, v65
	v_cmp_gt_u32_e32 vcc_lo, 0x79, v65
	v_or_b32_e32 v45, 0x800000, v43
	v_cndmask_b32_e32 v44, 0, v44, vcc_lo
	v_cmp_eq_u32_e32 vcc_lo, 0, v65
	v_add_nc_u32_e32 v65, 0xffffff89, v65
	v_cndmask_b32_e64 v44, v44, 0x77, vcc_lo
	v_cndmask_b32_e32 v43, v45, v43, vcc_lo
	v_cndmask_b32_e64 v65, v65, 0xffffff8a, vcc_lo
	v_lshl_add_u32 v45, 0x100000, v44, -1
	v_lshrrev_b32_e32 v46, v44, v43
	v_lshlrev_b32_e64 v56, v44, 0x80000
	v_add_nc_u32_e32 v44, v44, v65
	v_and_b32_e32 v43, v45, v43
	v_bfe_u32 v47, v46, 20, 1
	v_cmp_eq_u32_e64 s12, v43, v56
	v_add_nc_u32_e32 v45, -1, v47
	v_cndmask_b32_e64 v43, 0, v45, s12
	v_lshrrev_b32_e32 v45, 23, v46
	s_mov_b32 s12, exec_lo
	v_add_nc_u32_e32 v43, v43, v46
	v_xor_b32_e32 v45, 1, v45
	v_and_b32_e32 v65, 0xfffff, v43
	v_add_nc_u32_e32 v43, v65, v46
                                        ; implicit-def: $vgpr65
	v_cmpx_ne_u32_e64 v44, v45
	s_xor_b32 s12, exec_lo, s12
; %bb.8796:                             ;   in Loop: Header=BB6_8085 Depth=2
	v_cmp_lt_u32_e32 vcc_lo, 0xffffff, v43
	v_sub_nc_u32_e32 v65, v44, v45
	v_cndmask_b32_e64 v44, 0, 1, vcc_lo
	v_add_co_ci_u32_e64 v65, null, 0, v65, vcc_lo
	v_lshrrev_b32_e32 v43, v44, v43
; %bb.8797:                             ;   in Loop: Header=BB6_8085 Depth=2
	s_andn2_saveexec_b32 s12, s12
; %bb.8798:                             ;   in Loop: Header=BB6_8085 Depth=2
	v_bfe_u32 v65, v43, 23, 1
; %bb.8799:                             ;   in Loop: Header=BB6_8085 Depth=2
	s_or_b32 exec_lo, exec_lo, s12
	v_lshrrev_b32_e32 v43, 20, v43
	v_cmp_gt_i32_e32 vcc_lo, 16, v65
	v_min_i32_e32 v44, 15, v65
	v_and_b32_sdwa v42, v42, v102 dst_sel:DWORD dst_unused:UNUSED_PAD src0_sel:BYTE_3 src1_sel:DWORD
	v_cndmask_b32_e32 v43, 7, v43, vcc_lo
	v_lshlrev_b32_e32 v44, 3, v44
	v_and_b32_e32 v45, 7, v43
	v_or_b32_e32 v65, v65, v43
	v_or3_b32 v42, v44, v42, v45
	v_cmp_ne_u32_e32 vcc_lo, 0, v65
	v_cndmask_b32_e32 v65, 0, v42, vcc_lo
.LBB6_8800:                             ;   in Loop: Header=BB6_8085 Depth=2
	s_or_b32 exec_lo, exec_lo, s28
.LBB6_8801:                             ;   in Loop: Header=BB6_8085 Depth=2
	s_or_b32 exec_lo, exec_lo, s27
	v_cmp_gt_i16_sdwa s27, v64, v101 src0_sel:BYTE_0 src1_sel:DWORD
	s_mov_b32 s12, 0
	s_and_saveexec_b32 s28, s27
	s_xor_b32 s27, exec_lo, s28
	s_cbranch_execz .LBB6_9295
; %bb.8802:                             ;   in Loop: Header=BB6_8085 Depth=2
	v_cmp_eq_u16_sdwa s29, v64, v102 src0_sel:BYTE_0 src1_sel:DWORD
	s_mov_b32 s12, -1
	s_and_saveexec_b32 s28, s29
; %bb.8803:                             ;   in Loop: Header=BB6_8085 Depth=2
	s_xor_b32 s12, exec_lo, -1
; %bb.8804:                             ;   in Loop: Header=BB6_8085 Depth=2
	s_or_b32 exec_lo, exec_lo, s28
	s_and_b32 s12, s12, exec_lo
	s_or_saveexec_b32 s27, s27
	v_mov_b32_e32 v42, 0x7f800001
	s_xor_b32 exec_lo, exec_lo, s27
	s_cbranch_execnz .LBB6_9296
.LBB6_8805:                             ;   in Loop: Header=BB6_8085 Depth=2
	s_or_b32 exec_lo, exec_lo, s27
	s_and_saveexec_b32 s27, s12
	s_cbranch_execz .LBB6_8807
.LBB6_8806:                             ;   in Loop: Header=BB6_8085 Depth=2
	v_and_b32_e32 v42, 7, v64
	v_lshrrev_b16 v44, 3, v64
	v_ffbh_u32_e32 v43, v42
	v_and_b32_e32 v44, 15, v44
	v_min_u32_e32 v43, 32, v43
	v_cmp_eq_u32_e32 vcc_lo, 0, v44
	v_subrev_nc_u32_e32 v45, 28, v43
	v_sub_nc_u32_e32 v43, 29, v43
	v_lshlrev_b32_e32 v45, v45, v64
	v_lshlrev_b32_e32 v64, 24, v64
	v_cndmask_b32_e32 v43, v44, v43, vcc_lo
	v_and_b32_e32 v45, 7, v45
	v_and_b32_e32 v64, 0x80000000, v64
	v_lshl_add_u32 v43, v43, 23, 0x3b800000
	v_cndmask_b32_e32 v42, v42, v45, vcc_lo
	v_lshlrev_b32_e32 v42, 20, v42
	v_or3_b32 v42, v64, v43, v42
.LBB6_8807:                             ;   in Loop: Header=BB6_8085 Depth=2
	s_or_b32 exec_lo, exec_lo, s27
	s_waitcnt vmcnt(18) lgkmcnt(18)
	v_cmp_gt_i16_sdwa s27, v41, v101 src0_sel:BYTE_0 src1_sel:DWORD
	s_mov_b32 s12, 0
	s_and_saveexec_b32 s28, s27
	s_xor_b32 s27, exec_lo, s28
	s_cbranch_execz .LBB6_9297
; %bb.8808:                             ;   in Loop: Header=BB6_8085 Depth=2
	v_cmp_eq_u16_sdwa s29, v41, v102 src0_sel:BYTE_0 src1_sel:DWORD
	s_mov_b32 s12, -1
	s_and_saveexec_b32 s28, s29
; %bb.8809:                             ;   in Loop: Header=BB6_8085 Depth=2
	s_xor_b32 s12, exec_lo, -1
; %bb.8810:                             ;   in Loop: Header=BB6_8085 Depth=2
	s_or_b32 exec_lo, exec_lo, s28
	s_and_b32 s12, s12, exec_lo
	s_or_saveexec_b32 s27, s27
	v_mov_b32_e32 v64, 0x7f800001
	s_xor_b32 exec_lo, exec_lo, s27
	s_cbranch_execnz .LBB6_9298
.LBB6_8811:                             ;   in Loop: Header=BB6_8085 Depth=2
	s_or_b32 exec_lo, exec_lo, s27
	s_and_saveexec_b32 s27, s12
	s_cbranch_execz .LBB6_8813
.LBB6_8812:                             ;   in Loop: Header=BB6_8085 Depth=2
	v_and_b32_e32 v64, 7, v41
	v_lshrrev_b16 v44, 3, v41
	v_ffbh_u32_e32 v43, v64
	v_and_b32_e32 v44, 15, v44
	v_min_u32_e32 v43, 32, v43
	v_cmp_eq_u32_e32 vcc_lo, 0, v44
	v_subrev_nc_u32_e32 v45, 28, v43
	v_sub_nc_u32_e32 v43, 29, v43
	v_lshlrev_b32_e32 v45, v45, v41
	v_lshlrev_b32_e32 v41, 24, v41
	v_cndmask_b32_e32 v43, v44, v43, vcc_lo
	v_and_b32_e32 v45, 7, v45
	v_and_b32_e32 v41, 0x80000000, v41
	v_lshl_add_u32 v43, v43, 23, 0x3b800000
	v_cndmask_b32_e32 v64, v64, v45, vcc_lo
	v_lshlrev_b32_e32 v64, 20, v64
	v_or3_b32 v64, v41, v43, v64
.LBB6_8813:                             ;   in Loop: Header=BB6_8085 Depth=2
	s_or_b32 exec_lo, exec_lo, s27
	v_add_f32_e32 v41, v42, v64
	v_and_b32_e32 v64, 0x7f800000, v41
	v_cmp_ne_u32_e32 vcc_lo, 0x7f800000, v64
	v_mov_b32_e32 v64, 0x80
	s_and_saveexec_b32 s27, vcc_lo
	s_cbranch_execz .LBB6_8821
; %bb.8814:                             ;   in Loop: Header=BB6_8085 Depth=2
	v_mov_b32_e32 v64, 0
	s_mov_b32 s28, exec_lo
	v_cmpx_ne_u32_e32 0, v41
	s_cbranch_execz .LBB6_8820
; %bb.8815:                             ;   in Loop: Header=BB6_8085 Depth=2
	v_bfe_u32 v64, v41, 23, 8
	v_and_b32_e32 v42, 0x7fffff, v41
	v_sub_nc_u32_e32 v43, 0x78, v64
	v_cmp_gt_u32_e32 vcc_lo, 0x79, v64
	v_or_b32_e32 v44, 0x800000, v42
	v_cndmask_b32_e32 v43, 0, v43, vcc_lo
	v_cmp_eq_u32_e32 vcc_lo, 0, v64
	v_add_nc_u32_e32 v64, 0xffffff89, v64
	v_cndmask_b32_e64 v43, v43, 0x77, vcc_lo
	v_cndmask_b32_e32 v42, v44, v42, vcc_lo
	v_cndmask_b32_e64 v64, v64, 0xffffff8a, vcc_lo
	v_lshl_add_u32 v44, 0x100000, v43, -1
	v_lshrrev_b32_e32 v45, v43, v42
	v_lshlrev_b32_e64 v47, v43, 0x80000
	v_add_nc_u32_e32 v43, v43, v64
	v_and_b32_e32 v42, v44, v42
	v_bfe_u32 v46, v45, 20, 1
	v_cmp_eq_u32_e64 s12, v42, v47
	v_add_nc_u32_e32 v44, -1, v46
	v_cndmask_b32_e64 v42, 0, v44, s12
	v_lshrrev_b32_e32 v44, 23, v45
	s_mov_b32 s12, exec_lo
	v_add_nc_u32_e32 v42, v42, v45
	v_xor_b32_e32 v44, 1, v44
	v_and_b32_e32 v64, 0xfffff, v42
	v_add_nc_u32_e32 v42, v64, v45
                                        ; implicit-def: $vgpr64
	v_cmpx_ne_u32_e64 v43, v44
	s_xor_b32 s12, exec_lo, s12
; %bb.8816:                             ;   in Loop: Header=BB6_8085 Depth=2
	v_cmp_lt_u32_e32 vcc_lo, 0xffffff, v42
	v_sub_nc_u32_e32 v64, v43, v44
	v_cndmask_b32_e64 v43, 0, 1, vcc_lo
	v_add_co_ci_u32_e64 v64, null, 0, v64, vcc_lo
	v_lshrrev_b32_e32 v42, v43, v42
; %bb.8817:                             ;   in Loop: Header=BB6_8085 Depth=2
	s_andn2_saveexec_b32 s12, s12
; %bb.8818:                             ;   in Loop: Header=BB6_8085 Depth=2
	v_bfe_u32 v64, v42, 23, 1
; %bb.8819:                             ;   in Loop: Header=BB6_8085 Depth=2
	s_or_b32 exec_lo, exec_lo, s12
	v_lshrrev_b32_e32 v42, 20, v42
	v_cmp_gt_i32_e32 vcc_lo, 16, v64
	v_min_i32_e32 v43, 15, v64
	v_and_b32_sdwa v41, v41, v102 dst_sel:DWORD dst_unused:UNUSED_PAD src0_sel:BYTE_3 src1_sel:DWORD
	v_cndmask_b32_e32 v42, 7, v42, vcc_lo
	v_lshlrev_b32_e32 v43, 3, v43
	v_and_b32_e32 v44, 7, v42
	v_or_b32_e32 v64, v64, v42
	v_or3_b32 v41, v43, v41, v44
	v_cmp_ne_u32_e32 vcc_lo, 0, v64
	v_cndmask_b32_e32 v64, 0, v41, vcc_lo
.LBB6_8820:                             ;   in Loop: Header=BB6_8085 Depth=2
	s_or_b32 exec_lo, exec_lo, s28
.LBB6_8821:                             ;   in Loop: Header=BB6_8085 Depth=2
	s_or_b32 exec_lo, exec_lo, s27
	v_cmp_gt_i16_sdwa s27, v49, v101 src0_sel:BYTE_0 src1_sel:DWORD
	s_mov_b32 s12, 0
	s_and_saveexec_b32 s28, s27
	s_xor_b32 s27, exec_lo, s28
	s_cbranch_execz .LBB6_9299
; %bb.8822:                             ;   in Loop: Header=BB6_8085 Depth=2
	v_cmp_eq_u16_sdwa s29, v49, v102 src0_sel:BYTE_0 src1_sel:DWORD
	s_mov_b32 s12, -1
	s_and_saveexec_b32 s28, s29
; %bb.8823:                             ;   in Loop: Header=BB6_8085 Depth=2
	s_xor_b32 s12, exec_lo, -1
; %bb.8824:                             ;   in Loop: Header=BB6_8085 Depth=2
	s_or_b32 exec_lo, exec_lo, s28
	s_and_b32 s12, s12, exec_lo
	s_or_saveexec_b32 s27, s27
	v_mov_b32_e32 v41, 0x7f800001
	s_xor_b32 exec_lo, exec_lo, s27
	s_cbranch_execnz .LBB6_9300
.LBB6_8825:                             ;   in Loop: Header=BB6_8085 Depth=2
	s_or_b32 exec_lo, exec_lo, s27
	s_and_saveexec_b32 s27, s12
	s_cbranch_execz .LBB6_8827
.LBB6_8826:                             ;   in Loop: Header=BB6_8085 Depth=2
	v_and_b32_e32 v41, 7, v49
	v_lshrrev_b16 v43, 3, v49
	v_ffbh_u32_e32 v42, v41
	v_and_b32_e32 v43, 15, v43
	v_min_u32_e32 v42, 32, v42
	v_cmp_eq_u32_e32 vcc_lo, 0, v43
	v_subrev_nc_u32_e32 v44, 28, v42
	v_sub_nc_u32_e32 v42, 29, v42
	v_lshlrev_b32_e32 v44, v44, v49
	v_lshlrev_b32_e32 v49, 24, v49
	v_cndmask_b32_e32 v42, v43, v42, vcc_lo
	v_and_b32_e32 v44, 7, v44
	v_and_b32_e32 v49, 0x80000000, v49
	v_lshl_add_u32 v42, v42, 23, 0x3b800000
	v_cndmask_b32_e32 v41, v41, v44, vcc_lo
	v_lshlrev_b32_e32 v41, 20, v41
	v_or3_b32 v41, v49, v42, v41
.LBB6_8827:                             ;   in Loop: Header=BB6_8085 Depth=2
	s_or_b32 exec_lo, exec_lo, s27
	s_waitcnt vmcnt(17) lgkmcnt(17)
	v_cmp_gt_i16_sdwa s27, v40, v101 src0_sel:BYTE_0 src1_sel:DWORD
	s_mov_b32 s12, 0
	s_and_saveexec_b32 s28, s27
	s_xor_b32 s27, exec_lo, s28
	s_cbranch_execz .LBB6_9301
; %bb.8828:                             ;   in Loop: Header=BB6_8085 Depth=2
	v_cmp_eq_u16_sdwa s29, v40, v102 src0_sel:BYTE_0 src1_sel:DWORD
	s_mov_b32 s12, -1
	s_and_saveexec_b32 s28, s29
; %bb.8829:                             ;   in Loop: Header=BB6_8085 Depth=2
	s_xor_b32 s12, exec_lo, -1
; %bb.8830:                             ;   in Loop: Header=BB6_8085 Depth=2
	s_or_b32 exec_lo, exec_lo, s28
	s_and_b32 s12, s12, exec_lo
	s_or_saveexec_b32 s27, s27
	v_mov_b32_e32 v49, 0x7f800001
	s_xor_b32 exec_lo, exec_lo, s27
	s_cbranch_execnz .LBB6_9302
.LBB6_8831:                             ;   in Loop: Header=BB6_8085 Depth=2
	s_or_b32 exec_lo, exec_lo, s27
	s_and_saveexec_b32 s27, s12
	s_cbranch_execz .LBB6_8833
.LBB6_8832:                             ;   in Loop: Header=BB6_8085 Depth=2
	v_and_b32_e32 v49, 7, v40
	v_lshrrev_b16 v43, 3, v40
	v_ffbh_u32_e32 v42, v49
	v_and_b32_e32 v43, 15, v43
	v_min_u32_e32 v42, 32, v42
	v_cmp_eq_u32_e32 vcc_lo, 0, v43
	v_subrev_nc_u32_e32 v44, 28, v42
	v_sub_nc_u32_e32 v42, 29, v42
	v_lshlrev_b32_e32 v44, v44, v40
	v_lshlrev_b32_e32 v40, 24, v40
	v_cndmask_b32_e32 v42, v43, v42, vcc_lo
	v_and_b32_e32 v44, 7, v44
	v_and_b32_e32 v40, 0x80000000, v40
	v_lshl_add_u32 v42, v42, 23, 0x3b800000
	v_cndmask_b32_e32 v49, v49, v44, vcc_lo
	v_lshlrev_b32_e32 v49, 20, v49
	v_or3_b32 v49, v40, v42, v49
.LBB6_8833:                             ;   in Loop: Header=BB6_8085 Depth=2
	s_or_b32 exec_lo, exec_lo, s27
	v_add_f32_e32 v40, v41, v49
	v_and_b32_e32 v49, 0x7f800000, v40
	v_cmp_ne_u32_e32 vcc_lo, 0x7f800000, v49
	v_mov_b32_e32 v49, 0x80
	s_and_saveexec_b32 s27, vcc_lo
	s_cbranch_execz .LBB6_8841
; %bb.8834:                             ;   in Loop: Header=BB6_8085 Depth=2
	v_mov_b32_e32 v49, 0
	s_mov_b32 s28, exec_lo
	v_cmpx_ne_u32_e32 0, v40
	s_cbranch_execz .LBB6_8840
; %bb.8835:                             ;   in Loop: Header=BB6_8085 Depth=2
	v_bfe_u32 v49, v40, 23, 8
	v_and_b32_e32 v41, 0x7fffff, v40
	v_sub_nc_u32_e32 v42, 0x78, v49
	v_cmp_gt_u32_e32 vcc_lo, 0x79, v49
	v_or_b32_e32 v43, 0x800000, v41
	v_cndmask_b32_e32 v42, 0, v42, vcc_lo
	v_cmp_eq_u32_e32 vcc_lo, 0, v49
	v_add_nc_u32_e32 v49, 0xffffff89, v49
	v_cndmask_b32_e64 v42, v42, 0x77, vcc_lo
	v_cndmask_b32_e32 v41, v43, v41, vcc_lo
	v_cndmask_b32_e64 v49, v49, 0xffffff8a, vcc_lo
	v_lshl_add_u32 v43, 0x100000, v42, -1
	v_lshrrev_b32_e32 v44, v42, v41
	v_lshlrev_b32_e64 v46, v42, 0x80000
	v_add_nc_u32_e32 v42, v42, v49
	v_and_b32_e32 v41, v43, v41
	v_bfe_u32 v45, v44, 20, 1
	v_cmp_eq_u32_e64 s12, v41, v46
	v_add_nc_u32_e32 v43, -1, v45
	v_cndmask_b32_e64 v41, 0, v43, s12
	v_lshrrev_b32_e32 v43, 23, v44
	s_mov_b32 s12, exec_lo
	v_add_nc_u32_e32 v41, v41, v44
	v_xor_b32_e32 v43, 1, v43
	v_and_b32_e32 v49, 0xfffff, v41
	v_add_nc_u32_e32 v41, v49, v44
                                        ; implicit-def: $vgpr49
	v_cmpx_ne_u32_e64 v42, v43
	s_xor_b32 s12, exec_lo, s12
; %bb.8836:                             ;   in Loop: Header=BB6_8085 Depth=2
	v_cmp_lt_u32_e32 vcc_lo, 0xffffff, v41
	v_sub_nc_u32_e32 v49, v42, v43
	v_cndmask_b32_e64 v42, 0, 1, vcc_lo
	v_add_co_ci_u32_e64 v49, null, 0, v49, vcc_lo
	v_lshrrev_b32_e32 v41, v42, v41
; %bb.8837:                             ;   in Loop: Header=BB6_8085 Depth=2
	s_andn2_saveexec_b32 s12, s12
; %bb.8838:                             ;   in Loop: Header=BB6_8085 Depth=2
	v_bfe_u32 v49, v41, 23, 1
; %bb.8839:                             ;   in Loop: Header=BB6_8085 Depth=2
	s_or_b32 exec_lo, exec_lo, s12
	v_lshrrev_b32_e32 v41, 20, v41
	v_cmp_gt_i32_e32 vcc_lo, 16, v49
	v_min_i32_e32 v42, 15, v49
	v_and_b32_sdwa v40, v40, v102 dst_sel:DWORD dst_unused:UNUSED_PAD src0_sel:BYTE_3 src1_sel:DWORD
	v_cndmask_b32_e32 v41, 7, v41, vcc_lo
	v_lshlrev_b32_e32 v42, 3, v42
	v_and_b32_e32 v43, 7, v41
	v_or_b32_e32 v49, v49, v41
	v_or3_b32 v40, v42, v40, v43
	v_cmp_ne_u32_e32 vcc_lo, 0, v49
	v_cndmask_b32_e32 v49, 0, v40, vcc_lo
.LBB6_8840:                             ;   in Loop: Header=BB6_8085 Depth=2
	s_or_b32 exec_lo, exec_lo, s28
.LBB6_8841:                             ;   in Loop: Header=BB6_8085 Depth=2
	s_or_b32 exec_lo, exec_lo, s27
	v_cmp_gt_i16_sdwa s27, v36, v101 src0_sel:BYTE_0 src1_sel:DWORD
	s_mov_b32 s12, 0
	s_and_saveexec_b32 s28, s27
	s_xor_b32 s27, exec_lo, s28
	s_cbranch_execz .LBB6_9303
; %bb.8842:                             ;   in Loop: Header=BB6_8085 Depth=2
	v_cmp_eq_u16_sdwa s29, v36, v102 src0_sel:BYTE_0 src1_sel:DWORD
	s_mov_b32 s12, -1
	s_and_saveexec_b32 s28, s29
; %bb.8843:                             ;   in Loop: Header=BB6_8085 Depth=2
	s_xor_b32 s12, exec_lo, -1
; %bb.8844:                             ;   in Loop: Header=BB6_8085 Depth=2
	s_or_b32 exec_lo, exec_lo, s28
	s_and_b32 s12, s12, exec_lo
	s_or_saveexec_b32 s27, s27
	v_mov_b32_e32 v40, 0x7f800001
	s_xor_b32 exec_lo, exec_lo, s27
	s_cbranch_execnz .LBB6_9304
.LBB6_8845:                             ;   in Loop: Header=BB6_8085 Depth=2
	s_or_b32 exec_lo, exec_lo, s27
	s_and_saveexec_b32 s27, s12
	s_cbranch_execz .LBB6_8847
.LBB6_8846:                             ;   in Loop: Header=BB6_8085 Depth=2
	v_and_b32_e32 v40, 7, v36
	v_lshrrev_b16 v42, 3, v36
	v_ffbh_u32_e32 v41, v40
	v_and_b32_e32 v42, 15, v42
	v_min_u32_e32 v41, 32, v41
	v_cmp_eq_u32_e32 vcc_lo, 0, v42
	v_subrev_nc_u32_e32 v43, 28, v41
	v_sub_nc_u32_e32 v41, 29, v41
	v_lshlrev_b32_e32 v43, v43, v36
	v_lshlrev_b32_e32 v36, 24, v36
	v_cndmask_b32_e32 v41, v42, v41, vcc_lo
	v_and_b32_e32 v43, 7, v43
	v_and_b32_e32 v36, 0x80000000, v36
	v_lshl_add_u32 v41, v41, 23, 0x3b800000
	v_cndmask_b32_e32 v40, v40, v43, vcc_lo
	v_lshlrev_b32_e32 v40, 20, v40
	v_or3_b32 v40, v36, v41, v40
.LBB6_8847:                             ;   in Loop: Header=BB6_8085 Depth=2
	s_or_b32 exec_lo, exec_lo, s27
	s_waitcnt vmcnt(16) lgkmcnt(16)
	v_cmp_gt_i16_sdwa s27, v119, v101 src0_sel:BYTE_0 src1_sel:DWORD
	s_mov_b32 s12, 0
	s_and_saveexec_b32 s28, s27
	s_xor_b32 s27, exec_lo, s28
	s_cbranch_execz .LBB6_9305
; %bb.8848:                             ;   in Loop: Header=BB6_8085 Depth=2
	v_cmp_eq_u16_sdwa s29, v119, v102 src0_sel:BYTE_0 src1_sel:DWORD
	s_mov_b32 s12, -1
	s_and_saveexec_b32 s28, s29
; %bb.8849:                             ;   in Loop: Header=BB6_8085 Depth=2
	s_xor_b32 s12, exec_lo, -1
; %bb.8850:                             ;   in Loop: Header=BB6_8085 Depth=2
	s_or_b32 exec_lo, exec_lo, s28
	s_and_b32 s12, s12, exec_lo
	s_or_saveexec_b32 s27, s27
	v_mov_b32_e32 v36, 0x7f800001
	s_xor_b32 exec_lo, exec_lo, s27
	s_cbranch_execnz .LBB6_9306
.LBB6_8851:                             ;   in Loop: Header=BB6_8085 Depth=2
	s_or_b32 exec_lo, exec_lo, s27
	s_and_saveexec_b32 s27, s12
	s_cbranch_execz .LBB6_8853
.LBB6_8852:                             ;   in Loop: Header=BB6_8085 Depth=2
	v_and_b32_e32 v36, 7, v119
	v_lshrrev_b16 v42, 3, v119
	v_ffbh_u32_e32 v41, v36
	v_and_b32_e32 v42, 15, v42
	v_min_u32_e32 v41, 32, v41
	v_cmp_eq_u32_e32 vcc_lo, 0, v42
	v_subrev_nc_u32_e32 v43, 28, v41
	v_sub_nc_u32_e32 v41, 29, v41
	v_lshlrev_b32_e32 v43, v43, v119
	v_lshlrev_b32_e32 v119, 24, v119
	v_cndmask_b32_e32 v41, v42, v41, vcc_lo
	v_and_b32_e32 v43, 7, v43
	v_and_b32_e32 v119, 0x80000000, v119
	v_lshl_add_u32 v41, v41, 23, 0x3b800000
	v_cndmask_b32_e32 v36, v36, v43, vcc_lo
	v_lshlrev_b32_e32 v36, 20, v36
	v_or3_b32 v36, v119, v41, v36
.LBB6_8853:                             ;   in Loop: Header=BB6_8085 Depth=2
	s_or_b32 exec_lo, exec_lo, s27
	v_add_f32_e32 v119, v40, v36
	v_and_b32_e32 v36, 0x7f800000, v119
	v_cmp_ne_u32_e32 vcc_lo, 0x7f800000, v36
	v_mov_b32_e32 v36, 0x80
	s_and_saveexec_b32 s27, vcc_lo
	s_cbranch_execz .LBB6_8861
; %bb.8854:                             ;   in Loop: Header=BB6_8085 Depth=2
	v_mov_b32_e32 v36, 0
	s_mov_b32 s28, exec_lo
	v_cmpx_ne_u32_e32 0, v119
	s_cbranch_execz .LBB6_8860
; %bb.8855:                             ;   in Loop: Header=BB6_8085 Depth=2
	v_bfe_u32 v36, v119, 23, 8
	v_and_b32_e32 v40, 0x7fffff, v119
	v_sub_nc_u32_e32 v41, 0x78, v36
	v_cmp_gt_u32_e32 vcc_lo, 0x79, v36
	v_or_b32_e32 v42, 0x800000, v40
	v_cndmask_b32_e32 v41, 0, v41, vcc_lo
	v_cmp_eq_u32_e32 vcc_lo, 0, v36
	v_add_nc_u32_e32 v36, 0xffffff89, v36
	v_cndmask_b32_e64 v41, v41, 0x77, vcc_lo
	v_cndmask_b32_e32 v40, v42, v40, vcc_lo
	v_cndmask_b32_e64 v36, v36, 0xffffff8a, vcc_lo
	v_lshl_add_u32 v42, 0x100000, v41, -1
	v_lshrrev_b32_e32 v43, v41, v40
	v_lshlrev_b32_e64 v45, v41, 0x80000
	v_add_nc_u32_e32 v41, v41, v36
	v_and_b32_e32 v40, v42, v40
	v_bfe_u32 v44, v43, 20, 1
	v_cmp_eq_u32_e64 s12, v40, v45
	v_add_nc_u32_e32 v42, -1, v44
	v_cndmask_b32_e64 v40, 0, v42, s12
	v_lshrrev_b32_e32 v42, 23, v43
	s_mov_b32 s12, exec_lo
	v_add_nc_u32_e32 v40, v40, v43
	v_xor_b32_e32 v42, 1, v42
	v_and_b32_e32 v36, 0xfffff, v40
	v_add_nc_u32_e32 v40, v36, v43
                                        ; implicit-def: $vgpr36
	v_cmpx_ne_u32_e64 v41, v42
	s_xor_b32 s12, exec_lo, s12
; %bb.8856:                             ;   in Loop: Header=BB6_8085 Depth=2
	v_cmp_lt_u32_e32 vcc_lo, 0xffffff, v40
	v_sub_nc_u32_e32 v36, v41, v42
	v_cndmask_b32_e64 v41, 0, 1, vcc_lo
	v_add_co_ci_u32_e64 v36, null, 0, v36, vcc_lo
	v_lshrrev_b32_e32 v40, v41, v40
; %bb.8857:                             ;   in Loop: Header=BB6_8085 Depth=2
	s_andn2_saveexec_b32 s12, s12
; %bb.8858:                             ;   in Loop: Header=BB6_8085 Depth=2
	v_bfe_u32 v36, v40, 23, 1
; %bb.8859:                             ;   in Loop: Header=BB6_8085 Depth=2
	s_or_b32 exec_lo, exec_lo, s12
	v_lshrrev_b32_e32 v40, 20, v40
	v_cmp_gt_i32_e32 vcc_lo, 16, v36
	v_min_i32_e32 v41, 15, v36
	v_and_b32_sdwa v119, v119, v102 dst_sel:DWORD dst_unused:UNUSED_PAD src0_sel:BYTE_3 src1_sel:DWORD
	v_cndmask_b32_e32 v40, 7, v40, vcc_lo
	v_lshlrev_b32_e32 v41, 3, v41
	v_and_b32_e32 v42, 7, v40
	v_or_b32_e32 v36, v36, v40
	v_or3_b32 v119, v41, v119, v42
	v_cmp_ne_u32_e32 vcc_lo, 0, v36
	v_cndmask_b32_e32 v36, 0, v119, vcc_lo
.LBB6_8860:                             ;   in Loop: Header=BB6_8085 Depth=2
	s_or_b32 exec_lo, exec_lo, s28
.LBB6_8861:                             ;   in Loop: Header=BB6_8085 Depth=2
	s_or_b32 exec_lo, exec_lo, s27
	v_cmp_gt_i16_sdwa s27, v35, v101 src0_sel:BYTE_0 src1_sel:DWORD
	s_mov_b32 s12, 0
	s_and_saveexec_b32 s28, s27
	s_xor_b32 s27, exec_lo, s28
	s_cbranch_execz .LBB6_9307
; %bb.8862:                             ;   in Loop: Header=BB6_8085 Depth=2
	v_cmp_eq_u16_sdwa s29, v35, v102 src0_sel:BYTE_0 src1_sel:DWORD
	s_mov_b32 s12, -1
	s_and_saveexec_b32 s28, s29
; %bb.8863:                             ;   in Loop: Header=BB6_8085 Depth=2
	s_xor_b32 s12, exec_lo, -1
; %bb.8864:                             ;   in Loop: Header=BB6_8085 Depth=2
	s_or_b32 exec_lo, exec_lo, s28
	s_and_b32 s12, s12, exec_lo
	s_or_saveexec_b32 s27, s27
	v_mov_b32_e32 v119, 0x7f800001
	s_xor_b32 exec_lo, exec_lo, s27
	s_cbranch_execnz .LBB6_9308
.LBB6_8865:                             ;   in Loop: Header=BB6_8085 Depth=2
	s_or_b32 exec_lo, exec_lo, s27
	s_and_saveexec_b32 s27, s12
	s_cbranch_execz .LBB6_8867
.LBB6_8866:                             ;   in Loop: Header=BB6_8085 Depth=2
	v_and_b32_e32 v119, 7, v35
	v_lshrrev_b16 v41, 3, v35
	v_ffbh_u32_e32 v40, v119
	v_and_b32_e32 v41, 15, v41
	v_min_u32_e32 v40, 32, v40
	v_cmp_eq_u32_e32 vcc_lo, 0, v41
	v_subrev_nc_u32_e32 v42, 28, v40
	v_sub_nc_u32_e32 v40, 29, v40
	v_lshlrev_b32_e32 v42, v42, v35
	v_lshlrev_b32_e32 v35, 24, v35
	v_cndmask_b32_e32 v40, v41, v40, vcc_lo
	v_and_b32_e32 v42, 7, v42
	v_and_b32_e32 v35, 0x80000000, v35
	v_lshl_add_u32 v40, v40, 23, 0x3b800000
	v_cndmask_b32_e32 v119, v119, v42, vcc_lo
	v_lshlrev_b32_e32 v119, 20, v119
	v_or3_b32 v119, v35, v40, v119
.LBB6_8867:                             ;   in Loop: Header=BB6_8085 Depth=2
	s_or_b32 exec_lo, exec_lo, s27
	s_waitcnt vmcnt(15) lgkmcnt(15)
	v_cmp_gt_i16_sdwa s27, v118, v101 src0_sel:BYTE_0 src1_sel:DWORD
	s_mov_b32 s12, 0
	s_and_saveexec_b32 s28, s27
	s_xor_b32 s27, exec_lo, s28
	s_cbranch_execz .LBB6_9309
; %bb.8868:                             ;   in Loop: Header=BB6_8085 Depth=2
	v_cmp_eq_u16_sdwa s29, v118, v102 src0_sel:BYTE_0 src1_sel:DWORD
	s_mov_b32 s12, -1
	s_and_saveexec_b32 s28, s29
; %bb.8869:                             ;   in Loop: Header=BB6_8085 Depth=2
	s_xor_b32 s12, exec_lo, -1
; %bb.8870:                             ;   in Loop: Header=BB6_8085 Depth=2
	s_or_b32 exec_lo, exec_lo, s28
	s_and_b32 s12, s12, exec_lo
	s_or_saveexec_b32 s27, s27
	v_mov_b32_e32 v35, 0x7f800001
	s_xor_b32 exec_lo, exec_lo, s27
	s_cbranch_execnz .LBB6_9310
.LBB6_8871:                             ;   in Loop: Header=BB6_8085 Depth=2
	s_or_b32 exec_lo, exec_lo, s27
	s_and_saveexec_b32 s27, s12
	s_cbranch_execz .LBB6_8873
.LBB6_8872:                             ;   in Loop: Header=BB6_8085 Depth=2
	v_and_b32_e32 v35, 7, v118
	v_lshrrev_b16 v41, 3, v118
	v_ffbh_u32_e32 v40, v35
	v_and_b32_e32 v41, 15, v41
	v_min_u32_e32 v40, 32, v40
	v_cmp_eq_u32_e32 vcc_lo, 0, v41
	v_subrev_nc_u32_e32 v42, 28, v40
	v_sub_nc_u32_e32 v40, 29, v40
	v_lshlrev_b32_e32 v42, v42, v118
	v_lshlrev_b32_e32 v118, 24, v118
	v_cndmask_b32_e32 v40, v41, v40, vcc_lo
	v_and_b32_e32 v42, 7, v42
	v_and_b32_e32 v118, 0x80000000, v118
	v_lshl_add_u32 v40, v40, 23, 0x3b800000
	v_cndmask_b32_e32 v35, v35, v42, vcc_lo
	v_lshlrev_b32_e32 v35, 20, v35
	v_or3_b32 v35, v118, v40, v35
.LBB6_8873:                             ;   in Loop: Header=BB6_8085 Depth=2
	s_or_b32 exec_lo, exec_lo, s27
	v_add_f32_e32 v118, v119, v35
	v_and_b32_e32 v35, 0x7f800000, v118
	v_cmp_ne_u32_e32 vcc_lo, 0x7f800000, v35
	v_mov_b32_e32 v35, 0x80
	s_and_saveexec_b32 s27, vcc_lo
	s_cbranch_execz .LBB6_8881
; %bb.8874:                             ;   in Loop: Header=BB6_8085 Depth=2
	v_mov_b32_e32 v35, 0
	s_mov_b32 s28, exec_lo
	v_cmpx_ne_u32_e32 0, v118
	s_cbranch_execz .LBB6_8880
; %bb.8875:                             ;   in Loop: Header=BB6_8085 Depth=2
	v_bfe_u32 v35, v118, 23, 8
	v_and_b32_e32 v119, 0x7fffff, v118
	v_sub_nc_u32_e32 v40, 0x78, v35
	v_cmp_gt_u32_e32 vcc_lo, 0x79, v35
	v_or_b32_e32 v41, 0x800000, v119
	v_cndmask_b32_e32 v40, 0, v40, vcc_lo
	v_cmp_eq_u32_e32 vcc_lo, 0, v35
	v_add_nc_u32_e32 v35, 0xffffff89, v35
	v_cndmask_b32_e64 v40, v40, 0x77, vcc_lo
	v_cndmask_b32_e32 v119, v41, v119, vcc_lo
	v_cndmask_b32_e64 v35, v35, 0xffffff8a, vcc_lo
	v_lshl_add_u32 v41, 0x100000, v40, -1
	v_lshrrev_b32_e32 v42, v40, v119
	v_lshlrev_b32_e64 v44, v40, 0x80000
	v_add_nc_u32_e32 v40, v40, v35
	v_and_b32_e32 v119, v41, v119
	v_bfe_u32 v43, v42, 20, 1
	v_cmp_eq_u32_e64 s12, v119, v44
	v_add_nc_u32_e32 v41, -1, v43
	v_cndmask_b32_e64 v119, 0, v41, s12
	v_lshrrev_b32_e32 v41, 23, v42
	s_mov_b32 s12, exec_lo
	v_add_nc_u32_e32 v119, v119, v42
	v_xor_b32_e32 v41, 1, v41
	v_and_b32_e32 v35, 0xfffff, v119
	v_add_nc_u32_e32 v119, v35, v42
                                        ; implicit-def: $vgpr35
	v_cmpx_ne_u32_e64 v40, v41
	s_xor_b32 s12, exec_lo, s12
; %bb.8876:                             ;   in Loop: Header=BB6_8085 Depth=2
	v_cmp_lt_u32_e32 vcc_lo, 0xffffff, v119
	v_sub_nc_u32_e32 v35, v40, v41
	v_cndmask_b32_e64 v40, 0, 1, vcc_lo
	v_add_co_ci_u32_e64 v35, null, 0, v35, vcc_lo
	v_lshrrev_b32_e32 v119, v40, v119
; %bb.8877:                             ;   in Loop: Header=BB6_8085 Depth=2
	s_andn2_saveexec_b32 s12, s12
; %bb.8878:                             ;   in Loop: Header=BB6_8085 Depth=2
	v_bfe_u32 v35, v119, 23, 1
; %bb.8879:                             ;   in Loop: Header=BB6_8085 Depth=2
	s_or_b32 exec_lo, exec_lo, s12
	v_lshrrev_b32_e32 v119, 20, v119
	v_cmp_gt_i32_e32 vcc_lo, 16, v35
	v_min_i32_e32 v40, 15, v35
	v_and_b32_sdwa v118, v118, v102 dst_sel:DWORD dst_unused:UNUSED_PAD src0_sel:BYTE_3 src1_sel:DWORD
	v_cndmask_b32_e32 v119, 7, v119, vcc_lo
	v_lshlrev_b32_e32 v40, 3, v40
	v_and_b32_e32 v41, 7, v119
	v_or_b32_e32 v35, v35, v119
	v_or3_b32 v118, v40, v118, v41
	v_cmp_ne_u32_e32 vcc_lo, 0, v35
	v_cndmask_b32_e32 v35, 0, v118, vcc_lo
.LBB6_8880:                             ;   in Loop: Header=BB6_8085 Depth=2
	s_or_b32 exec_lo, exec_lo, s28
.LBB6_8881:                             ;   in Loop: Header=BB6_8085 Depth=2
	s_or_b32 exec_lo, exec_lo, s27
	v_cmp_gt_i16_sdwa s27, v34, v101 src0_sel:BYTE_0 src1_sel:DWORD
	s_mov_b32 s12, 0
	s_and_saveexec_b32 s28, s27
	s_xor_b32 s27, exec_lo, s28
	s_cbranch_execz .LBB6_9311
; %bb.8882:                             ;   in Loop: Header=BB6_8085 Depth=2
	v_cmp_eq_u16_sdwa s29, v34, v102 src0_sel:BYTE_0 src1_sel:DWORD
	s_mov_b32 s12, -1
	s_and_saveexec_b32 s28, s29
; %bb.8883:                             ;   in Loop: Header=BB6_8085 Depth=2
	s_xor_b32 s12, exec_lo, -1
; %bb.8884:                             ;   in Loop: Header=BB6_8085 Depth=2
	s_or_b32 exec_lo, exec_lo, s28
	s_and_b32 s12, s12, exec_lo
	s_or_saveexec_b32 s27, s27
	v_mov_b32_e32 v118, 0x7f800001
	s_xor_b32 exec_lo, exec_lo, s27
	s_cbranch_execnz .LBB6_9312
.LBB6_8885:                             ;   in Loop: Header=BB6_8085 Depth=2
	s_or_b32 exec_lo, exec_lo, s27
	s_and_saveexec_b32 s27, s12
	s_cbranch_execz .LBB6_8887
.LBB6_8886:                             ;   in Loop: Header=BB6_8085 Depth=2
	v_and_b32_e32 v118, 7, v34
	v_lshrrev_b16 v40, 3, v34
	v_ffbh_u32_e32 v119, v118
	v_and_b32_e32 v40, 15, v40
	v_min_u32_e32 v119, 32, v119
	v_cmp_eq_u32_e32 vcc_lo, 0, v40
	v_subrev_nc_u32_e32 v41, 28, v119
	v_sub_nc_u32_e32 v119, 29, v119
	v_lshlrev_b32_e32 v41, v41, v34
	v_lshlrev_b32_e32 v34, 24, v34
	v_cndmask_b32_e32 v119, v40, v119, vcc_lo
	v_and_b32_e32 v41, 7, v41
	v_and_b32_e32 v34, 0x80000000, v34
	v_lshl_add_u32 v119, v119, 23, 0x3b800000
	v_cndmask_b32_e32 v118, v118, v41, vcc_lo
	v_lshlrev_b32_e32 v118, 20, v118
	v_or3_b32 v118, v34, v119, v118
.LBB6_8887:                             ;   in Loop: Header=BB6_8085 Depth=2
	s_or_b32 exec_lo, exec_lo, s27
	s_waitcnt vmcnt(14) lgkmcnt(14)
	v_cmp_gt_i16_sdwa s27, v117, v101 src0_sel:BYTE_0 src1_sel:DWORD
	s_mov_b32 s12, 0
	s_and_saveexec_b32 s28, s27
	s_xor_b32 s27, exec_lo, s28
	s_cbranch_execz .LBB6_9313
; %bb.8888:                             ;   in Loop: Header=BB6_8085 Depth=2
	v_cmp_eq_u16_sdwa s29, v117, v102 src0_sel:BYTE_0 src1_sel:DWORD
	s_mov_b32 s12, -1
	s_and_saveexec_b32 s28, s29
; %bb.8889:                             ;   in Loop: Header=BB6_8085 Depth=2
	s_xor_b32 s12, exec_lo, -1
; %bb.8890:                             ;   in Loop: Header=BB6_8085 Depth=2
	s_or_b32 exec_lo, exec_lo, s28
	s_and_b32 s12, s12, exec_lo
	s_or_saveexec_b32 s27, s27
	v_mov_b32_e32 v34, 0x7f800001
	s_xor_b32 exec_lo, exec_lo, s27
	s_cbranch_execnz .LBB6_9314
.LBB6_8891:                             ;   in Loop: Header=BB6_8085 Depth=2
	s_or_b32 exec_lo, exec_lo, s27
	s_and_saveexec_b32 s27, s12
	s_cbranch_execz .LBB6_8893
.LBB6_8892:                             ;   in Loop: Header=BB6_8085 Depth=2
	v_and_b32_e32 v34, 7, v117
	v_lshrrev_b16 v40, 3, v117
	v_ffbh_u32_e32 v119, v34
	v_and_b32_e32 v40, 15, v40
	v_min_u32_e32 v119, 32, v119
	v_cmp_eq_u32_e32 vcc_lo, 0, v40
	v_subrev_nc_u32_e32 v41, 28, v119
	v_sub_nc_u32_e32 v119, 29, v119
	v_lshlrev_b32_e32 v41, v41, v117
	v_lshlrev_b32_e32 v117, 24, v117
	v_cndmask_b32_e32 v119, v40, v119, vcc_lo
	v_and_b32_e32 v41, 7, v41
	v_and_b32_e32 v117, 0x80000000, v117
	v_lshl_add_u32 v119, v119, 23, 0x3b800000
	v_cndmask_b32_e32 v34, v34, v41, vcc_lo
	v_lshlrev_b32_e32 v34, 20, v34
	v_or3_b32 v34, v117, v119, v34
.LBB6_8893:                             ;   in Loop: Header=BB6_8085 Depth=2
	s_or_b32 exec_lo, exec_lo, s27
	v_add_f32_e32 v117, v118, v34
	v_and_b32_e32 v34, 0x7f800000, v117
	v_cmp_ne_u32_e32 vcc_lo, 0x7f800000, v34
	v_mov_b32_e32 v34, 0x80
	s_and_saveexec_b32 s27, vcc_lo
	s_cbranch_execz .LBB6_8901
; %bb.8894:                             ;   in Loop: Header=BB6_8085 Depth=2
	v_mov_b32_e32 v34, 0
	s_mov_b32 s28, exec_lo
	v_cmpx_ne_u32_e32 0, v117
	s_cbranch_execz .LBB6_8900
; %bb.8895:                             ;   in Loop: Header=BB6_8085 Depth=2
	v_bfe_u32 v34, v117, 23, 8
	v_and_b32_e32 v118, 0x7fffff, v117
	v_sub_nc_u32_e32 v119, 0x78, v34
	v_cmp_gt_u32_e32 vcc_lo, 0x79, v34
	v_or_b32_e32 v40, 0x800000, v118
	v_cndmask_b32_e32 v119, 0, v119, vcc_lo
	v_cmp_eq_u32_e32 vcc_lo, 0, v34
	v_add_nc_u32_e32 v34, 0xffffff89, v34
	v_cndmask_b32_e64 v119, v119, 0x77, vcc_lo
	v_cndmask_b32_e32 v118, v40, v118, vcc_lo
	v_cndmask_b32_e64 v34, v34, 0xffffff8a, vcc_lo
	v_lshl_add_u32 v40, 0x100000, v119, -1
	v_lshrrev_b32_e32 v41, v119, v118
	v_lshlrev_b32_e64 v43, v119, 0x80000
	v_add_nc_u32_e32 v119, v119, v34
	v_and_b32_e32 v118, v40, v118
	v_bfe_u32 v42, v41, 20, 1
	v_cmp_eq_u32_e64 s12, v118, v43
	v_add_nc_u32_e32 v40, -1, v42
	v_cndmask_b32_e64 v118, 0, v40, s12
	v_lshrrev_b32_e32 v40, 23, v41
	s_mov_b32 s12, exec_lo
	v_add_nc_u32_e32 v118, v118, v41
	v_xor_b32_e32 v40, 1, v40
	v_and_b32_e32 v34, 0xfffff, v118
	v_add_nc_u32_e32 v118, v34, v41
                                        ; implicit-def: $vgpr34
	v_cmpx_ne_u32_e64 v119, v40
	s_xor_b32 s12, exec_lo, s12
; %bb.8896:                             ;   in Loop: Header=BB6_8085 Depth=2
	v_cmp_lt_u32_e32 vcc_lo, 0xffffff, v118
	v_sub_nc_u32_e32 v34, v119, v40
	v_cndmask_b32_e64 v119, 0, 1, vcc_lo
	v_add_co_ci_u32_e64 v34, null, 0, v34, vcc_lo
	v_lshrrev_b32_e32 v118, v119, v118
; %bb.8897:                             ;   in Loop: Header=BB6_8085 Depth=2
	s_andn2_saveexec_b32 s12, s12
; %bb.8898:                             ;   in Loop: Header=BB6_8085 Depth=2
	v_bfe_u32 v34, v118, 23, 1
; %bb.8899:                             ;   in Loop: Header=BB6_8085 Depth=2
	s_or_b32 exec_lo, exec_lo, s12
	v_lshrrev_b32_e32 v118, 20, v118
	v_cmp_gt_i32_e32 vcc_lo, 16, v34
	v_min_i32_e32 v119, 15, v34
	v_and_b32_sdwa v117, v117, v102 dst_sel:DWORD dst_unused:UNUSED_PAD src0_sel:BYTE_3 src1_sel:DWORD
	v_cndmask_b32_e32 v118, 7, v118, vcc_lo
	v_lshlrev_b32_e32 v119, 3, v119
	v_and_b32_e32 v40, 7, v118
	v_or_b32_e32 v34, v34, v118
	v_or3_b32 v117, v119, v117, v40
	v_cmp_ne_u32_e32 vcc_lo, 0, v34
	v_cndmask_b32_e32 v34, 0, v117, vcc_lo
.LBB6_8900:                             ;   in Loop: Header=BB6_8085 Depth=2
	s_or_b32 exec_lo, exec_lo, s28
.LBB6_8901:                             ;   in Loop: Header=BB6_8085 Depth=2
	s_or_b32 exec_lo, exec_lo, s27
	v_cmp_gt_i16_sdwa s27, v31, v101 src0_sel:BYTE_0 src1_sel:DWORD
	s_mov_b32 s12, 0
	s_and_saveexec_b32 s28, s27
	s_xor_b32 s27, exec_lo, s28
	s_cbranch_execz .LBB6_9315
; %bb.8902:                             ;   in Loop: Header=BB6_8085 Depth=2
	v_cmp_eq_u16_sdwa s29, v31, v102 src0_sel:BYTE_0 src1_sel:DWORD
	s_mov_b32 s12, -1
	s_and_saveexec_b32 s28, s29
; %bb.8903:                             ;   in Loop: Header=BB6_8085 Depth=2
	s_xor_b32 s12, exec_lo, -1
; %bb.8904:                             ;   in Loop: Header=BB6_8085 Depth=2
	s_or_b32 exec_lo, exec_lo, s28
	s_and_b32 s12, s12, exec_lo
	s_or_saveexec_b32 s27, s27
	v_mov_b32_e32 v117, 0x7f800001
	s_xor_b32 exec_lo, exec_lo, s27
	s_cbranch_execnz .LBB6_9316
.LBB6_8905:                             ;   in Loop: Header=BB6_8085 Depth=2
	s_or_b32 exec_lo, exec_lo, s27
	s_and_saveexec_b32 s27, s12
	s_cbranch_execz .LBB6_8907
.LBB6_8906:                             ;   in Loop: Header=BB6_8085 Depth=2
	v_and_b32_e32 v117, 7, v31
	v_lshrrev_b16 v119, 3, v31
	v_ffbh_u32_e32 v118, v117
	v_and_b32_e32 v119, 15, v119
	v_min_u32_e32 v118, 32, v118
	v_cmp_eq_u32_e32 vcc_lo, 0, v119
	v_subrev_nc_u32_e32 v40, 28, v118
	v_sub_nc_u32_e32 v118, 29, v118
	v_lshlrev_b32_e32 v40, v40, v31
	v_lshlrev_b32_e32 v31, 24, v31
	v_cndmask_b32_e32 v118, v119, v118, vcc_lo
	v_and_b32_e32 v40, 7, v40
	v_and_b32_e32 v31, 0x80000000, v31
	v_lshl_add_u32 v118, v118, 23, 0x3b800000
	v_cndmask_b32_e32 v117, v117, v40, vcc_lo
	v_lshlrev_b32_e32 v117, 20, v117
	v_or3_b32 v117, v31, v118, v117
.LBB6_8907:                             ;   in Loop: Header=BB6_8085 Depth=2
	s_or_b32 exec_lo, exec_lo, s27
	s_waitcnt vmcnt(13) lgkmcnt(13)
	v_cmp_gt_i16_sdwa s27, v116, v101 src0_sel:BYTE_0 src1_sel:DWORD
	s_mov_b32 s12, 0
	s_and_saveexec_b32 s28, s27
	s_xor_b32 s27, exec_lo, s28
	s_cbranch_execz .LBB6_9317
; %bb.8908:                             ;   in Loop: Header=BB6_8085 Depth=2
	v_cmp_eq_u16_sdwa s29, v116, v102 src0_sel:BYTE_0 src1_sel:DWORD
	s_mov_b32 s12, -1
	s_and_saveexec_b32 s28, s29
; %bb.8909:                             ;   in Loop: Header=BB6_8085 Depth=2
	s_xor_b32 s12, exec_lo, -1
; %bb.8910:                             ;   in Loop: Header=BB6_8085 Depth=2
	s_or_b32 exec_lo, exec_lo, s28
	s_and_b32 s12, s12, exec_lo
	s_or_saveexec_b32 s27, s27
	v_mov_b32_e32 v31, 0x7f800001
	s_xor_b32 exec_lo, exec_lo, s27
	s_cbranch_execnz .LBB6_9318
.LBB6_8911:                             ;   in Loop: Header=BB6_8085 Depth=2
	s_or_b32 exec_lo, exec_lo, s27
	s_and_saveexec_b32 s27, s12
	s_cbranch_execz .LBB6_8913
.LBB6_8912:                             ;   in Loop: Header=BB6_8085 Depth=2
	v_and_b32_e32 v31, 7, v116
	v_lshrrev_b16 v119, 3, v116
	v_ffbh_u32_e32 v118, v31
	v_and_b32_e32 v119, 15, v119
	v_min_u32_e32 v118, 32, v118
	v_cmp_eq_u32_e32 vcc_lo, 0, v119
	v_subrev_nc_u32_e32 v40, 28, v118
	v_sub_nc_u32_e32 v118, 29, v118
	v_lshlrev_b32_e32 v40, v40, v116
	v_lshlrev_b32_e32 v116, 24, v116
	v_cndmask_b32_e32 v118, v119, v118, vcc_lo
	v_and_b32_e32 v40, 7, v40
	v_and_b32_e32 v116, 0x80000000, v116
	v_lshl_add_u32 v118, v118, 23, 0x3b800000
	v_cndmask_b32_e32 v31, v31, v40, vcc_lo
	v_lshlrev_b32_e32 v31, 20, v31
	v_or3_b32 v31, v116, v118, v31
.LBB6_8913:                             ;   in Loop: Header=BB6_8085 Depth=2
	s_or_b32 exec_lo, exec_lo, s27
	v_add_f32_e32 v116, v117, v31
	v_and_b32_e32 v31, 0x7f800000, v116
	v_cmp_ne_u32_e32 vcc_lo, 0x7f800000, v31
	v_mov_b32_e32 v31, 0x80
	s_and_saveexec_b32 s27, vcc_lo
	s_cbranch_execz .LBB6_8921
; %bb.8914:                             ;   in Loop: Header=BB6_8085 Depth=2
	v_mov_b32_e32 v31, 0
	s_mov_b32 s28, exec_lo
	v_cmpx_ne_u32_e32 0, v116
	s_cbranch_execz .LBB6_8920
; %bb.8915:                             ;   in Loop: Header=BB6_8085 Depth=2
	v_bfe_u32 v31, v116, 23, 8
	v_and_b32_e32 v117, 0x7fffff, v116
	v_sub_nc_u32_e32 v118, 0x78, v31
	v_cmp_gt_u32_e32 vcc_lo, 0x79, v31
	v_or_b32_e32 v119, 0x800000, v117
	v_cndmask_b32_e32 v118, 0, v118, vcc_lo
	v_cmp_eq_u32_e32 vcc_lo, 0, v31
	v_add_nc_u32_e32 v31, 0xffffff89, v31
	v_cndmask_b32_e64 v118, v118, 0x77, vcc_lo
	v_cndmask_b32_e32 v117, v119, v117, vcc_lo
	v_cndmask_b32_e64 v31, v31, 0xffffff8a, vcc_lo
	v_lshl_add_u32 v119, 0x100000, v118, -1
	v_lshrrev_b32_e32 v40, v118, v117
	v_lshlrev_b32_e64 v42, v118, 0x80000
	v_add_nc_u32_e32 v118, v118, v31
	v_and_b32_e32 v117, v119, v117
	v_bfe_u32 v41, v40, 20, 1
	v_cmp_eq_u32_e64 s12, v117, v42
	v_add_nc_u32_e32 v119, -1, v41
	v_cndmask_b32_e64 v117, 0, v119, s12
	v_lshrrev_b32_e32 v119, 23, v40
	s_mov_b32 s12, exec_lo
	v_add_nc_u32_e32 v117, v117, v40
	v_xor_b32_e32 v119, 1, v119
	v_and_b32_e32 v31, 0xfffff, v117
	v_add_nc_u32_e32 v117, v31, v40
                                        ; implicit-def: $vgpr31
	v_cmpx_ne_u32_e64 v118, v119
	s_xor_b32 s12, exec_lo, s12
; %bb.8916:                             ;   in Loop: Header=BB6_8085 Depth=2
	v_cmp_lt_u32_e32 vcc_lo, 0xffffff, v117
	v_sub_nc_u32_e32 v31, v118, v119
	v_cndmask_b32_e64 v118, 0, 1, vcc_lo
	v_add_co_ci_u32_e64 v31, null, 0, v31, vcc_lo
	v_lshrrev_b32_e32 v117, v118, v117
; %bb.8917:                             ;   in Loop: Header=BB6_8085 Depth=2
	s_andn2_saveexec_b32 s12, s12
; %bb.8918:                             ;   in Loop: Header=BB6_8085 Depth=2
	v_bfe_u32 v31, v117, 23, 1
; %bb.8919:                             ;   in Loop: Header=BB6_8085 Depth=2
	s_or_b32 exec_lo, exec_lo, s12
	v_lshrrev_b32_e32 v117, 20, v117
	v_cmp_gt_i32_e32 vcc_lo, 16, v31
	v_min_i32_e32 v118, 15, v31
	v_and_b32_sdwa v116, v116, v102 dst_sel:DWORD dst_unused:UNUSED_PAD src0_sel:BYTE_3 src1_sel:DWORD
	v_cndmask_b32_e32 v117, 7, v117, vcc_lo
	v_lshlrev_b32_e32 v118, 3, v118
	v_and_b32_e32 v119, 7, v117
	v_or_b32_e32 v31, v31, v117
	v_or3_b32 v116, v118, v116, v119
	v_cmp_ne_u32_e32 vcc_lo, 0, v31
	v_cndmask_b32_e32 v31, 0, v116, vcc_lo
.LBB6_8920:                             ;   in Loop: Header=BB6_8085 Depth=2
	s_or_b32 exec_lo, exec_lo, s28
.LBB6_8921:                             ;   in Loop: Header=BB6_8085 Depth=2
	s_or_b32 exec_lo, exec_lo, s27
	v_cmp_gt_i16_sdwa s27, v30, v101 src0_sel:BYTE_0 src1_sel:DWORD
	s_mov_b32 s12, 0
	s_and_saveexec_b32 s28, s27
	s_xor_b32 s27, exec_lo, s28
	s_cbranch_execz .LBB6_9319
; %bb.8922:                             ;   in Loop: Header=BB6_8085 Depth=2
	v_cmp_eq_u16_sdwa s29, v30, v102 src0_sel:BYTE_0 src1_sel:DWORD
	s_mov_b32 s12, -1
	s_and_saveexec_b32 s28, s29
; %bb.8923:                             ;   in Loop: Header=BB6_8085 Depth=2
	s_xor_b32 s12, exec_lo, -1
; %bb.8924:                             ;   in Loop: Header=BB6_8085 Depth=2
	s_or_b32 exec_lo, exec_lo, s28
	s_and_b32 s12, s12, exec_lo
	s_or_saveexec_b32 s27, s27
	v_mov_b32_e32 v116, 0x7f800001
	s_xor_b32 exec_lo, exec_lo, s27
	s_cbranch_execnz .LBB6_9320
.LBB6_8925:                             ;   in Loop: Header=BB6_8085 Depth=2
	s_or_b32 exec_lo, exec_lo, s27
	s_and_saveexec_b32 s27, s12
	s_cbranch_execz .LBB6_8927
.LBB6_8926:                             ;   in Loop: Header=BB6_8085 Depth=2
	v_and_b32_e32 v116, 7, v30
	v_lshrrev_b16 v118, 3, v30
	v_ffbh_u32_e32 v117, v116
	v_and_b32_e32 v118, 15, v118
	v_min_u32_e32 v117, 32, v117
	v_cmp_eq_u32_e32 vcc_lo, 0, v118
	v_subrev_nc_u32_e32 v119, 28, v117
	v_sub_nc_u32_e32 v117, 29, v117
	v_lshlrev_b32_e32 v119, v119, v30
	v_lshlrev_b32_e32 v30, 24, v30
	v_cndmask_b32_e32 v117, v118, v117, vcc_lo
	v_and_b32_e32 v119, 7, v119
	v_and_b32_e32 v30, 0x80000000, v30
	v_lshl_add_u32 v117, v117, 23, 0x3b800000
	v_cndmask_b32_e32 v116, v116, v119, vcc_lo
	v_lshlrev_b32_e32 v116, 20, v116
	v_or3_b32 v116, v30, v117, v116
.LBB6_8927:                             ;   in Loop: Header=BB6_8085 Depth=2
	s_or_b32 exec_lo, exec_lo, s27
	s_waitcnt vmcnt(12) lgkmcnt(12)
	v_cmp_gt_i16_sdwa s27, v115, v101 src0_sel:BYTE_0 src1_sel:DWORD
	s_mov_b32 s12, 0
	s_and_saveexec_b32 s28, s27
	s_xor_b32 s27, exec_lo, s28
	s_cbranch_execz .LBB6_9321
; %bb.8928:                             ;   in Loop: Header=BB6_8085 Depth=2
	v_cmp_eq_u16_sdwa s29, v115, v102 src0_sel:BYTE_0 src1_sel:DWORD
	s_mov_b32 s12, -1
	s_and_saveexec_b32 s28, s29
; %bb.8929:                             ;   in Loop: Header=BB6_8085 Depth=2
	s_xor_b32 s12, exec_lo, -1
; %bb.8930:                             ;   in Loop: Header=BB6_8085 Depth=2
	s_or_b32 exec_lo, exec_lo, s28
	s_and_b32 s12, s12, exec_lo
	s_or_saveexec_b32 s27, s27
	v_mov_b32_e32 v30, 0x7f800001
	s_xor_b32 exec_lo, exec_lo, s27
	s_cbranch_execnz .LBB6_9322
.LBB6_8931:                             ;   in Loop: Header=BB6_8085 Depth=2
	s_or_b32 exec_lo, exec_lo, s27
	s_and_saveexec_b32 s27, s12
	s_cbranch_execz .LBB6_8933
.LBB6_8932:                             ;   in Loop: Header=BB6_8085 Depth=2
	v_and_b32_e32 v30, 7, v115
	v_lshrrev_b16 v118, 3, v115
	v_ffbh_u32_e32 v117, v30
	v_and_b32_e32 v118, 15, v118
	v_min_u32_e32 v117, 32, v117
	v_cmp_eq_u32_e32 vcc_lo, 0, v118
	v_subrev_nc_u32_e32 v119, 28, v117
	v_sub_nc_u32_e32 v117, 29, v117
	v_lshlrev_b32_e32 v119, v119, v115
	v_lshlrev_b32_e32 v115, 24, v115
	v_cndmask_b32_e32 v117, v118, v117, vcc_lo
	v_and_b32_e32 v119, 7, v119
	v_and_b32_e32 v115, 0x80000000, v115
	v_lshl_add_u32 v117, v117, 23, 0x3b800000
	v_cndmask_b32_e32 v30, v30, v119, vcc_lo
	v_lshlrev_b32_e32 v30, 20, v30
	v_or3_b32 v30, v115, v117, v30
.LBB6_8933:                             ;   in Loop: Header=BB6_8085 Depth=2
	s_or_b32 exec_lo, exec_lo, s27
	v_add_f32_e32 v115, v116, v30
	v_and_b32_e32 v30, 0x7f800000, v115
	v_cmp_ne_u32_e32 vcc_lo, 0x7f800000, v30
	v_mov_b32_e32 v30, 0x80
	s_and_saveexec_b32 s27, vcc_lo
	s_cbranch_execz .LBB6_8941
; %bb.8934:                             ;   in Loop: Header=BB6_8085 Depth=2
	v_mov_b32_e32 v30, 0
	s_mov_b32 s28, exec_lo
	v_cmpx_ne_u32_e32 0, v115
	s_cbranch_execz .LBB6_8940
; %bb.8935:                             ;   in Loop: Header=BB6_8085 Depth=2
	v_bfe_u32 v30, v115, 23, 8
	v_and_b32_e32 v116, 0x7fffff, v115
	v_sub_nc_u32_e32 v117, 0x78, v30
	v_cmp_gt_u32_e32 vcc_lo, 0x79, v30
	v_or_b32_e32 v118, 0x800000, v116
	v_cndmask_b32_e32 v117, 0, v117, vcc_lo
	v_cmp_eq_u32_e32 vcc_lo, 0, v30
	v_add_nc_u32_e32 v30, 0xffffff89, v30
	v_cndmask_b32_e64 v117, v117, 0x77, vcc_lo
	v_cndmask_b32_e32 v116, v118, v116, vcc_lo
	v_cndmask_b32_e64 v30, v30, 0xffffff8a, vcc_lo
	v_lshl_add_u32 v118, 0x100000, v117, -1
	v_lshrrev_b32_e32 v119, v117, v116
	v_lshlrev_b32_e64 v41, v117, 0x80000
	v_add_nc_u32_e32 v117, v117, v30
	v_and_b32_e32 v116, v118, v116
	v_bfe_u32 v40, v119, 20, 1
	v_cmp_eq_u32_e64 s12, v116, v41
	v_add_nc_u32_e32 v118, -1, v40
	v_cndmask_b32_e64 v116, 0, v118, s12
	v_lshrrev_b32_e32 v118, 23, v119
	s_mov_b32 s12, exec_lo
	v_add_nc_u32_e32 v116, v116, v119
	v_xor_b32_e32 v118, 1, v118
	v_and_b32_e32 v30, 0xfffff, v116
	v_add_nc_u32_e32 v116, v30, v119
                                        ; implicit-def: $vgpr30
	v_cmpx_ne_u32_e64 v117, v118
	s_xor_b32 s12, exec_lo, s12
; %bb.8936:                             ;   in Loop: Header=BB6_8085 Depth=2
	v_cmp_lt_u32_e32 vcc_lo, 0xffffff, v116
	v_sub_nc_u32_e32 v30, v117, v118
	v_cndmask_b32_e64 v117, 0, 1, vcc_lo
	v_add_co_ci_u32_e64 v30, null, 0, v30, vcc_lo
	v_lshrrev_b32_e32 v116, v117, v116
; %bb.8937:                             ;   in Loop: Header=BB6_8085 Depth=2
	s_andn2_saveexec_b32 s12, s12
; %bb.8938:                             ;   in Loop: Header=BB6_8085 Depth=2
	v_bfe_u32 v30, v116, 23, 1
; %bb.8939:                             ;   in Loop: Header=BB6_8085 Depth=2
	s_or_b32 exec_lo, exec_lo, s12
	v_lshrrev_b32_e32 v116, 20, v116
	v_cmp_gt_i32_e32 vcc_lo, 16, v30
	v_min_i32_e32 v117, 15, v30
	v_and_b32_sdwa v115, v115, v102 dst_sel:DWORD dst_unused:UNUSED_PAD src0_sel:BYTE_3 src1_sel:DWORD
	v_cndmask_b32_e32 v116, 7, v116, vcc_lo
	v_lshlrev_b32_e32 v117, 3, v117
	v_and_b32_e32 v118, 7, v116
	v_or_b32_e32 v30, v30, v116
	v_or3_b32 v115, v117, v115, v118
	v_cmp_ne_u32_e32 vcc_lo, 0, v30
	v_cndmask_b32_e32 v30, 0, v115, vcc_lo
.LBB6_8940:                             ;   in Loop: Header=BB6_8085 Depth=2
	s_or_b32 exec_lo, exec_lo, s28
.LBB6_8941:                             ;   in Loop: Header=BB6_8085 Depth=2
	s_or_b32 exec_lo, exec_lo, s27
	v_cmp_gt_i16_sdwa s27, v29, v101 src0_sel:BYTE_0 src1_sel:DWORD
	s_mov_b32 s12, 0
	s_and_saveexec_b32 s28, s27
	s_xor_b32 s27, exec_lo, s28
	s_cbranch_execz .LBB6_9323
; %bb.8942:                             ;   in Loop: Header=BB6_8085 Depth=2
	v_cmp_eq_u16_sdwa s29, v29, v102 src0_sel:BYTE_0 src1_sel:DWORD
	s_mov_b32 s12, -1
	s_and_saveexec_b32 s28, s29
; %bb.8943:                             ;   in Loop: Header=BB6_8085 Depth=2
	s_xor_b32 s12, exec_lo, -1
; %bb.8944:                             ;   in Loop: Header=BB6_8085 Depth=2
	s_or_b32 exec_lo, exec_lo, s28
	s_and_b32 s12, s12, exec_lo
	s_or_saveexec_b32 s27, s27
	v_mov_b32_e32 v115, 0x7f800001
	s_xor_b32 exec_lo, exec_lo, s27
	s_cbranch_execnz .LBB6_9324
.LBB6_8945:                             ;   in Loop: Header=BB6_8085 Depth=2
	s_or_b32 exec_lo, exec_lo, s27
	s_and_saveexec_b32 s27, s12
	s_cbranch_execz .LBB6_8947
.LBB6_8946:                             ;   in Loop: Header=BB6_8085 Depth=2
	v_and_b32_e32 v115, 7, v29
	v_lshrrev_b16 v117, 3, v29
	v_ffbh_u32_e32 v116, v115
	v_and_b32_e32 v117, 15, v117
	v_min_u32_e32 v116, 32, v116
	v_cmp_eq_u32_e32 vcc_lo, 0, v117
	v_subrev_nc_u32_e32 v118, 28, v116
	v_sub_nc_u32_e32 v116, 29, v116
	v_lshlrev_b32_e32 v118, v118, v29
	v_lshlrev_b32_e32 v29, 24, v29
	v_cndmask_b32_e32 v116, v117, v116, vcc_lo
	v_and_b32_e32 v118, 7, v118
	v_and_b32_e32 v29, 0x80000000, v29
	v_lshl_add_u32 v116, v116, 23, 0x3b800000
	v_cndmask_b32_e32 v115, v115, v118, vcc_lo
	v_lshlrev_b32_e32 v115, 20, v115
	v_or3_b32 v115, v29, v116, v115
.LBB6_8947:                             ;   in Loop: Header=BB6_8085 Depth=2
	s_or_b32 exec_lo, exec_lo, s27
	s_waitcnt vmcnt(11) lgkmcnt(11)
	v_cmp_gt_i16_sdwa s27, v100, v101 src0_sel:BYTE_0 src1_sel:DWORD
	s_mov_b32 s12, 0
	s_and_saveexec_b32 s28, s27
	s_xor_b32 s27, exec_lo, s28
	s_cbranch_execz .LBB6_9325
; %bb.8948:                             ;   in Loop: Header=BB6_8085 Depth=2
	v_cmp_eq_u16_sdwa s29, v100, v102 src0_sel:BYTE_0 src1_sel:DWORD
	s_mov_b32 s12, -1
	s_and_saveexec_b32 s28, s29
; %bb.8949:                             ;   in Loop: Header=BB6_8085 Depth=2
	s_xor_b32 s12, exec_lo, -1
; %bb.8950:                             ;   in Loop: Header=BB6_8085 Depth=2
	s_or_b32 exec_lo, exec_lo, s28
	s_and_b32 s12, s12, exec_lo
	s_or_saveexec_b32 s27, s27
	v_mov_b32_e32 v29, 0x7f800001
	s_xor_b32 exec_lo, exec_lo, s27
	s_cbranch_execnz .LBB6_9326
.LBB6_8951:                             ;   in Loop: Header=BB6_8085 Depth=2
	s_or_b32 exec_lo, exec_lo, s27
	s_and_saveexec_b32 s27, s12
	s_cbranch_execz .LBB6_8953
.LBB6_8952:                             ;   in Loop: Header=BB6_8085 Depth=2
	v_and_b32_e32 v29, 7, v100
	v_lshrrev_b16 v117, 3, v100
	v_ffbh_u32_e32 v116, v29
	v_and_b32_e32 v117, 15, v117
	v_min_u32_e32 v116, 32, v116
	v_cmp_eq_u32_e32 vcc_lo, 0, v117
	v_subrev_nc_u32_e32 v118, 28, v116
	v_sub_nc_u32_e32 v116, 29, v116
	v_lshlrev_b32_e32 v118, v118, v100
	v_lshlrev_b32_e32 v100, 24, v100
	v_cndmask_b32_e32 v116, v117, v116, vcc_lo
	v_and_b32_e32 v118, 7, v118
	v_and_b32_e32 v100, 0x80000000, v100
	v_lshl_add_u32 v116, v116, 23, 0x3b800000
	v_cndmask_b32_e32 v29, v29, v118, vcc_lo
	v_lshlrev_b32_e32 v29, 20, v29
	v_or3_b32 v29, v100, v116, v29
.LBB6_8953:                             ;   in Loop: Header=BB6_8085 Depth=2
	s_or_b32 exec_lo, exec_lo, s27
	v_add_f32_e32 v100, v115, v29
	v_and_b32_e32 v29, 0x7f800000, v100
	v_cmp_ne_u32_e32 vcc_lo, 0x7f800000, v29
	v_mov_b32_e32 v29, 0x80
	s_and_saveexec_b32 s27, vcc_lo
	s_cbranch_execz .LBB6_8961
; %bb.8954:                             ;   in Loop: Header=BB6_8085 Depth=2
	v_mov_b32_e32 v29, 0
	s_mov_b32 s28, exec_lo
	v_cmpx_ne_u32_e32 0, v100
	s_cbranch_execz .LBB6_8960
; %bb.8955:                             ;   in Loop: Header=BB6_8085 Depth=2
	v_bfe_u32 v29, v100, 23, 8
	v_and_b32_e32 v115, 0x7fffff, v100
	v_sub_nc_u32_e32 v116, 0x78, v29
	v_cmp_gt_u32_e32 vcc_lo, 0x79, v29
	v_or_b32_e32 v117, 0x800000, v115
	v_cndmask_b32_e32 v116, 0, v116, vcc_lo
	v_cmp_eq_u32_e32 vcc_lo, 0, v29
	v_add_nc_u32_e32 v29, 0xffffff89, v29
	v_cndmask_b32_e64 v116, v116, 0x77, vcc_lo
	v_cndmask_b32_e32 v115, v117, v115, vcc_lo
	v_cndmask_b32_e64 v29, v29, 0xffffff8a, vcc_lo
	v_lshl_add_u32 v117, 0x100000, v116, -1
	v_lshrrev_b32_e32 v118, v116, v115
	v_lshlrev_b32_e64 v40, v116, 0x80000
	v_add_nc_u32_e32 v116, v116, v29
	v_and_b32_e32 v115, v117, v115
	v_bfe_u32 v119, v118, 20, 1
	v_cmp_eq_u32_e64 s12, v115, v40
	v_add_nc_u32_e32 v117, -1, v119
	v_cndmask_b32_e64 v115, 0, v117, s12
	v_lshrrev_b32_e32 v117, 23, v118
	s_mov_b32 s12, exec_lo
	v_add_nc_u32_e32 v115, v115, v118
	v_xor_b32_e32 v117, 1, v117
	v_and_b32_e32 v29, 0xfffff, v115
	v_add_nc_u32_e32 v115, v29, v118
                                        ; implicit-def: $vgpr29
	v_cmpx_ne_u32_e64 v116, v117
	s_xor_b32 s12, exec_lo, s12
; %bb.8956:                             ;   in Loop: Header=BB6_8085 Depth=2
	v_cmp_lt_u32_e32 vcc_lo, 0xffffff, v115
	v_sub_nc_u32_e32 v29, v116, v117
	v_cndmask_b32_e64 v116, 0, 1, vcc_lo
	v_add_co_ci_u32_e64 v29, null, 0, v29, vcc_lo
	v_lshrrev_b32_e32 v115, v116, v115
; %bb.8957:                             ;   in Loop: Header=BB6_8085 Depth=2
	s_andn2_saveexec_b32 s12, s12
; %bb.8958:                             ;   in Loop: Header=BB6_8085 Depth=2
	v_bfe_u32 v29, v115, 23, 1
; %bb.8959:                             ;   in Loop: Header=BB6_8085 Depth=2
	s_or_b32 exec_lo, exec_lo, s12
	v_lshrrev_b32_e32 v115, 20, v115
	v_cmp_gt_i32_e32 vcc_lo, 16, v29
	v_min_i32_e32 v116, 15, v29
	v_and_b32_sdwa v100, v100, v102 dst_sel:DWORD dst_unused:UNUSED_PAD src0_sel:BYTE_3 src1_sel:DWORD
	v_cndmask_b32_e32 v115, 7, v115, vcc_lo
	v_lshlrev_b32_e32 v116, 3, v116
	v_and_b32_e32 v117, 7, v115
	v_or_b32_e32 v29, v29, v115
	v_or3_b32 v100, v116, v100, v117
	v_cmp_ne_u32_e32 vcc_lo, 0, v29
	v_cndmask_b32_e32 v29, 0, v100, vcc_lo
.LBB6_8960:                             ;   in Loop: Header=BB6_8085 Depth=2
	s_or_b32 exec_lo, exec_lo, s28
.LBB6_8961:                             ;   in Loop: Header=BB6_8085 Depth=2
	s_or_b32 exec_lo, exec_lo, s27
	v_cmp_gt_i16_sdwa s27, v28, v101 src0_sel:BYTE_0 src1_sel:DWORD
	s_mov_b32 s12, 0
	s_and_saveexec_b32 s28, s27
	s_xor_b32 s27, exec_lo, s28
	s_cbranch_execz .LBB6_9327
; %bb.8962:                             ;   in Loop: Header=BB6_8085 Depth=2
	v_cmp_eq_u16_sdwa s29, v28, v102 src0_sel:BYTE_0 src1_sel:DWORD
	s_mov_b32 s12, -1
	s_and_saveexec_b32 s28, s29
; %bb.8963:                             ;   in Loop: Header=BB6_8085 Depth=2
	s_xor_b32 s12, exec_lo, -1
; %bb.8964:                             ;   in Loop: Header=BB6_8085 Depth=2
	s_or_b32 exec_lo, exec_lo, s28
	s_and_b32 s12, s12, exec_lo
	s_or_saveexec_b32 s27, s27
	v_mov_b32_e32 v100, 0x7f800001
	s_xor_b32 exec_lo, exec_lo, s27
	s_cbranch_execnz .LBB6_9328
.LBB6_8965:                             ;   in Loop: Header=BB6_8085 Depth=2
	s_or_b32 exec_lo, exec_lo, s27
	s_and_saveexec_b32 s27, s12
	s_cbranch_execz .LBB6_8967
.LBB6_8966:                             ;   in Loop: Header=BB6_8085 Depth=2
	v_and_b32_e32 v100, 7, v28
	v_lshrrev_b16 v116, 3, v28
	v_ffbh_u32_e32 v115, v100
	v_and_b32_e32 v116, 15, v116
	v_min_u32_e32 v115, 32, v115
	v_cmp_eq_u32_e32 vcc_lo, 0, v116
	v_subrev_nc_u32_e32 v117, 28, v115
	v_sub_nc_u32_e32 v115, 29, v115
	v_lshlrev_b32_e32 v117, v117, v28
	v_lshlrev_b32_e32 v28, 24, v28
	v_cndmask_b32_e32 v115, v116, v115, vcc_lo
	v_and_b32_e32 v117, 7, v117
	v_and_b32_e32 v28, 0x80000000, v28
	v_lshl_add_u32 v115, v115, 23, 0x3b800000
	v_cndmask_b32_e32 v100, v100, v117, vcc_lo
	v_lshlrev_b32_e32 v100, 20, v100
	v_or3_b32 v100, v28, v115, v100
.LBB6_8967:                             ;   in Loop: Header=BB6_8085 Depth=2
	s_or_b32 exec_lo, exec_lo, s27
	s_waitcnt vmcnt(10) lgkmcnt(10)
	v_cmp_gt_i16_sdwa s27, v85, v101 src0_sel:BYTE_0 src1_sel:DWORD
	s_mov_b32 s12, 0
	s_and_saveexec_b32 s28, s27
	s_xor_b32 s27, exec_lo, s28
	s_cbranch_execz .LBB6_9329
; %bb.8968:                             ;   in Loop: Header=BB6_8085 Depth=2
	v_cmp_eq_u16_sdwa s29, v85, v102 src0_sel:BYTE_0 src1_sel:DWORD
	s_mov_b32 s12, -1
	s_and_saveexec_b32 s28, s29
; %bb.8969:                             ;   in Loop: Header=BB6_8085 Depth=2
	s_xor_b32 s12, exec_lo, -1
; %bb.8970:                             ;   in Loop: Header=BB6_8085 Depth=2
	s_or_b32 exec_lo, exec_lo, s28
	s_and_b32 s12, s12, exec_lo
	s_or_saveexec_b32 s27, s27
	v_mov_b32_e32 v28, 0x7f800001
	s_xor_b32 exec_lo, exec_lo, s27
	s_cbranch_execnz .LBB6_9330
.LBB6_8971:                             ;   in Loop: Header=BB6_8085 Depth=2
	s_or_b32 exec_lo, exec_lo, s27
	s_and_saveexec_b32 s27, s12
	s_cbranch_execz .LBB6_8973
.LBB6_8972:                             ;   in Loop: Header=BB6_8085 Depth=2
	v_and_b32_e32 v28, 7, v85
	v_lshrrev_b16 v116, 3, v85
	v_ffbh_u32_e32 v115, v28
	v_and_b32_e32 v116, 15, v116
	v_min_u32_e32 v115, 32, v115
	v_cmp_eq_u32_e32 vcc_lo, 0, v116
	v_subrev_nc_u32_e32 v117, 28, v115
	v_sub_nc_u32_e32 v115, 29, v115
	v_lshlrev_b32_e32 v117, v117, v85
	v_lshlrev_b32_e32 v85, 24, v85
	v_cndmask_b32_e32 v115, v116, v115, vcc_lo
	v_and_b32_e32 v117, 7, v117
	v_and_b32_e32 v85, 0x80000000, v85
	v_lshl_add_u32 v115, v115, 23, 0x3b800000
	v_cndmask_b32_e32 v28, v28, v117, vcc_lo
	v_lshlrev_b32_e32 v28, 20, v28
	v_or3_b32 v28, v85, v115, v28
.LBB6_8973:                             ;   in Loop: Header=BB6_8085 Depth=2
	s_or_b32 exec_lo, exec_lo, s27
	v_add_f32_e32 v85, v100, v28
	v_and_b32_e32 v28, 0x7f800000, v85
	v_cmp_ne_u32_e32 vcc_lo, 0x7f800000, v28
	v_mov_b32_e32 v28, 0x80
	s_and_saveexec_b32 s27, vcc_lo
	s_cbranch_execz .LBB6_8981
; %bb.8974:                             ;   in Loop: Header=BB6_8085 Depth=2
	v_mov_b32_e32 v28, 0
	s_mov_b32 s28, exec_lo
	v_cmpx_ne_u32_e32 0, v85
	s_cbranch_execz .LBB6_8980
; %bb.8975:                             ;   in Loop: Header=BB6_8085 Depth=2
	v_bfe_u32 v28, v85, 23, 8
	v_and_b32_e32 v100, 0x7fffff, v85
	v_sub_nc_u32_e32 v115, 0x78, v28
	v_cmp_gt_u32_e32 vcc_lo, 0x79, v28
	v_or_b32_e32 v116, 0x800000, v100
	v_cndmask_b32_e32 v115, 0, v115, vcc_lo
	v_cmp_eq_u32_e32 vcc_lo, 0, v28
	v_add_nc_u32_e32 v28, 0xffffff89, v28
	v_cndmask_b32_e64 v115, v115, 0x77, vcc_lo
	v_cndmask_b32_e32 v100, v116, v100, vcc_lo
	v_cndmask_b32_e64 v28, v28, 0xffffff8a, vcc_lo
	v_lshl_add_u32 v116, 0x100000, v115, -1
	v_lshrrev_b32_e32 v117, v115, v100
	v_lshlrev_b32_e64 v119, v115, 0x80000
	v_add_nc_u32_e32 v115, v115, v28
	v_and_b32_e32 v100, v116, v100
	v_bfe_u32 v118, v117, 20, 1
	v_cmp_eq_u32_e64 s12, v100, v119
	v_add_nc_u32_e32 v116, -1, v118
	v_cndmask_b32_e64 v100, 0, v116, s12
	v_lshrrev_b32_e32 v116, 23, v117
	s_mov_b32 s12, exec_lo
	v_add_nc_u32_e32 v100, v100, v117
	v_xor_b32_e32 v116, 1, v116
	v_and_b32_e32 v28, 0xfffff, v100
	v_add_nc_u32_e32 v100, v28, v117
                                        ; implicit-def: $vgpr28
	v_cmpx_ne_u32_e64 v115, v116
	s_xor_b32 s12, exec_lo, s12
; %bb.8976:                             ;   in Loop: Header=BB6_8085 Depth=2
	v_cmp_lt_u32_e32 vcc_lo, 0xffffff, v100
	v_sub_nc_u32_e32 v28, v115, v116
	v_cndmask_b32_e64 v115, 0, 1, vcc_lo
	v_add_co_ci_u32_e64 v28, null, 0, v28, vcc_lo
	v_lshrrev_b32_e32 v100, v115, v100
; %bb.8977:                             ;   in Loop: Header=BB6_8085 Depth=2
	s_andn2_saveexec_b32 s12, s12
; %bb.8978:                             ;   in Loop: Header=BB6_8085 Depth=2
	v_bfe_u32 v28, v100, 23, 1
; %bb.8979:                             ;   in Loop: Header=BB6_8085 Depth=2
	s_or_b32 exec_lo, exec_lo, s12
	v_lshrrev_b32_e32 v100, 20, v100
	v_cmp_gt_i32_e32 vcc_lo, 16, v28
	v_min_i32_e32 v115, 15, v28
	v_and_b32_sdwa v85, v85, v102 dst_sel:DWORD dst_unused:UNUSED_PAD src0_sel:BYTE_3 src1_sel:DWORD
	v_cndmask_b32_e32 v100, 7, v100, vcc_lo
	v_lshlrev_b32_e32 v115, 3, v115
	v_and_b32_e32 v116, 7, v100
	v_or_b32_e32 v28, v28, v100
	v_or3_b32 v85, v115, v85, v116
	v_cmp_ne_u32_e32 vcc_lo, 0, v28
	v_cndmask_b32_e32 v28, 0, v85, vcc_lo
.LBB6_8980:                             ;   in Loop: Header=BB6_8085 Depth=2
	s_or_b32 exec_lo, exec_lo, s28
.LBB6_8981:                             ;   in Loop: Header=BB6_8085 Depth=2
	s_or_b32 exec_lo, exec_lo, s27
	v_cmp_gt_i16_sdwa s27, v25, v101 src0_sel:BYTE_0 src1_sel:DWORD
	s_mov_b32 s12, 0
	s_and_saveexec_b32 s28, s27
	s_xor_b32 s27, exec_lo, s28
	s_cbranch_execz .LBB6_9331
; %bb.8982:                             ;   in Loop: Header=BB6_8085 Depth=2
	v_cmp_eq_u16_sdwa s29, v25, v102 src0_sel:BYTE_0 src1_sel:DWORD
	s_mov_b32 s12, -1
	s_and_saveexec_b32 s28, s29
; %bb.8983:                             ;   in Loop: Header=BB6_8085 Depth=2
	s_xor_b32 s12, exec_lo, -1
; %bb.8984:                             ;   in Loop: Header=BB6_8085 Depth=2
	s_or_b32 exec_lo, exec_lo, s28
	s_and_b32 s12, s12, exec_lo
	s_or_saveexec_b32 s27, s27
	v_mov_b32_e32 v85, 0x7f800001
	s_xor_b32 exec_lo, exec_lo, s27
	s_cbranch_execnz .LBB6_9332
.LBB6_8985:                             ;   in Loop: Header=BB6_8085 Depth=2
	s_or_b32 exec_lo, exec_lo, s27
	s_and_saveexec_b32 s27, s12
	s_cbranch_execz .LBB6_8987
.LBB6_8986:                             ;   in Loop: Header=BB6_8085 Depth=2
	v_and_b32_e32 v85, 7, v25
	v_lshrrev_b16 v115, 3, v25
	v_ffbh_u32_e32 v100, v85
	v_and_b32_e32 v115, 15, v115
	v_min_u32_e32 v100, 32, v100
	v_cmp_eq_u32_e32 vcc_lo, 0, v115
	v_subrev_nc_u32_e32 v116, 28, v100
	v_sub_nc_u32_e32 v100, 29, v100
	v_lshlrev_b32_e32 v116, v116, v25
	v_lshlrev_b32_e32 v25, 24, v25
	v_cndmask_b32_e32 v100, v115, v100, vcc_lo
	v_and_b32_e32 v116, 7, v116
	v_and_b32_e32 v25, 0x80000000, v25
	v_lshl_add_u32 v100, v100, 23, 0x3b800000
	v_cndmask_b32_e32 v85, v85, v116, vcc_lo
	v_lshlrev_b32_e32 v85, 20, v85
	v_or3_b32 v85, v25, v100, v85
.LBB6_8987:                             ;   in Loop: Header=BB6_8085 Depth=2
	s_or_b32 exec_lo, exec_lo, s27
	s_waitcnt vmcnt(9) lgkmcnt(9)
	v_cmp_gt_i16_sdwa s27, v84, v101 src0_sel:BYTE_0 src1_sel:DWORD
	s_mov_b32 s12, 0
	s_and_saveexec_b32 s28, s27
	s_xor_b32 s27, exec_lo, s28
	s_cbranch_execz .LBB6_9333
; %bb.8988:                             ;   in Loop: Header=BB6_8085 Depth=2
	v_cmp_eq_u16_sdwa s29, v84, v102 src0_sel:BYTE_0 src1_sel:DWORD
	s_mov_b32 s12, -1
	s_and_saveexec_b32 s28, s29
; %bb.8989:                             ;   in Loop: Header=BB6_8085 Depth=2
	s_xor_b32 s12, exec_lo, -1
; %bb.8990:                             ;   in Loop: Header=BB6_8085 Depth=2
	s_or_b32 exec_lo, exec_lo, s28
	s_and_b32 s12, s12, exec_lo
	s_or_saveexec_b32 s27, s27
	v_mov_b32_e32 v25, 0x7f800001
	s_xor_b32 exec_lo, exec_lo, s27
	s_cbranch_execnz .LBB6_9334
.LBB6_8991:                             ;   in Loop: Header=BB6_8085 Depth=2
	s_or_b32 exec_lo, exec_lo, s27
	s_and_saveexec_b32 s27, s12
	s_cbranch_execz .LBB6_8993
.LBB6_8992:                             ;   in Loop: Header=BB6_8085 Depth=2
	v_and_b32_e32 v25, 7, v84
	v_lshrrev_b16 v115, 3, v84
	v_ffbh_u32_e32 v100, v25
	v_and_b32_e32 v115, 15, v115
	v_min_u32_e32 v100, 32, v100
	v_cmp_eq_u32_e32 vcc_lo, 0, v115
	v_subrev_nc_u32_e32 v116, 28, v100
	v_sub_nc_u32_e32 v100, 29, v100
	v_lshlrev_b32_e32 v116, v116, v84
	v_lshlrev_b32_e32 v84, 24, v84
	v_cndmask_b32_e32 v100, v115, v100, vcc_lo
	v_and_b32_e32 v116, 7, v116
	v_and_b32_e32 v84, 0x80000000, v84
	v_lshl_add_u32 v100, v100, 23, 0x3b800000
	v_cndmask_b32_e32 v25, v25, v116, vcc_lo
	v_lshlrev_b32_e32 v25, 20, v25
	v_or3_b32 v25, v84, v100, v25
.LBB6_8993:                             ;   in Loop: Header=BB6_8085 Depth=2
	s_or_b32 exec_lo, exec_lo, s27
	v_add_f32_e32 v84, v85, v25
	v_and_b32_e32 v25, 0x7f800000, v84
	v_cmp_ne_u32_e32 vcc_lo, 0x7f800000, v25
	v_mov_b32_e32 v25, 0x80
	s_and_saveexec_b32 s27, vcc_lo
	s_cbranch_execz .LBB6_9001
; %bb.8994:                             ;   in Loop: Header=BB6_8085 Depth=2
	v_mov_b32_e32 v25, 0
	s_mov_b32 s28, exec_lo
	v_cmpx_ne_u32_e32 0, v84
	s_cbranch_execz .LBB6_9000
; %bb.8995:                             ;   in Loop: Header=BB6_8085 Depth=2
	v_bfe_u32 v25, v84, 23, 8
	v_and_b32_e32 v85, 0x7fffff, v84
	v_sub_nc_u32_e32 v100, 0x78, v25
	v_cmp_gt_u32_e32 vcc_lo, 0x79, v25
	v_or_b32_e32 v115, 0x800000, v85
	v_cndmask_b32_e32 v100, 0, v100, vcc_lo
	v_cmp_eq_u32_e32 vcc_lo, 0, v25
	v_add_nc_u32_e32 v25, 0xffffff89, v25
	v_cndmask_b32_e64 v100, v100, 0x77, vcc_lo
	v_cndmask_b32_e32 v85, v115, v85, vcc_lo
	v_cndmask_b32_e64 v25, v25, 0xffffff8a, vcc_lo
	v_lshl_add_u32 v115, 0x100000, v100, -1
	v_lshrrev_b32_e32 v116, v100, v85
	v_lshlrev_b32_e64 v118, v100, 0x80000
	v_add_nc_u32_e32 v100, v100, v25
	v_and_b32_e32 v85, v115, v85
	v_bfe_u32 v117, v116, 20, 1
	v_cmp_eq_u32_e64 s12, v85, v118
	v_add_nc_u32_e32 v115, -1, v117
	v_cndmask_b32_e64 v85, 0, v115, s12
	v_lshrrev_b32_e32 v115, 23, v116
	s_mov_b32 s12, exec_lo
	v_add_nc_u32_e32 v85, v85, v116
	v_xor_b32_e32 v115, 1, v115
	v_and_b32_e32 v25, 0xfffff, v85
	v_add_nc_u32_e32 v85, v25, v116
                                        ; implicit-def: $vgpr25
	v_cmpx_ne_u32_e64 v100, v115
	s_xor_b32 s12, exec_lo, s12
; %bb.8996:                             ;   in Loop: Header=BB6_8085 Depth=2
	v_cmp_lt_u32_e32 vcc_lo, 0xffffff, v85
	v_sub_nc_u32_e32 v25, v100, v115
	v_cndmask_b32_e64 v100, 0, 1, vcc_lo
	v_add_co_ci_u32_e64 v25, null, 0, v25, vcc_lo
	v_lshrrev_b32_e32 v85, v100, v85
; %bb.8997:                             ;   in Loop: Header=BB6_8085 Depth=2
	s_andn2_saveexec_b32 s12, s12
; %bb.8998:                             ;   in Loop: Header=BB6_8085 Depth=2
	v_bfe_u32 v25, v85, 23, 1
; %bb.8999:                             ;   in Loop: Header=BB6_8085 Depth=2
	s_or_b32 exec_lo, exec_lo, s12
	v_lshrrev_b32_e32 v85, 20, v85
	v_cmp_gt_i32_e32 vcc_lo, 16, v25
	v_min_i32_e32 v100, 15, v25
	v_and_b32_sdwa v84, v84, v102 dst_sel:DWORD dst_unused:UNUSED_PAD src0_sel:BYTE_3 src1_sel:DWORD
	v_cndmask_b32_e32 v85, 7, v85, vcc_lo
	v_lshlrev_b32_e32 v100, 3, v100
	v_and_b32_e32 v115, 7, v85
	v_or_b32_e32 v25, v25, v85
	v_or3_b32 v84, v100, v84, v115
	v_cmp_ne_u32_e32 vcc_lo, 0, v25
	v_cndmask_b32_e32 v25, 0, v84, vcc_lo
.LBB6_9000:                             ;   in Loop: Header=BB6_8085 Depth=2
	s_or_b32 exec_lo, exec_lo, s28
.LBB6_9001:                             ;   in Loop: Header=BB6_8085 Depth=2
	s_or_b32 exec_lo, exec_lo, s27
	v_cmp_gt_i16_sdwa s27, v24, v101 src0_sel:BYTE_0 src1_sel:DWORD
	s_mov_b32 s12, 0
	s_and_saveexec_b32 s28, s27
	s_xor_b32 s27, exec_lo, s28
	s_cbranch_execz .LBB6_9335
; %bb.9002:                             ;   in Loop: Header=BB6_8085 Depth=2
	v_cmp_eq_u16_sdwa s29, v24, v102 src0_sel:BYTE_0 src1_sel:DWORD
	s_mov_b32 s12, -1
	s_and_saveexec_b32 s28, s29
; %bb.9003:                             ;   in Loop: Header=BB6_8085 Depth=2
	s_xor_b32 s12, exec_lo, -1
; %bb.9004:                             ;   in Loop: Header=BB6_8085 Depth=2
	s_or_b32 exec_lo, exec_lo, s28
	s_and_b32 s12, s12, exec_lo
	s_or_saveexec_b32 s27, s27
	v_mov_b32_e32 v84, 0x7f800001
	s_xor_b32 exec_lo, exec_lo, s27
	s_cbranch_execnz .LBB6_9336
.LBB6_9005:                             ;   in Loop: Header=BB6_8085 Depth=2
	s_or_b32 exec_lo, exec_lo, s27
	s_and_saveexec_b32 s27, s12
	s_cbranch_execz .LBB6_9007
.LBB6_9006:                             ;   in Loop: Header=BB6_8085 Depth=2
	v_and_b32_e32 v84, 7, v24
	v_lshrrev_b16 v100, 3, v24
	v_ffbh_u32_e32 v85, v84
	v_and_b32_e32 v100, 15, v100
	v_min_u32_e32 v85, 32, v85
	v_cmp_eq_u32_e32 vcc_lo, 0, v100
	v_subrev_nc_u32_e32 v115, 28, v85
	v_sub_nc_u32_e32 v85, 29, v85
	v_lshlrev_b32_e32 v115, v115, v24
	v_lshlrev_b32_e32 v24, 24, v24
	v_cndmask_b32_e32 v85, v100, v85, vcc_lo
	v_and_b32_e32 v115, 7, v115
	v_and_b32_e32 v24, 0x80000000, v24
	v_lshl_add_u32 v85, v85, 23, 0x3b800000
	v_cndmask_b32_e32 v84, v84, v115, vcc_lo
	v_lshlrev_b32_e32 v84, 20, v84
	v_or3_b32 v84, v24, v85, v84
.LBB6_9007:                             ;   in Loop: Header=BB6_8085 Depth=2
	s_or_b32 exec_lo, exec_lo, s27
	s_waitcnt vmcnt(8) lgkmcnt(8)
	v_cmp_gt_i16_sdwa s27, v83, v101 src0_sel:BYTE_0 src1_sel:DWORD
	s_mov_b32 s12, 0
	s_and_saveexec_b32 s28, s27
	s_xor_b32 s27, exec_lo, s28
	s_cbranch_execz .LBB6_9337
; %bb.9008:                             ;   in Loop: Header=BB6_8085 Depth=2
	v_cmp_eq_u16_sdwa s29, v83, v102 src0_sel:BYTE_0 src1_sel:DWORD
	s_mov_b32 s12, -1
	s_and_saveexec_b32 s28, s29
; %bb.9009:                             ;   in Loop: Header=BB6_8085 Depth=2
	s_xor_b32 s12, exec_lo, -1
; %bb.9010:                             ;   in Loop: Header=BB6_8085 Depth=2
	s_or_b32 exec_lo, exec_lo, s28
	s_and_b32 s12, s12, exec_lo
	s_or_saveexec_b32 s27, s27
	v_mov_b32_e32 v24, 0x7f800001
	s_xor_b32 exec_lo, exec_lo, s27
	s_cbranch_execnz .LBB6_9338
.LBB6_9011:                             ;   in Loop: Header=BB6_8085 Depth=2
	s_or_b32 exec_lo, exec_lo, s27
	s_and_saveexec_b32 s27, s12
	s_cbranch_execz .LBB6_9013
.LBB6_9012:                             ;   in Loop: Header=BB6_8085 Depth=2
	v_and_b32_e32 v24, 7, v83
	v_lshrrev_b16 v100, 3, v83
	v_ffbh_u32_e32 v85, v24
	v_and_b32_e32 v100, 15, v100
	v_min_u32_e32 v85, 32, v85
	v_cmp_eq_u32_e32 vcc_lo, 0, v100
	v_subrev_nc_u32_e32 v115, 28, v85
	v_sub_nc_u32_e32 v85, 29, v85
	v_lshlrev_b32_e32 v115, v115, v83
	v_lshlrev_b32_e32 v83, 24, v83
	v_cndmask_b32_e32 v85, v100, v85, vcc_lo
	v_and_b32_e32 v115, 7, v115
	v_and_b32_e32 v83, 0x80000000, v83
	v_lshl_add_u32 v85, v85, 23, 0x3b800000
	v_cndmask_b32_e32 v24, v24, v115, vcc_lo
	v_lshlrev_b32_e32 v24, 20, v24
	v_or3_b32 v24, v83, v85, v24
.LBB6_9013:                             ;   in Loop: Header=BB6_8085 Depth=2
	s_or_b32 exec_lo, exec_lo, s27
	v_add_f32_e32 v83, v84, v24
	v_and_b32_e32 v24, 0x7f800000, v83
	v_cmp_ne_u32_e32 vcc_lo, 0x7f800000, v24
	v_mov_b32_e32 v24, 0x80
	s_and_saveexec_b32 s27, vcc_lo
	s_cbranch_execz .LBB6_9021
; %bb.9014:                             ;   in Loop: Header=BB6_8085 Depth=2
	v_mov_b32_e32 v24, 0
	s_mov_b32 s28, exec_lo
	v_cmpx_ne_u32_e32 0, v83
	s_cbranch_execz .LBB6_9020
; %bb.9015:                             ;   in Loop: Header=BB6_8085 Depth=2
	v_bfe_u32 v24, v83, 23, 8
	v_and_b32_e32 v84, 0x7fffff, v83
	v_sub_nc_u32_e32 v85, 0x78, v24
	v_cmp_gt_u32_e32 vcc_lo, 0x79, v24
	v_or_b32_e32 v100, 0x800000, v84
	v_cndmask_b32_e32 v85, 0, v85, vcc_lo
	v_cmp_eq_u32_e32 vcc_lo, 0, v24
	v_add_nc_u32_e32 v24, 0xffffff89, v24
	v_cndmask_b32_e64 v85, v85, 0x77, vcc_lo
	v_cndmask_b32_e32 v84, v100, v84, vcc_lo
	v_cndmask_b32_e64 v24, v24, 0xffffff8a, vcc_lo
	v_lshl_add_u32 v100, 0x100000, v85, -1
	v_lshrrev_b32_e32 v115, v85, v84
	v_lshlrev_b32_e64 v117, v85, 0x80000
	v_add_nc_u32_e32 v85, v85, v24
	v_and_b32_e32 v84, v100, v84
	v_bfe_u32 v116, v115, 20, 1
	v_cmp_eq_u32_e64 s12, v84, v117
	v_add_nc_u32_e32 v100, -1, v116
	v_cndmask_b32_e64 v84, 0, v100, s12
	v_lshrrev_b32_e32 v100, 23, v115
	s_mov_b32 s12, exec_lo
	v_add_nc_u32_e32 v84, v84, v115
	v_xor_b32_e32 v100, 1, v100
	v_and_b32_e32 v24, 0xfffff, v84
	v_add_nc_u32_e32 v84, v24, v115
                                        ; implicit-def: $vgpr24
	v_cmpx_ne_u32_e64 v85, v100
	s_xor_b32 s12, exec_lo, s12
; %bb.9016:                             ;   in Loop: Header=BB6_8085 Depth=2
	v_cmp_lt_u32_e32 vcc_lo, 0xffffff, v84
	v_sub_nc_u32_e32 v24, v85, v100
	v_cndmask_b32_e64 v85, 0, 1, vcc_lo
	v_add_co_ci_u32_e64 v24, null, 0, v24, vcc_lo
	v_lshrrev_b32_e32 v84, v85, v84
; %bb.9017:                             ;   in Loop: Header=BB6_8085 Depth=2
	s_andn2_saveexec_b32 s12, s12
; %bb.9018:                             ;   in Loop: Header=BB6_8085 Depth=2
	v_bfe_u32 v24, v84, 23, 1
; %bb.9019:                             ;   in Loop: Header=BB6_8085 Depth=2
	s_or_b32 exec_lo, exec_lo, s12
	v_lshrrev_b32_e32 v84, 20, v84
	v_cmp_gt_i32_e32 vcc_lo, 16, v24
	v_min_i32_e32 v85, 15, v24
	v_and_b32_sdwa v83, v83, v102 dst_sel:DWORD dst_unused:UNUSED_PAD src0_sel:BYTE_3 src1_sel:DWORD
	v_cndmask_b32_e32 v84, 7, v84, vcc_lo
	v_lshlrev_b32_e32 v85, 3, v85
	v_and_b32_e32 v100, 7, v84
	v_or_b32_e32 v24, v24, v84
	v_or3_b32 v83, v85, v83, v100
	v_cmp_ne_u32_e32 vcc_lo, 0, v24
	v_cndmask_b32_e32 v24, 0, v83, vcc_lo
.LBB6_9020:                             ;   in Loop: Header=BB6_8085 Depth=2
	s_or_b32 exec_lo, exec_lo, s28
.LBB6_9021:                             ;   in Loop: Header=BB6_8085 Depth=2
	s_or_b32 exec_lo, exec_lo, s27
	v_cmp_gt_i16_sdwa s27, v23, v101 src0_sel:BYTE_0 src1_sel:DWORD
	s_mov_b32 s12, 0
	s_and_saveexec_b32 s28, s27
	s_xor_b32 s27, exec_lo, s28
	s_cbranch_execz .LBB6_9339
; %bb.9022:                             ;   in Loop: Header=BB6_8085 Depth=2
	v_cmp_eq_u16_sdwa s29, v23, v102 src0_sel:BYTE_0 src1_sel:DWORD
	s_mov_b32 s12, -1
	s_and_saveexec_b32 s28, s29
; %bb.9023:                             ;   in Loop: Header=BB6_8085 Depth=2
	s_xor_b32 s12, exec_lo, -1
; %bb.9024:                             ;   in Loop: Header=BB6_8085 Depth=2
	s_or_b32 exec_lo, exec_lo, s28
	s_and_b32 s12, s12, exec_lo
	s_or_saveexec_b32 s27, s27
	v_mov_b32_e32 v83, 0x7f800001
	s_xor_b32 exec_lo, exec_lo, s27
	s_cbranch_execnz .LBB6_9340
.LBB6_9025:                             ;   in Loop: Header=BB6_8085 Depth=2
	s_or_b32 exec_lo, exec_lo, s27
	s_and_saveexec_b32 s27, s12
	s_cbranch_execz .LBB6_9027
.LBB6_9026:                             ;   in Loop: Header=BB6_8085 Depth=2
	v_and_b32_e32 v83, 7, v23
	v_lshrrev_b16 v85, 3, v23
	v_ffbh_u32_e32 v84, v83
	v_and_b32_e32 v85, 15, v85
	v_min_u32_e32 v84, 32, v84
	v_cmp_eq_u32_e32 vcc_lo, 0, v85
	v_subrev_nc_u32_e32 v100, 28, v84
	v_sub_nc_u32_e32 v84, 29, v84
	v_lshlrev_b32_e32 v100, v100, v23
	v_lshlrev_b32_e32 v23, 24, v23
	v_cndmask_b32_e32 v84, v85, v84, vcc_lo
	v_and_b32_e32 v100, 7, v100
	v_and_b32_e32 v23, 0x80000000, v23
	v_lshl_add_u32 v84, v84, 23, 0x3b800000
	v_cndmask_b32_e32 v83, v83, v100, vcc_lo
	v_lshlrev_b32_e32 v83, 20, v83
	v_or3_b32 v83, v23, v84, v83
.LBB6_9027:                             ;   in Loop: Header=BB6_8085 Depth=2
	s_or_b32 exec_lo, exec_lo, s27
	s_waitcnt vmcnt(7) lgkmcnt(7)
	v_cmp_gt_i16_sdwa s27, v81, v101 src0_sel:BYTE_0 src1_sel:DWORD
	s_mov_b32 s12, 0
	s_and_saveexec_b32 s28, s27
	s_xor_b32 s27, exec_lo, s28
	s_cbranch_execz .LBB6_9341
; %bb.9028:                             ;   in Loop: Header=BB6_8085 Depth=2
	v_cmp_eq_u16_sdwa s29, v81, v102 src0_sel:BYTE_0 src1_sel:DWORD
	s_mov_b32 s12, -1
	s_and_saveexec_b32 s28, s29
; %bb.9029:                             ;   in Loop: Header=BB6_8085 Depth=2
	s_xor_b32 s12, exec_lo, -1
; %bb.9030:                             ;   in Loop: Header=BB6_8085 Depth=2
	s_or_b32 exec_lo, exec_lo, s28
	s_and_b32 s12, s12, exec_lo
	s_or_saveexec_b32 s27, s27
	v_mov_b32_e32 v23, 0x7f800001
	s_xor_b32 exec_lo, exec_lo, s27
	s_cbranch_execnz .LBB6_9342
.LBB6_9031:                             ;   in Loop: Header=BB6_8085 Depth=2
	s_or_b32 exec_lo, exec_lo, s27
	s_and_saveexec_b32 s27, s12
	s_cbranch_execz .LBB6_9033
.LBB6_9032:                             ;   in Loop: Header=BB6_8085 Depth=2
	v_and_b32_e32 v23, 7, v81
	v_lshrrev_b16 v85, 3, v81
	v_ffbh_u32_e32 v84, v23
	v_and_b32_e32 v85, 15, v85
	v_min_u32_e32 v84, 32, v84
	v_cmp_eq_u32_e32 vcc_lo, 0, v85
	v_subrev_nc_u32_e32 v100, 28, v84
	v_sub_nc_u32_e32 v84, 29, v84
	v_lshlrev_b32_e32 v100, v100, v81
	v_lshlrev_b32_e32 v81, 24, v81
	v_cndmask_b32_e32 v84, v85, v84, vcc_lo
	v_and_b32_e32 v100, 7, v100
	v_and_b32_e32 v81, 0x80000000, v81
	v_lshl_add_u32 v84, v84, 23, 0x3b800000
	v_cndmask_b32_e32 v23, v23, v100, vcc_lo
	v_lshlrev_b32_e32 v23, 20, v23
	v_or3_b32 v23, v81, v84, v23
.LBB6_9033:                             ;   in Loop: Header=BB6_8085 Depth=2
	s_or_b32 exec_lo, exec_lo, s27
	v_add_f32_e32 v81, v83, v23
	v_and_b32_e32 v23, 0x7f800000, v81
	v_cmp_ne_u32_e32 vcc_lo, 0x7f800000, v23
	v_mov_b32_e32 v23, 0x80
	s_and_saveexec_b32 s27, vcc_lo
	s_cbranch_execz .LBB6_9041
; %bb.9034:                             ;   in Loop: Header=BB6_8085 Depth=2
	v_mov_b32_e32 v23, 0
	s_mov_b32 s28, exec_lo
	v_cmpx_ne_u32_e32 0, v81
	s_cbranch_execz .LBB6_9040
; %bb.9035:                             ;   in Loop: Header=BB6_8085 Depth=2
	v_bfe_u32 v23, v81, 23, 8
	v_and_b32_e32 v83, 0x7fffff, v81
	v_sub_nc_u32_e32 v84, 0x78, v23
	v_cmp_gt_u32_e32 vcc_lo, 0x79, v23
	v_or_b32_e32 v85, 0x800000, v83
	v_cndmask_b32_e32 v84, 0, v84, vcc_lo
	v_cmp_eq_u32_e32 vcc_lo, 0, v23
	v_add_nc_u32_e32 v23, 0xffffff89, v23
	v_cndmask_b32_e64 v84, v84, 0x77, vcc_lo
	v_cndmask_b32_e32 v83, v85, v83, vcc_lo
	v_cndmask_b32_e64 v23, v23, 0xffffff8a, vcc_lo
	v_lshl_add_u32 v85, 0x100000, v84, -1
	v_lshrrev_b32_e32 v100, v84, v83
	v_lshlrev_b32_e64 v116, v84, 0x80000
	v_add_nc_u32_e32 v84, v84, v23
	v_and_b32_e32 v83, v85, v83
	v_bfe_u32 v115, v100, 20, 1
	v_cmp_eq_u32_e64 s12, v83, v116
	v_add_nc_u32_e32 v85, -1, v115
	v_cndmask_b32_e64 v83, 0, v85, s12
	v_lshrrev_b32_e32 v85, 23, v100
	s_mov_b32 s12, exec_lo
	v_add_nc_u32_e32 v83, v83, v100
	v_xor_b32_e32 v85, 1, v85
	v_and_b32_e32 v23, 0xfffff, v83
	v_add_nc_u32_e32 v83, v23, v100
                                        ; implicit-def: $vgpr23
	v_cmpx_ne_u32_e64 v84, v85
	s_xor_b32 s12, exec_lo, s12
; %bb.9036:                             ;   in Loop: Header=BB6_8085 Depth=2
	v_cmp_lt_u32_e32 vcc_lo, 0xffffff, v83
	v_sub_nc_u32_e32 v23, v84, v85
	v_cndmask_b32_e64 v84, 0, 1, vcc_lo
	v_add_co_ci_u32_e64 v23, null, 0, v23, vcc_lo
	v_lshrrev_b32_e32 v83, v84, v83
; %bb.9037:                             ;   in Loop: Header=BB6_8085 Depth=2
	s_andn2_saveexec_b32 s12, s12
; %bb.9038:                             ;   in Loop: Header=BB6_8085 Depth=2
	v_bfe_u32 v23, v83, 23, 1
; %bb.9039:                             ;   in Loop: Header=BB6_8085 Depth=2
	s_or_b32 exec_lo, exec_lo, s12
	v_lshrrev_b32_e32 v83, 20, v83
	v_cmp_gt_i32_e32 vcc_lo, 16, v23
	v_min_i32_e32 v84, 15, v23
	v_and_b32_sdwa v81, v81, v102 dst_sel:DWORD dst_unused:UNUSED_PAD src0_sel:BYTE_3 src1_sel:DWORD
	v_cndmask_b32_e32 v83, 7, v83, vcc_lo
	v_lshlrev_b32_e32 v84, 3, v84
	v_and_b32_e32 v85, 7, v83
	v_or_b32_e32 v23, v23, v83
	v_or3_b32 v81, v84, v81, v85
	v_cmp_ne_u32_e32 vcc_lo, 0, v23
	v_cndmask_b32_e32 v23, 0, v81, vcc_lo
.LBB6_9040:                             ;   in Loop: Header=BB6_8085 Depth=2
	s_or_b32 exec_lo, exec_lo, s28
.LBB6_9041:                             ;   in Loop: Header=BB6_8085 Depth=2
	s_or_b32 exec_lo, exec_lo, s27
	v_cmp_gt_i16_sdwa s27, v21, v101 src0_sel:BYTE_0 src1_sel:DWORD
	s_mov_b32 s12, 0
	s_and_saveexec_b32 s28, s27
	s_xor_b32 s27, exec_lo, s28
	s_cbranch_execz .LBB6_9343
; %bb.9042:                             ;   in Loop: Header=BB6_8085 Depth=2
	v_cmp_eq_u16_sdwa s29, v21, v102 src0_sel:BYTE_0 src1_sel:DWORD
	s_mov_b32 s12, -1
	s_and_saveexec_b32 s28, s29
; %bb.9043:                             ;   in Loop: Header=BB6_8085 Depth=2
	s_xor_b32 s12, exec_lo, -1
; %bb.9044:                             ;   in Loop: Header=BB6_8085 Depth=2
	s_or_b32 exec_lo, exec_lo, s28
	s_and_b32 s12, s12, exec_lo
	s_or_saveexec_b32 s27, s27
	v_mov_b32_e32 v81, 0x7f800001
	s_xor_b32 exec_lo, exec_lo, s27
	s_cbranch_execnz .LBB6_9344
.LBB6_9045:                             ;   in Loop: Header=BB6_8085 Depth=2
	s_or_b32 exec_lo, exec_lo, s27
	s_and_saveexec_b32 s27, s12
	s_cbranch_execz .LBB6_9047
.LBB6_9046:                             ;   in Loop: Header=BB6_8085 Depth=2
	v_and_b32_e32 v81, 7, v21
	v_lshrrev_b16 v84, 3, v21
	v_ffbh_u32_e32 v83, v81
	v_and_b32_e32 v84, 15, v84
	v_min_u32_e32 v83, 32, v83
	v_cmp_eq_u32_e32 vcc_lo, 0, v84
	v_subrev_nc_u32_e32 v85, 28, v83
	v_sub_nc_u32_e32 v83, 29, v83
	v_lshlrev_b32_e32 v85, v85, v21
	v_lshlrev_b32_e32 v21, 24, v21
	v_cndmask_b32_e32 v83, v84, v83, vcc_lo
	v_and_b32_e32 v85, 7, v85
	v_and_b32_e32 v21, 0x80000000, v21
	v_lshl_add_u32 v83, v83, 23, 0x3b800000
	v_cndmask_b32_e32 v81, v81, v85, vcc_lo
	v_lshlrev_b32_e32 v81, 20, v81
	v_or3_b32 v81, v21, v83, v81
.LBB6_9047:                             ;   in Loop: Header=BB6_8085 Depth=2
	s_or_b32 exec_lo, exec_lo, s27
	s_waitcnt vmcnt(6) lgkmcnt(6)
	v_cmp_gt_i16_sdwa s27, v66, v101 src0_sel:BYTE_0 src1_sel:DWORD
	s_mov_b32 s12, 0
	s_and_saveexec_b32 s28, s27
	s_xor_b32 s27, exec_lo, s28
	s_cbranch_execz .LBB6_9345
; %bb.9048:                             ;   in Loop: Header=BB6_8085 Depth=2
	v_cmp_eq_u16_sdwa s29, v66, v102 src0_sel:BYTE_0 src1_sel:DWORD
	s_mov_b32 s12, -1
	s_and_saveexec_b32 s28, s29
; %bb.9049:                             ;   in Loop: Header=BB6_8085 Depth=2
	s_xor_b32 s12, exec_lo, -1
; %bb.9050:                             ;   in Loop: Header=BB6_8085 Depth=2
	s_or_b32 exec_lo, exec_lo, s28
	s_and_b32 s12, s12, exec_lo
	s_or_saveexec_b32 s27, s27
	v_mov_b32_e32 v21, 0x7f800001
	s_xor_b32 exec_lo, exec_lo, s27
	s_cbranch_execnz .LBB6_9346
.LBB6_9051:                             ;   in Loop: Header=BB6_8085 Depth=2
	s_or_b32 exec_lo, exec_lo, s27
	s_and_saveexec_b32 s27, s12
	s_cbranch_execz .LBB6_9053
.LBB6_9052:                             ;   in Loop: Header=BB6_8085 Depth=2
	v_and_b32_e32 v21, 7, v66
	v_lshrrev_b16 v84, 3, v66
	v_ffbh_u32_e32 v83, v21
	v_and_b32_e32 v84, 15, v84
	v_min_u32_e32 v83, 32, v83
	v_cmp_eq_u32_e32 vcc_lo, 0, v84
	v_subrev_nc_u32_e32 v85, 28, v83
	v_sub_nc_u32_e32 v83, 29, v83
	v_lshlrev_b32_e32 v85, v85, v66
	v_lshlrev_b32_e32 v66, 24, v66
	v_cndmask_b32_e32 v83, v84, v83, vcc_lo
	v_and_b32_e32 v85, 7, v85
	v_and_b32_e32 v66, 0x80000000, v66
	v_lshl_add_u32 v83, v83, 23, 0x3b800000
	v_cndmask_b32_e32 v21, v21, v85, vcc_lo
	v_lshlrev_b32_e32 v21, 20, v21
	v_or3_b32 v21, v66, v83, v21
.LBB6_9053:                             ;   in Loop: Header=BB6_8085 Depth=2
	s_or_b32 exec_lo, exec_lo, s27
	v_add_f32_e32 v66, v81, v21
	v_and_b32_e32 v21, 0x7f800000, v66
	v_cmp_ne_u32_e32 vcc_lo, 0x7f800000, v21
	v_mov_b32_e32 v21, 0x80
	s_and_saveexec_b32 s27, vcc_lo
	s_cbranch_execz .LBB6_9061
; %bb.9054:                             ;   in Loop: Header=BB6_8085 Depth=2
	v_mov_b32_e32 v21, 0
	s_mov_b32 s28, exec_lo
	v_cmpx_ne_u32_e32 0, v66
	s_cbranch_execz .LBB6_9060
; %bb.9055:                             ;   in Loop: Header=BB6_8085 Depth=2
	v_bfe_u32 v21, v66, 23, 8
	v_and_b32_e32 v81, 0x7fffff, v66
	v_sub_nc_u32_e32 v83, 0x78, v21
	v_cmp_gt_u32_e32 vcc_lo, 0x79, v21
	v_or_b32_e32 v84, 0x800000, v81
	v_cndmask_b32_e32 v83, 0, v83, vcc_lo
	v_cmp_eq_u32_e32 vcc_lo, 0, v21
	v_add_nc_u32_e32 v21, 0xffffff89, v21
	v_cndmask_b32_e64 v83, v83, 0x77, vcc_lo
	v_cndmask_b32_e32 v81, v84, v81, vcc_lo
	v_cndmask_b32_e64 v21, v21, 0xffffff8a, vcc_lo
	v_lshl_add_u32 v84, 0x100000, v83, -1
	v_lshrrev_b32_e32 v85, v83, v81
	v_lshlrev_b32_e64 v115, v83, 0x80000
	v_add_nc_u32_e32 v83, v83, v21
	v_and_b32_e32 v81, v84, v81
	v_bfe_u32 v100, v85, 20, 1
	v_cmp_eq_u32_e64 s12, v81, v115
	v_add_nc_u32_e32 v84, -1, v100
	v_cndmask_b32_e64 v81, 0, v84, s12
	v_lshrrev_b32_e32 v84, 23, v85
	s_mov_b32 s12, exec_lo
	v_add_nc_u32_e32 v81, v81, v85
	v_xor_b32_e32 v84, 1, v84
	v_and_b32_e32 v21, 0xfffff, v81
	v_add_nc_u32_e32 v81, v21, v85
                                        ; implicit-def: $vgpr21
	v_cmpx_ne_u32_e64 v83, v84
	s_xor_b32 s12, exec_lo, s12
; %bb.9056:                             ;   in Loop: Header=BB6_8085 Depth=2
	v_cmp_lt_u32_e32 vcc_lo, 0xffffff, v81
	v_sub_nc_u32_e32 v21, v83, v84
	v_cndmask_b32_e64 v83, 0, 1, vcc_lo
	v_add_co_ci_u32_e64 v21, null, 0, v21, vcc_lo
	v_lshrrev_b32_e32 v81, v83, v81
; %bb.9057:                             ;   in Loop: Header=BB6_8085 Depth=2
	s_andn2_saveexec_b32 s12, s12
; %bb.9058:                             ;   in Loop: Header=BB6_8085 Depth=2
	v_bfe_u32 v21, v81, 23, 1
; %bb.9059:                             ;   in Loop: Header=BB6_8085 Depth=2
	s_or_b32 exec_lo, exec_lo, s12
	v_lshrrev_b32_e32 v81, 20, v81
	v_cmp_gt_i32_e32 vcc_lo, 16, v21
	v_min_i32_e32 v83, 15, v21
	v_and_b32_sdwa v66, v66, v102 dst_sel:DWORD dst_unused:UNUSED_PAD src0_sel:BYTE_3 src1_sel:DWORD
	v_cndmask_b32_e32 v81, 7, v81, vcc_lo
	v_lshlrev_b32_e32 v83, 3, v83
	v_and_b32_e32 v84, 7, v81
	v_or_b32_e32 v21, v21, v81
	v_or3_b32 v66, v83, v66, v84
	v_cmp_ne_u32_e32 vcc_lo, 0, v21
	v_cndmask_b32_e32 v21, 0, v66, vcc_lo
.LBB6_9060:                             ;   in Loop: Header=BB6_8085 Depth=2
	s_or_b32 exec_lo, exec_lo, s28
.LBB6_9061:                             ;   in Loop: Header=BB6_8085 Depth=2
	s_or_b32 exec_lo, exec_lo, s27
	v_cmp_gt_i16_sdwa s27, v16, v101 src0_sel:BYTE_0 src1_sel:DWORD
	s_mov_b32 s12, 0
	s_and_saveexec_b32 s28, s27
	s_xor_b32 s27, exec_lo, s28
	s_cbranch_execz .LBB6_9347
; %bb.9062:                             ;   in Loop: Header=BB6_8085 Depth=2
	v_cmp_eq_u16_sdwa s29, v16, v102 src0_sel:BYTE_0 src1_sel:DWORD
	s_mov_b32 s12, -1
	s_and_saveexec_b32 s28, s29
; %bb.9063:                             ;   in Loop: Header=BB6_8085 Depth=2
	s_xor_b32 s12, exec_lo, -1
; %bb.9064:                             ;   in Loop: Header=BB6_8085 Depth=2
	s_or_b32 exec_lo, exec_lo, s28
	s_and_b32 s12, s12, exec_lo
	s_or_saveexec_b32 s27, s27
	v_mov_b32_e32 v66, 0x7f800001
	s_xor_b32 exec_lo, exec_lo, s27
	s_cbranch_execnz .LBB6_9348
.LBB6_9065:                             ;   in Loop: Header=BB6_8085 Depth=2
	s_or_b32 exec_lo, exec_lo, s27
	s_and_saveexec_b32 s27, s12
	s_cbranch_execz .LBB6_9067
.LBB6_9066:                             ;   in Loop: Header=BB6_8085 Depth=2
	v_and_b32_e32 v66, 7, v16
	v_lshrrev_b16 v83, 3, v16
	v_ffbh_u32_e32 v81, v66
	v_and_b32_e32 v83, 15, v83
	v_min_u32_e32 v81, 32, v81
	v_cmp_eq_u32_e32 vcc_lo, 0, v83
	v_subrev_nc_u32_e32 v84, 28, v81
	v_sub_nc_u32_e32 v81, 29, v81
	v_lshlrev_b32_e32 v84, v84, v16
	v_lshlrev_b32_e32 v16, 24, v16
	v_cndmask_b32_e32 v81, v83, v81, vcc_lo
	v_and_b32_e32 v84, 7, v84
	v_and_b32_e32 v16, 0x80000000, v16
	v_lshl_add_u32 v81, v81, 23, 0x3b800000
	v_cndmask_b32_e32 v66, v66, v84, vcc_lo
	v_lshlrev_b32_e32 v66, 20, v66
	v_or3_b32 v66, v16, v81, v66
.LBB6_9067:                             ;   in Loop: Header=BB6_8085 Depth=2
	s_or_b32 exec_lo, exec_lo, s27
	s_waitcnt vmcnt(5) lgkmcnt(5)
	v_cmp_gt_i16_sdwa s27, v37, v101 src0_sel:BYTE_0 src1_sel:DWORD
	s_mov_b32 s12, 0
	s_and_saveexec_b32 s28, s27
	s_xor_b32 s27, exec_lo, s28
	s_cbranch_execz .LBB6_9349
; %bb.9068:                             ;   in Loop: Header=BB6_8085 Depth=2
	v_cmp_eq_u16_sdwa s29, v37, v102 src0_sel:BYTE_0 src1_sel:DWORD
	s_mov_b32 s12, -1
	s_and_saveexec_b32 s28, s29
; %bb.9069:                             ;   in Loop: Header=BB6_8085 Depth=2
	s_xor_b32 s12, exec_lo, -1
; %bb.9070:                             ;   in Loop: Header=BB6_8085 Depth=2
	s_or_b32 exec_lo, exec_lo, s28
	s_and_b32 s12, s12, exec_lo
	s_or_saveexec_b32 s27, s27
	v_mov_b32_e32 v16, 0x7f800001
	s_xor_b32 exec_lo, exec_lo, s27
	s_cbranch_execnz .LBB6_9350
.LBB6_9071:                             ;   in Loop: Header=BB6_8085 Depth=2
	s_or_b32 exec_lo, exec_lo, s27
	s_and_saveexec_b32 s27, s12
	s_cbranch_execz .LBB6_9073
.LBB6_9072:                             ;   in Loop: Header=BB6_8085 Depth=2
	v_and_b32_e32 v16, 7, v37
	v_lshrrev_b16 v83, 3, v37
	v_ffbh_u32_e32 v81, v16
	v_and_b32_e32 v83, 15, v83
	v_min_u32_e32 v81, 32, v81
	v_cmp_eq_u32_e32 vcc_lo, 0, v83
	v_subrev_nc_u32_e32 v84, 28, v81
	v_sub_nc_u32_e32 v81, 29, v81
	v_lshlrev_b32_e32 v84, v84, v37
	v_lshlrev_b32_e32 v37, 24, v37
	v_cndmask_b32_e32 v81, v83, v81, vcc_lo
	v_and_b32_e32 v84, 7, v84
	v_and_b32_e32 v37, 0x80000000, v37
	v_lshl_add_u32 v81, v81, 23, 0x3b800000
	v_cndmask_b32_e32 v16, v16, v84, vcc_lo
	v_lshlrev_b32_e32 v16, 20, v16
	v_or3_b32 v16, v37, v81, v16
.LBB6_9073:                             ;   in Loop: Header=BB6_8085 Depth=2
	s_or_b32 exec_lo, exec_lo, s27
	v_add_f32_e32 v37, v66, v16
	v_and_b32_e32 v16, 0x7f800000, v37
	v_cmp_ne_u32_e32 vcc_lo, 0x7f800000, v16
	v_mov_b32_e32 v16, 0x80
	s_and_saveexec_b32 s27, vcc_lo
	s_cbranch_execz .LBB6_9081
; %bb.9074:                             ;   in Loop: Header=BB6_8085 Depth=2
	v_mov_b32_e32 v16, 0
	s_mov_b32 s28, exec_lo
	v_cmpx_ne_u32_e32 0, v37
	s_cbranch_execz .LBB6_9080
; %bb.9075:                             ;   in Loop: Header=BB6_8085 Depth=2
	v_bfe_u32 v16, v37, 23, 8
	v_and_b32_e32 v66, 0x7fffff, v37
	v_sub_nc_u32_e32 v81, 0x78, v16
	v_cmp_gt_u32_e32 vcc_lo, 0x79, v16
	v_or_b32_e32 v83, 0x800000, v66
	v_cndmask_b32_e32 v81, 0, v81, vcc_lo
	v_cmp_eq_u32_e32 vcc_lo, 0, v16
	v_add_nc_u32_e32 v16, 0xffffff89, v16
	v_cndmask_b32_e64 v81, v81, 0x77, vcc_lo
	v_cndmask_b32_e32 v66, v83, v66, vcc_lo
	v_cndmask_b32_e64 v16, v16, 0xffffff8a, vcc_lo
	v_lshl_add_u32 v83, 0x100000, v81, -1
	v_lshrrev_b32_e32 v84, v81, v66
	v_lshlrev_b32_e64 v100, v81, 0x80000
	v_add_nc_u32_e32 v81, v81, v16
	v_and_b32_e32 v66, v83, v66
	v_bfe_u32 v85, v84, 20, 1
	v_cmp_eq_u32_e64 s12, v66, v100
	v_add_nc_u32_e32 v83, -1, v85
	v_cndmask_b32_e64 v66, 0, v83, s12
	v_lshrrev_b32_e32 v83, 23, v84
	s_mov_b32 s12, exec_lo
	v_add_nc_u32_e32 v66, v66, v84
	v_xor_b32_e32 v83, 1, v83
	v_and_b32_e32 v16, 0xfffff, v66
	v_add_nc_u32_e32 v66, v16, v84
                                        ; implicit-def: $vgpr16
	v_cmpx_ne_u32_e64 v81, v83
	s_xor_b32 s12, exec_lo, s12
; %bb.9076:                             ;   in Loop: Header=BB6_8085 Depth=2
	v_cmp_lt_u32_e32 vcc_lo, 0xffffff, v66
	v_sub_nc_u32_e32 v16, v81, v83
	v_cndmask_b32_e64 v81, 0, 1, vcc_lo
	v_add_co_ci_u32_e64 v16, null, 0, v16, vcc_lo
	v_lshrrev_b32_e32 v66, v81, v66
; %bb.9077:                             ;   in Loop: Header=BB6_8085 Depth=2
	s_andn2_saveexec_b32 s12, s12
; %bb.9078:                             ;   in Loop: Header=BB6_8085 Depth=2
	v_bfe_u32 v16, v66, 23, 1
; %bb.9079:                             ;   in Loop: Header=BB6_8085 Depth=2
	s_or_b32 exec_lo, exec_lo, s12
	v_lshrrev_b32_e32 v66, 20, v66
	v_cmp_gt_i32_e32 vcc_lo, 16, v16
	v_min_i32_e32 v81, 15, v16
	v_and_b32_sdwa v37, v37, v102 dst_sel:DWORD dst_unused:UNUSED_PAD src0_sel:BYTE_3 src1_sel:DWORD
	v_cndmask_b32_e32 v66, 7, v66, vcc_lo
	v_lshlrev_b32_e32 v81, 3, v81
	v_and_b32_e32 v83, 7, v66
	v_or_b32_e32 v16, v16, v66
	v_or3_b32 v37, v81, v37, v83
	v_cmp_ne_u32_e32 vcc_lo, 0, v16
	v_cndmask_b32_e32 v16, 0, v37, vcc_lo
.LBB6_9080:                             ;   in Loop: Header=BB6_8085 Depth=2
	s_or_b32 exec_lo, exec_lo, s28
.LBB6_9081:                             ;   in Loop: Header=BB6_8085 Depth=2
	s_or_b32 exec_lo, exec_lo, s27
	v_cmp_gt_i16_sdwa s27, v9, v101 src0_sel:BYTE_0 src1_sel:DWORD
	s_mov_b32 s12, 0
	s_and_saveexec_b32 s28, s27
	s_xor_b32 s27, exec_lo, s28
	s_cbranch_execz .LBB6_9351
; %bb.9082:                             ;   in Loop: Header=BB6_8085 Depth=2
	v_cmp_eq_u16_sdwa s29, v9, v102 src0_sel:BYTE_0 src1_sel:DWORD
	s_mov_b32 s12, -1
	s_and_saveexec_b32 s28, s29
; %bb.9083:                             ;   in Loop: Header=BB6_8085 Depth=2
	s_xor_b32 s12, exec_lo, -1
; %bb.9084:                             ;   in Loop: Header=BB6_8085 Depth=2
	s_or_b32 exec_lo, exec_lo, s28
	s_and_b32 s12, s12, exec_lo
	s_or_saveexec_b32 s27, s27
	v_mov_b32_e32 v37, 0x7f800001
	s_xor_b32 exec_lo, exec_lo, s27
	s_cbranch_execnz .LBB6_9352
.LBB6_9085:                             ;   in Loop: Header=BB6_8085 Depth=2
	s_or_b32 exec_lo, exec_lo, s27
	s_and_saveexec_b32 s27, s12
	s_cbranch_execz .LBB6_9087
.LBB6_9086:                             ;   in Loop: Header=BB6_8085 Depth=2
	v_and_b32_e32 v37, 7, v9
	v_lshrrev_b16 v81, 3, v9
	v_ffbh_u32_e32 v66, v37
	v_and_b32_e32 v81, 15, v81
	v_min_u32_e32 v66, 32, v66
	v_cmp_eq_u32_e32 vcc_lo, 0, v81
	v_subrev_nc_u32_e32 v83, 28, v66
	v_sub_nc_u32_e32 v66, 29, v66
	v_lshlrev_b32_e32 v83, v83, v9
	v_lshlrev_b32_e32 v9, 24, v9
	v_cndmask_b32_e32 v66, v81, v66, vcc_lo
	v_and_b32_e32 v83, 7, v83
	v_and_b32_e32 v9, 0x80000000, v9
	v_lshl_add_u32 v66, v66, 23, 0x3b800000
	v_cndmask_b32_e32 v37, v37, v83, vcc_lo
	v_lshlrev_b32_e32 v37, 20, v37
	v_or3_b32 v37, v9, v66, v37
.LBB6_9087:                             ;   in Loop: Header=BB6_8085 Depth=2
	s_or_b32 exec_lo, exec_lo, s27
	s_waitcnt vmcnt(4) lgkmcnt(4)
	v_cmp_gt_i16_sdwa s27, v32, v101 src0_sel:BYTE_0 src1_sel:DWORD
	s_mov_b32 s12, 0
	s_and_saveexec_b32 s28, s27
	s_xor_b32 s27, exec_lo, s28
	s_cbranch_execz .LBB6_9353
; %bb.9088:                             ;   in Loop: Header=BB6_8085 Depth=2
	v_cmp_eq_u16_sdwa s29, v32, v102 src0_sel:BYTE_0 src1_sel:DWORD
	s_mov_b32 s12, -1
	s_and_saveexec_b32 s28, s29
; %bb.9089:                             ;   in Loop: Header=BB6_8085 Depth=2
	s_xor_b32 s12, exec_lo, -1
; %bb.9090:                             ;   in Loop: Header=BB6_8085 Depth=2
	s_or_b32 exec_lo, exec_lo, s28
	s_and_b32 s12, s12, exec_lo
	s_or_saveexec_b32 s27, s27
	v_mov_b32_e32 v9, 0x7f800001
	s_xor_b32 exec_lo, exec_lo, s27
	s_cbranch_execnz .LBB6_9354
.LBB6_9091:                             ;   in Loop: Header=BB6_8085 Depth=2
	s_or_b32 exec_lo, exec_lo, s27
	s_and_saveexec_b32 s27, s12
	s_cbranch_execz .LBB6_9093
.LBB6_9092:                             ;   in Loop: Header=BB6_8085 Depth=2
	v_and_b32_e32 v9, 7, v32
	v_lshrrev_b16 v81, 3, v32
	v_ffbh_u32_e32 v66, v9
	v_and_b32_e32 v81, 15, v81
	v_min_u32_e32 v66, 32, v66
	v_cmp_eq_u32_e32 vcc_lo, 0, v81
	v_subrev_nc_u32_e32 v83, 28, v66
	v_sub_nc_u32_e32 v66, 29, v66
	v_lshlrev_b32_e32 v83, v83, v32
	v_lshlrev_b32_e32 v32, 24, v32
	v_cndmask_b32_e32 v66, v81, v66, vcc_lo
	v_and_b32_e32 v83, 7, v83
	v_and_b32_e32 v32, 0x80000000, v32
	v_lshl_add_u32 v66, v66, 23, 0x3b800000
	v_cndmask_b32_e32 v9, v9, v83, vcc_lo
	v_lshlrev_b32_e32 v9, 20, v9
	v_or3_b32 v9, v32, v66, v9
.LBB6_9093:                             ;   in Loop: Header=BB6_8085 Depth=2
	s_or_b32 exec_lo, exec_lo, s27
	v_add_f32_e32 v32, v37, v9
	v_and_b32_e32 v9, 0x7f800000, v32
	v_cmp_ne_u32_e32 vcc_lo, 0x7f800000, v9
	v_mov_b32_e32 v9, 0x80
	s_and_saveexec_b32 s27, vcc_lo
	s_cbranch_execz .LBB6_9101
; %bb.9094:                             ;   in Loop: Header=BB6_8085 Depth=2
	v_mov_b32_e32 v9, 0
	s_mov_b32 s28, exec_lo
	v_cmpx_ne_u32_e32 0, v32
	s_cbranch_execz .LBB6_9100
; %bb.9095:                             ;   in Loop: Header=BB6_8085 Depth=2
	v_bfe_u32 v9, v32, 23, 8
	v_and_b32_e32 v37, 0x7fffff, v32
	v_sub_nc_u32_e32 v66, 0x78, v9
	v_cmp_gt_u32_e32 vcc_lo, 0x79, v9
	v_or_b32_e32 v81, 0x800000, v37
	v_cndmask_b32_e32 v66, 0, v66, vcc_lo
	v_cmp_eq_u32_e32 vcc_lo, 0, v9
	v_add_nc_u32_e32 v9, 0xffffff89, v9
	v_cndmask_b32_e64 v66, v66, 0x77, vcc_lo
	v_cndmask_b32_e32 v37, v81, v37, vcc_lo
	v_cndmask_b32_e64 v9, v9, 0xffffff8a, vcc_lo
	v_lshl_add_u32 v81, 0x100000, v66, -1
	v_lshrrev_b32_e32 v83, v66, v37
	v_lshlrev_b32_e64 v85, v66, 0x80000
	v_add_nc_u32_e32 v66, v66, v9
	v_and_b32_e32 v37, v81, v37
	v_bfe_u32 v84, v83, 20, 1
	v_cmp_eq_u32_e64 s12, v37, v85
	v_add_nc_u32_e32 v81, -1, v84
	v_cndmask_b32_e64 v37, 0, v81, s12
	v_lshrrev_b32_e32 v81, 23, v83
	s_mov_b32 s12, exec_lo
	v_add_nc_u32_e32 v37, v37, v83
	v_xor_b32_e32 v81, 1, v81
	v_and_b32_e32 v9, 0xfffff, v37
	v_add_nc_u32_e32 v37, v9, v83
                                        ; implicit-def: $vgpr9
	v_cmpx_ne_u32_e64 v66, v81
	s_xor_b32 s12, exec_lo, s12
; %bb.9096:                             ;   in Loop: Header=BB6_8085 Depth=2
	v_cmp_lt_u32_e32 vcc_lo, 0xffffff, v37
	v_sub_nc_u32_e32 v9, v66, v81
	v_cndmask_b32_e64 v66, 0, 1, vcc_lo
	v_add_co_ci_u32_e64 v9, null, 0, v9, vcc_lo
	v_lshrrev_b32_e32 v37, v66, v37
; %bb.9097:                             ;   in Loop: Header=BB6_8085 Depth=2
	s_andn2_saveexec_b32 s12, s12
; %bb.9098:                             ;   in Loop: Header=BB6_8085 Depth=2
	v_bfe_u32 v9, v37, 23, 1
; %bb.9099:                             ;   in Loop: Header=BB6_8085 Depth=2
	s_or_b32 exec_lo, exec_lo, s12
	v_lshrrev_b32_e32 v37, 20, v37
	v_cmp_gt_i32_e32 vcc_lo, 16, v9
	v_min_i32_e32 v66, 15, v9
	v_and_b32_sdwa v32, v32, v102 dst_sel:DWORD dst_unused:UNUSED_PAD src0_sel:BYTE_3 src1_sel:DWORD
	v_cndmask_b32_e32 v37, 7, v37, vcc_lo
	v_lshlrev_b32_e32 v66, 3, v66
	v_and_b32_e32 v81, 7, v37
	v_or_b32_e32 v9, v9, v37
	v_or3_b32 v32, v66, v32, v81
	v_cmp_ne_u32_e32 vcc_lo, 0, v9
	v_cndmask_b32_e32 v9, 0, v32, vcc_lo
.LBB6_9100:                             ;   in Loop: Header=BB6_8085 Depth=2
	s_or_b32 exec_lo, exec_lo, s28
.LBB6_9101:                             ;   in Loop: Header=BB6_8085 Depth=2
	s_or_b32 exec_lo, exec_lo, s27
	v_cmp_gt_i16_sdwa s27, v7, v101 src0_sel:BYTE_0 src1_sel:DWORD
	s_mov_b32 s12, 0
	s_and_saveexec_b32 s28, s27
	s_xor_b32 s27, exec_lo, s28
	s_cbranch_execz .LBB6_9355
; %bb.9102:                             ;   in Loop: Header=BB6_8085 Depth=2
	v_cmp_eq_u16_sdwa s29, v7, v102 src0_sel:BYTE_0 src1_sel:DWORD
	s_mov_b32 s12, -1
	s_and_saveexec_b32 s28, s29
; %bb.9103:                             ;   in Loop: Header=BB6_8085 Depth=2
	s_xor_b32 s12, exec_lo, -1
; %bb.9104:                             ;   in Loop: Header=BB6_8085 Depth=2
	s_or_b32 exec_lo, exec_lo, s28
	s_and_b32 s12, s12, exec_lo
	s_or_saveexec_b32 s27, s27
	v_mov_b32_e32 v32, 0x7f800001
	s_xor_b32 exec_lo, exec_lo, s27
	s_cbranch_execnz .LBB6_9356
.LBB6_9105:                             ;   in Loop: Header=BB6_8085 Depth=2
	s_or_b32 exec_lo, exec_lo, s27
	s_and_saveexec_b32 s27, s12
	s_cbranch_execz .LBB6_9107
.LBB6_9106:                             ;   in Loop: Header=BB6_8085 Depth=2
	v_and_b32_e32 v32, 7, v7
	v_lshrrev_b16 v66, 3, v7
	v_ffbh_u32_e32 v37, v32
	v_and_b32_e32 v66, 15, v66
	v_min_u32_e32 v37, 32, v37
	v_cmp_eq_u32_e32 vcc_lo, 0, v66
	v_subrev_nc_u32_e32 v81, 28, v37
	v_sub_nc_u32_e32 v37, 29, v37
	v_lshlrev_b32_e32 v81, v81, v7
	v_lshlrev_b32_e32 v7, 24, v7
	v_cndmask_b32_e32 v37, v66, v37, vcc_lo
	v_and_b32_e32 v81, 7, v81
	v_and_b32_e32 v7, 0x80000000, v7
	v_lshl_add_u32 v37, v37, 23, 0x3b800000
	v_cndmask_b32_e32 v32, v32, v81, vcc_lo
	v_lshlrev_b32_e32 v32, 20, v32
	v_or3_b32 v32, v7, v37, v32
.LBB6_9107:                             ;   in Loop: Header=BB6_8085 Depth=2
	s_or_b32 exec_lo, exec_lo, s27
	s_waitcnt vmcnt(3) lgkmcnt(3)
	v_cmp_gt_i16_sdwa s27, v26, v101 src0_sel:BYTE_0 src1_sel:DWORD
	s_mov_b32 s12, 0
	s_and_saveexec_b32 s28, s27
	s_xor_b32 s27, exec_lo, s28
	s_cbranch_execz .LBB6_9357
; %bb.9108:                             ;   in Loop: Header=BB6_8085 Depth=2
	v_cmp_eq_u16_sdwa s29, v26, v102 src0_sel:BYTE_0 src1_sel:DWORD
	s_mov_b32 s12, -1
	s_and_saveexec_b32 s28, s29
; %bb.9109:                             ;   in Loop: Header=BB6_8085 Depth=2
	s_xor_b32 s12, exec_lo, -1
; %bb.9110:                             ;   in Loop: Header=BB6_8085 Depth=2
	s_or_b32 exec_lo, exec_lo, s28
	s_and_b32 s12, s12, exec_lo
	s_or_saveexec_b32 s27, s27
	v_mov_b32_e32 v7, 0x7f800001
	s_xor_b32 exec_lo, exec_lo, s27
	s_cbranch_execnz .LBB6_9358
.LBB6_9111:                             ;   in Loop: Header=BB6_8085 Depth=2
	s_or_b32 exec_lo, exec_lo, s27
	s_and_saveexec_b32 s27, s12
	s_cbranch_execz .LBB6_9113
.LBB6_9112:                             ;   in Loop: Header=BB6_8085 Depth=2
	v_and_b32_e32 v7, 7, v26
	v_lshrrev_b16 v66, 3, v26
	v_ffbh_u32_e32 v37, v7
	v_and_b32_e32 v66, 15, v66
	v_min_u32_e32 v37, 32, v37
	v_cmp_eq_u32_e32 vcc_lo, 0, v66
	v_subrev_nc_u32_e32 v81, 28, v37
	v_sub_nc_u32_e32 v37, 29, v37
	v_lshlrev_b32_e32 v81, v81, v26
	v_lshlrev_b32_e32 v26, 24, v26
	v_cndmask_b32_e32 v37, v66, v37, vcc_lo
	v_and_b32_e32 v81, 7, v81
	v_and_b32_e32 v26, 0x80000000, v26
	v_lshl_add_u32 v37, v37, 23, 0x3b800000
	v_cndmask_b32_e32 v7, v7, v81, vcc_lo
	v_lshlrev_b32_e32 v7, 20, v7
	v_or3_b32 v7, v26, v37, v7
.LBB6_9113:                             ;   in Loop: Header=BB6_8085 Depth=2
	s_or_b32 exec_lo, exec_lo, s27
	v_add_f32_e32 v26, v32, v7
	v_and_b32_e32 v7, 0x7f800000, v26
	v_cmp_ne_u32_e32 vcc_lo, 0x7f800000, v7
	v_mov_b32_e32 v7, 0x80
	s_and_saveexec_b32 s27, vcc_lo
	s_cbranch_execz .LBB6_9121
; %bb.9114:                             ;   in Loop: Header=BB6_8085 Depth=2
	v_mov_b32_e32 v7, 0
	s_mov_b32 s28, exec_lo
	v_cmpx_ne_u32_e32 0, v26
	s_cbranch_execz .LBB6_9120
; %bb.9115:                             ;   in Loop: Header=BB6_8085 Depth=2
	v_bfe_u32 v7, v26, 23, 8
	v_and_b32_e32 v32, 0x7fffff, v26
	v_sub_nc_u32_e32 v37, 0x78, v7
	v_cmp_gt_u32_e32 vcc_lo, 0x79, v7
	v_or_b32_e32 v66, 0x800000, v32
	v_cndmask_b32_e32 v37, 0, v37, vcc_lo
	v_cmp_eq_u32_e32 vcc_lo, 0, v7
	v_add_nc_u32_e32 v7, 0xffffff89, v7
	v_cndmask_b32_e64 v37, v37, 0x77, vcc_lo
	v_cndmask_b32_e32 v32, v66, v32, vcc_lo
	v_cndmask_b32_e64 v7, v7, 0xffffff8a, vcc_lo
	v_lshl_add_u32 v66, 0x100000, v37, -1
	v_lshrrev_b32_e32 v81, v37, v32
	v_lshlrev_b32_e64 v84, v37, 0x80000
	v_add_nc_u32_e32 v37, v37, v7
	v_and_b32_e32 v32, v66, v32
	v_bfe_u32 v83, v81, 20, 1
	v_cmp_eq_u32_e64 s12, v32, v84
	v_add_nc_u32_e32 v66, -1, v83
	v_cndmask_b32_e64 v32, 0, v66, s12
	v_lshrrev_b32_e32 v66, 23, v81
	s_mov_b32 s12, exec_lo
	v_add_nc_u32_e32 v32, v32, v81
	v_xor_b32_e32 v66, 1, v66
	v_and_b32_e32 v7, 0xfffff, v32
	v_add_nc_u32_e32 v32, v7, v81
                                        ; implicit-def: $vgpr7
	v_cmpx_ne_u32_e64 v37, v66
	s_xor_b32 s12, exec_lo, s12
; %bb.9116:                             ;   in Loop: Header=BB6_8085 Depth=2
	v_cmp_lt_u32_e32 vcc_lo, 0xffffff, v32
	v_sub_nc_u32_e32 v7, v37, v66
	v_cndmask_b32_e64 v37, 0, 1, vcc_lo
	v_add_co_ci_u32_e64 v7, null, 0, v7, vcc_lo
	v_lshrrev_b32_e32 v32, v37, v32
; %bb.9117:                             ;   in Loop: Header=BB6_8085 Depth=2
	s_andn2_saveexec_b32 s12, s12
; %bb.9118:                             ;   in Loop: Header=BB6_8085 Depth=2
	v_bfe_u32 v7, v32, 23, 1
; %bb.9119:                             ;   in Loop: Header=BB6_8085 Depth=2
	s_or_b32 exec_lo, exec_lo, s12
	v_lshrrev_b32_e32 v32, 20, v32
	v_cmp_gt_i32_e32 vcc_lo, 16, v7
	v_min_i32_e32 v37, 15, v7
	v_and_b32_sdwa v26, v26, v102 dst_sel:DWORD dst_unused:UNUSED_PAD src0_sel:BYTE_3 src1_sel:DWORD
	v_cndmask_b32_e32 v32, 7, v32, vcc_lo
	v_lshlrev_b32_e32 v37, 3, v37
	v_and_b32_e32 v66, 7, v32
	v_or_b32_e32 v7, v7, v32
	v_or3_b32 v26, v37, v26, v66
	v_cmp_ne_u32_e32 vcc_lo, 0, v7
	v_cndmask_b32_e32 v7, 0, v26, vcc_lo
.LBB6_9120:                             ;   in Loop: Header=BB6_8085 Depth=2
	s_or_b32 exec_lo, exec_lo, s28
.LBB6_9121:                             ;   in Loop: Header=BB6_8085 Depth=2
	s_or_b32 exec_lo, exec_lo, s27
	v_cmp_gt_i16_sdwa s27, v6, v101 src0_sel:BYTE_0 src1_sel:DWORD
	s_mov_b32 s12, 0
	s_and_saveexec_b32 s28, s27
	s_xor_b32 s27, exec_lo, s28
	s_cbranch_execz .LBB6_9359
; %bb.9122:                             ;   in Loop: Header=BB6_8085 Depth=2
	v_cmp_eq_u16_sdwa s29, v6, v102 src0_sel:BYTE_0 src1_sel:DWORD
	s_mov_b32 s12, -1
	s_and_saveexec_b32 s28, s29
; %bb.9123:                             ;   in Loop: Header=BB6_8085 Depth=2
	s_xor_b32 s12, exec_lo, -1
; %bb.9124:                             ;   in Loop: Header=BB6_8085 Depth=2
	s_or_b32 exec_lo, exec_lo, s28
	s_and_b32 s12, s12, exec_lo
	s_or_saveexec_b32 s27, s27
	v_mov_b32_e32 v26, 0x7f800001
	s_xor_b32 exec_lo, exec_lo, s27
	s_cbranch_execnz .LBB6_9360
.LBB6_9125:                             ;   in Loop: Header=BB6_8085 Depth=2
	s_or_b32 exec_lo, exec_lo, s27
	s_and_saveexec_b32 s27, s12
	s_cbranch_execz .LBB6_9127
.LBB6_9126:                             ;   in Loop: Header=BB6_8085 Depth=2
	v_and_b32_e32 v26, 7, v6
	v_lshrrev_b16 v37, 3, v6
	v_ffbh_u32_e32 v32, v26
	v_and_b32_e32 v37, 15, v37
	v_min_u32_e32 v32, 32, v32
	v_cmp_eq_u32_e32 vcc_lo, 0, v37
	v_subrev_nc_u32_e32 v66, 28, v32
	v_sub_nc_u32_e32 v32, 29, v32
	v_lshlrev_b32_e32 v66, v66, v6
	v_lshlrev_b32_e32 v6, 24, v6
	v_cndmask_b32_e32 v32, v37, v32, vcc_lo
	v_and_b32_e32 v66, 7, v66
	v_and_b32_e32 v6, 0x80000000, v6
	v_lshl_add_u32 v32, v32, 23, 0x3b800000
	v_cndmask_b32_e32 v26, v26, v66, vcc_lo
	v_lshlrev_b32_e32 v26, 20, v26
	v_or3_b32 v26, v6, v32, v26
.LBB6_9127:                             ;   in Loop: Header=BB6_8085 Depth=2
	s_or_b32 exec_lo, exec_lo, s27
	s_waitcnt vmcnt(2) lgkmcnt(2)
	v_cmp_gt_i16_sdwa s27, v22, v101 src0_sel:BYTE_0 src1_sel:DWORD
	s_mov_b32 s12, 0
	s_and_saveexec_b32 s28, s27
	s_xor_b32 s27, exec_lo, s28
	s_cbranch_execz .LBB6_9361
; %bb.9128:                             ;   in Loop: Header=BB6_8085 Depth=2
	v_cmp_eq_u16_sdwa s29, v22, v102 src0_sel:BYTE_0 src1_sel:DWORD
	s_mov_b32 s12, -1
	s_and_saveexec_b32 s28, s29
; %bb.9129:                             ;   in Loop: Header=BB6_8085 Depth=2
	s_xor_b32 s12, exec_lo, -1
; %bb.9130:                             ;   in Loop: Header=BB6_8085 Depth=2
	s_or_b32 exec_lo, exec_lo, s28
	s_and_b32 s12, s12, exec_lo
	s_or_saveexec_b32 s27, s27
	v_mov_b32_e32 v6, 0x7f800001
	s_xor_b32 exec_lo, exec_lo, s27
	s_cbranch_execnz .LBB6_9362
.LBB6_9131:                             ;   in Loop: Header=BB6_8085 Depth=2
	s_or_b32 exec_lo, exec_lo, s27
	s_and_saveexec_b32 s27, s12
	s_cbranch_execz .LBB6_9133
.LBB6_9132:                             ;   in Loop: Header=BB6_8085 Depth=2
	v_and_b32_e32 v6, 7, v22
	v_lshrrev_b16 v37, 3, v22
	v_ffbh_u32_e32 v32, v6
	v_and_b32_e32 v37, 15, v37
	v_min_u32_e32 v32, 32, v32
	v_cmp_eq_u32_e32 vcc_lo, 0, v37
	v_subrev_nc_u32_e32 v66, 28, v32
	v_sub_nc_u32_e32 v32, 29, v32
	v_lshlrev_b32_e32 v66, v66, v22
	v_lshlrev_b32_e32 v22, 24, v22
	v_cndmask_b32_e32 v32, v37, v32, vcc_lo
	v_and_b32_e32 v66, 7, v66
	v_and_b32_e32 v22, 0x80000000, v22
	v_lshl_add_u32 v32, v32, 23, 0x3b800000
	v_cndmask_b32_e32 v6, v6, v66, vcc_lo
	v_lshlrev_b32_e32 v6, 20, v6
	v_or3_b32 v6, v22, v32, v6
.LBB6_9133:                             ;   in Loop: Header=BB6_8085 Depth=2
	s_or_b32 exec_lo, exec_lo, s27
	v_add_f32_e32 v22, v26, v6
	v_and_b32_e32 v6, 0x7f800000, v22
	v_cmp_ne_u32_e32 vcc_lo, 0x7f800000, v6
	v_mov_b32_e32 v6, 0x80
	s_and_saveexec_b32 s27, vcc_lo
	s_cbranch_execz .LBB6_9141
; %bb.9134:                             ;   in Loop: Header=BB6_8085 Depth=2
	v_mov_b32_e32 v6, 0
	s_mov_b32 s28, exec_lo
	v_cmpx_ne_u32_e32 0, v22
	s_cbranch_execz .LBB6_9140
; %bb.9135:                             ;   in Loop: Header=BB6_8085 Depth=2
	v_bfe_u32 v6, v22, 23, 8
	v_and_b32_e32 v26, 0x7fffff, v22
	v_sub_nc_u32_e32 v32, 0x78, v6
	v_cmp_gt_u32_e32 vcc_lo, 0x79, v6
	v_or_b32_e32 v37, 0x800000, v26
	v_cndmask_b32_e32 v32, 0, v32, vcc_lo
	v_cmp_eq_u32_e32 vcc_lo, 0, v6
	v_add_nc_u32_e32 v6, 0xffffff89, v6
	v_cndmask_b32_e64 v32, v32, 0x77, vcc_lo
	v_cndmask_b32_e32 v26, v37, v26, vcc_lo
	v_cndmask_b32_e64 v6, v6, 0xffffff8a, vcc_lo
	v_lshl_add_u32 v37, 0x100000, v32, -1
	v_lshrrev_b32_e32 v66, v32, v26
	v_lshlrev_b32_e64 v83, v32, 0x80000
	v_add_nc_u32_e32 v32, v32, v6
	v_and_b32_e32 v26, v37, v26
	v_bfe_u32 v81, v66, 20, 1
	v_cmp_eq_u32_e64 s12, v26, v83
	v_add_nc_u32_e32 v37, -1, v81
	v_cndmask_b32_e64 v26, 0, v37, s12
	v_lshrrev_b32_e32 v37, 23, v66
	s_mov_b32 s12, exec_lo
	v_add_nc_u32_e32 v26, v26, v66
	v_xor_b32_e32 v37, 1, v37
	v_and_b32_e32 v6, 0xfffff, v26
	v_add_nc_u32_e32 v26, v6, v66
                                        ; implicit-def: $vgpr6
	v_cmpx_ne_u32_e64 v32, v37
	s_xor_b32 s12, exec_lo, s12
; %bb.9136:                             ;   in Loop: Header=BB6_8085 Depth=2
	v_cmp_lt_u32_e32 vcc_lo, 0xffffff, v26
	v_sub_nc_u32_e32 v6, v32, v37
	v_cndmask_b32_e64 v32, 0, 1, vcc_lo
	v_add_co_ci_u32_e64 v6, null, 0, v6, vcc_lo
	v_lshrrev_b32_e32 v26, v32, v26
; %bb.9137:                             ;   in Loop: Header=BB6_8085 Depth=2
	s_andn2_saveexec_b32 s12, s12
; %bb.9138:                             ;   in Loop: Header=BB6_8085 Depth=2
	v_bfe_u32 v6, v26, 23, 1
; %bb.9139:                             ;   in Loop: Header=BB6_8085 Depth=2
	s_or_b32 exec_lo, exec_lo, s12
	v_lshrrev_b32_e32 v26, 20, v26
	v_cmp_gt_i32_e32 vcc_lo, 16, v6
	v_min_i32_e32 v32, 15, v6
	v_and_b32_sdwa v22, v22, v102 dst_sel:DWORD dst_unused:UNUSED_PAD src0_sel:BYTE_3 src1_sel:DWORD
	v_cndmask_b32_e32 v26, 7, v26, vcc_lo
	v_lshlrev_b32_e32 v32, 3, v32
	v_and_b32_e32 v37, 7, v26
	v_or_b32_e32 v6, v6, v26
	v_or3_b32 v22, v32, v22, v37
	v_cmp_ne_u32_e32 vcc_lo, 0, v6
	v_cndmask_b32_e32 v6, 0, v22, vcc_lo
.LBB6_9140:                             ;   in Loop: Header=BB6_8085 Depth=2
	s_or_b32 exec_lo, exec_lo, s28
.LBB6_9141:                             ;   in Loop: Header=BB6_8085 Depth=2
	s_or_b32 exec_lo, exec_lo, s27
	v_cmp_gt_i16_sdwa s27, v4, v101 src0_sel:BYTE_0 src1_sel:DWORD
	s_mov_b32 s12, 0
	s_and_saveexec_b32 s28, s27
	s_xor_b32 s27, exec_lo, s28
	s_cbranch_execz .LBB6_9363
; %bb.9142:                             ;   in Loop: Header=BB6_8085 Depth=2
	v_cmp_eq_u16_sdwa s29, v4, v102 src0_sel:BYTE_0 src1_sel:DWORD
	s_mov_b32 s12, -1
	s_and_saveexec_b32 s28, s29
; %bb.9143:                             ;   in Loop: Header=BB6_8085 Depth=2
	s_xor_b32 s12, exec_lo, -1
; %bb.9144:                             ;   in Loop: Header=BB6_8085 Depth=2
	s_or_b32 exec_lo, exec_lo, s28
	s_and_b32 s12, s12, exec_lo
	s_or_saveexec_b32 s27, s27
	v_mov_b32_e32 v22, 0x7f800001
	s_xor_b32 exec_lo, exec_lo, s27
	s_cbranch_execnz .LBB6_9364
.LBB6_9145:                             ;   in Loop: Header=BB6_8085 Depth=2
	s_or_b32 exec_lo, exec_lo, s27
	s_and_saveexec_b32 s27, s12
	s_cbranch_execz .LBB6_9147
.LBB6_9146:                             ;   in Loop: Header=BB6_8085 Depth=2
	v_and_b32_e32 v22, 7, v4
	v_lshrrev_b16 v32, 3, v4
	v_ffbh_u32_e32 v26, v22
	v_and_b32_e32 v32, 15, v32
	v_min_u32_e32 v26, 32, v26
	v_cmp_eq_u32_e32 vcc_lo, 0, v32
	v_subrev_nc_u32_e32 v37, 28, v26
	v_sub_nc_u32_e32 v26, 29, v26
	v_lshlrev_b32_e32 v37, v37, v4
	v_lshlrev_b32_e32 v4, 24, v4
	v_cndmask_b32_e32 v26, v32, v26, vcc_lo
	v_and_b32_e32 v37, 7, v37
	v_and_b32_e32 v4, 0x80000000, v4
	v_lshl_add_u32 v26, v26, 23, 0x3b800000
	v_cndmask_b32_e32 v22, v22, v37, vcc_lo
	v_lshlrev_b32_e32 v22, 20, v22
	v_or3_b32 v22, v4, v26, v22
.LBB6_9147:                             ;   in Loop: Header=BB6_8085 Depth=2
	s_or_b32 exec_lo, exec_lo, s27
	s_waitcnt vmcnt(1) lgkmcnt(1)
	v_cmp_gt_i16_sdwa s27, v8, v101 src0_sel:BYTE_0 src1_sel:DWORD
	s_mov_b32 s12, 0
	s_and_saveexec_b32 s28, s27
	s_xor_b32 s27, exec_lo, s28
	s_cbranch_execz .LBB6_9365
; %bb.9148:                             ;   in Loop: Header=BB6_8085 Depth=2
	v_cmp_eq_u16_sdwa s29, v8, v102 src0_sel:BYTE_0 src1_sel:DWORD
	s_mov_b32 s12, -1
	s_and_saveexec_b32 s28, s29
; %bb.9149:                             ;   in Loop: Header=BB6_8085 Depth=2
	s_xor_b32 s12, exec_lo, -1
; %bb.9150:                             ;   in Loop: Header=BB6_8085 Depth=2
	s_or_b32 exec_lo, exec_lo, s28
	s_and_b32 s12, s12, exec_lo
	s_or_saveexec_b32 s27, s27
	v_mov_b32_e32 v4, 0x7f800001
	s_xor_b32 exec_lo, exec_lo, s27
	s_cbranch_execnz .LBB6_9366
.LBB6_9151:                             ;   in Loop: Header=BB6_8085 Depth=2
	s_or_b32 exec_lo, exec_lo, s27
	s_and_saveexec_b32 s27, s12
	s_cbranch_execz .LBB6_9153
.LBB6_9152:                             ;   in Loop: Header=BB6_8085 Depth=2
	v_and_b32_e32 v4, 7, v8
	v_lshrrev_b16 v32, 3, v8
	v_ffbh_u32_e32 v26, v4
	v_and_b32_e32 v32, 15, v32
	v_min_u32_e32 v26, 32, v26
	v_cmp_eq_u32_e32 vcc_lo, 0, v32
	v_subrev_nc_u32_e32 v37, 28, v26
	v_sub_nc_u32_e32 v26, 29, v26
	v_lshlrev_b32_e32 v37, v37, v8
	v_lshlrev_b32_e32 v8, 24, v8
	v_cndmask_b32_e32 v26, v32, v26, vcc_lo
	v_and_b32_e32 v37, 7, v37
	v_and_b32_e32 v8, 0x80000000, v8
	v_lshl_add_u32 v26, v26, 23, 0x3b800000
	v_cndmask_b32_e32 v4, v4, v37, vcc_lo
	v_lshlrev_b32_e32 v4, 20, v4
	v_or3_b32 v4, v8, v26, v4
.LBB6_9153:                             ;   in Loop: Header=BB6_8085 Depth=2
	s_or_b32 exec_lo, exec_lo, s27
	v_add_f32_e32 v8, v22, v4
	v_and_b32_e32 v4, 0x7f800000, v8
	v_cmp_ne_u32_e32 vcc_lo, 0x7f800000, v4
	v_mov_b32_e32 v4, 0x80
	s_and_saveexec_b32 s27, vcc_lo
	s_cbranch_execz .LBB6_9161
; %bb.9154:                             ;   in Loop: Header=BB6_8085 Depth=2
	v_mov_b32_e32 v4, 0
	s_mov_b32 s28, exec_lo
	v_cmpx_ne_u32_e32 0, v8
	s_cbranch_execz .LBB6_9160
; %bb.9155:                             ;   in Loop: Header=BB6_8085 Depth=2
	v_bfe_u32 v4, v8, 23, 8
	v_and_b32_e32 v22, 0x7fffff, v8
	v_sub_nc_u32_e32 v26, 0x78, v4
	v_cmp_gt_u32_e32 vcc_lo, 0x79, v4
	v_or_b32_e32 v32, 0x800000, v22
	v_cndmask_b32_e32 v26, 0, v26, vcc_lo
	v_cmp_eq_u32_e32 vcc_lo, 0, v4
	v_add_nc_u32_e32 v4, 0xffffff89, v4
	v_cndmask_b32_e64 v26, v26, 0x77, vcc_lo
	v_cndmask_b32_e32 v22, v32, v22, vcc_lo
	v_cndmask_b32_e64 v4, v4, 0xffffff8a, vcc_lo
	v_lshl_add_u32 v32, 0x100000, v26, -1
	v_lshrrev_b32_e32 v37, v26, v22
	v_lshlrev_b32_e64 v81, v26, 0x80000
	v_add_nc_u32_e32 v26, v26, v4
	v_and_b32_e32 v22, v32, v22
	v_bfe_u32 v66, v37, 20, 1
	v_cmp_eq_u32_e64 s12, v22, v81
	v_add_nc_u32_e32 v32, -1, v66
	v_cndmask_b32_e64 v22, 0, v32, s12
	v_lshrrev_b32_e32 v32, 23, v37
	s_mov_b32 s12, exec_lo
	v_add_nc_u32_e32 v22, v22, v37
	v_xor_b32_e32 v32, 1, v32
	v_and_b32_e32 v4, 0xfffff, v22
	v_add_nc_u32_e32 v22, v4, v37
                                        ; implicit-def: $vgpr4
	v_cmpx_ne_u32_e64 v26, v32
	s_xor_b32 s12, exec_lo, s12
; %bb.9156:                             ;   in Loop: Header=BB6_8085 Depth=2
	v_cmp_lt_u32_e32 vcc_lo, 0xffffff, v22
	v_sub_nc_u32_e32 v4, v26, v32
	v_cndmask_b32_e64 v26, 0, 1, vcc_lo
	v_add_co_ci_u32_e64 v4, null, 0, v4, vcc_lo
	v_lshrrev_b32_e32 v22, v26, v22
; %bb.9157:                             ;   in Loop: Header=BB6_8085 Depth=2
	s_andn2_saveexec_b32 s12, s12
; %bb.9158:                             ;   in Loop: Header=BB6_8085 Depth=2
	v_bfe_u32 v4, v22, 23, 1
; %bb.9159:                             ;   in Loop: Header=BB6_8085 Depth=2
	s_or_b32 exec_lo, exec_lo, s12
	v_lshrrev_b32_e32 v22, 20, v22
	v_cmp_gt_i32_e32 vcc_lo, 16, v4
	v_min_i32_e32 v26, 15, v4
	v_and_b32_sdwa v8, v8, v102 dst_sel:DWORD dst_unused:UNUSED_PAD src0_sel:BYTE_3 src1_sel:DWORD
	v_cndmask_b32_e32 v22, 7, v22, vcc_lo
	v_lshlrev_b32_e32 v26, 3, v26
	v_and_b32_e32 v32, 7, v22
	v_or_b32_e32 v4, v4, v22
	v_or3_b32 v8, v26, v8, v32
	v_cmp_ne_u32_e32 vcc_lo, 0, v4
	v_cndmask_b32_e32 v4, 0, v8, vcc_lo
.LBB6_9160:                             ;   in Loop: Header=BB6_8085 Depth=2
	s_or_b32 exec_lo, exec_lo, s28
.LBB6_9161:                             ;   in Loop: Header=BB6_8085 Depth=2
	s_or_b32 exec_lo, exec_lo, s27
	v_cmp_gt_i16_sdwa s27, v1, v101 src0_sel:BYTE_0 src1_sel:DWORD
	s_mov_b32 s12, 0
	s_and_saveexec_b32 s28, s27
	s_xor_b32 s27, exec_lo, s28
	s_cbranch_execz .LBB6_9367
; %bb.9162:                             ;   in Loop: Header=BB6_8085 Depth=2
	v_cmp_eq_u16_sdwa s29, v1, v102 src0_sel:BYTE_0 src1_sel:DWORD
	s_mov_b32 s12, -1
	s_and_saveexec_b32 s28, s29
; %bb.9163:                             ;   in Loop: Header=BB6_8085 Depth=2
	s_xor_b32 s12, exec_lo, -1
; %bb.9164:                             ;   in Loop: Header=BB6_8085 Depth=2
	s_or_b32 exec_lo, exec_lo, s28
	s_and_b32 s12, s12, exec_lo
	s_or_saveexec_b32 s27, s27
	v_mov_b32_e32 v8, 0x7f800001
	s_xor_b32 exec_lo, exec_lo, s27
	s_cbranch_execnz .LBB6_9368
.LBB6_9165:                             ;   in Loop: Header=BB6_8085 Depth=2
	s_or_b32 exec_lo, exec_lo, s27
	s_and_saveexec_b32 s27, s12
	s_cbranch_execz .LBB6_9167
.LBB6_9166:                             ;   in Loop: Header=BB6_8085 Depth=2
	v_and_b32_e32 v8, 7, v1
	v_lshrrev_b16 v26, 3, v1
	v_ffbh_u32_e32 v22, v8
	v_and_b32_e32 v26, 15, v26
	v_min_u32_e32 v22, 32, v22
	v_cmp_eq_u32_e32 vcc_lo, 0, v26
	v_subrev_nc_u32_e32 v32, 28, v22
	v_sub_nc_u32_e32 v22, 29, v22
	v_lshlrev_b32_e32 v32, v32, v1
	v_lshlrev_b32_e32 v1, 24, v1
	v_cndmask_b32_e32 v22, v26, v22, vcc_lo
	v_and_b32_e32 v32, 7, v32
	v_and_b32_e32 v1, 0x80000000, v1
	v_lshl_add_u32 v22, v22, 23, 0x3b800000
	v_cndmask_b32_e32 v8, v8, v32, vcc_lo
	v_lshlrev_b32_e32 v8, 20, v8
	v_or3_b32 v8, v1, v22, v8
.LBB6_9167:                             ;   in Loop: Header=BB6_8085 Depth=2
	s_or_b32 exec_lo, exec_lo, s27
	s_waitcnt vmcnt(0) lgkmcnt(0)
	v_cmp_gt_i16_sdwa s27, v0, v101 src0_sel:BYTE_0 src1_sel:DWORD
	s_mov_b32 s12, 0
	s_and_saveexec_b32 s28, s27
	s_xor_b32 s27, exec_lo, s28
	s_cbranch_execz .LBB6_9369
; %bb.9168:                             ;   in Loop: Header=BB6_8085 Depth=2
	v_cmp_eq_u16_sdwa s29, v0, v102 src0_sel:BYTE_0 src1_sel:DWORD
	s_mov_b32 s12, -1
	s_and_saveexec_b32 s28, s29
; %bb.9169:                             ;   in Loop: Header=BB6_8085 Depth=2
	s_xor_b32 s12, exec_lo, -1
; %bb.9170:                             ;   in Loop: Header=BB6_8085 Depth=2
	s_or_b32 exec_lo, exec_lo, s28
	s_and_b32 s12, s12, exec_lo
	s_or_saveexec_b32 s27, s27
	v_mov_b32_e32 v1, 0x7f800001
	s_xor_b32 exec_lo, exec_lo, s27
	s_cbranch_execnz .LBB6_9370
.LBB6_9171:                             ;   in Loop: Header=BB6_8085 Depth=2
	s_or_b32 exec_lo, exec_lo, s27
	s_and_saveexec_b32 s27, s12
	s_cbranch_execz .LBB6_9173
.LBB6_9172:                             ;   in Loop: Header=BB6_8085 Depth=2
	v_and_b32_e32 v1, 7, v0
	v_lshrrev_b16 v26, 3, v0
	v_ffbh_u32_e32 v22, v1
	v_and_b32_e32 v26, 15, v26
	v_min_u32_e32 v22, 32, v22
	v_cmp_eq_u32_e32 vcc_lo, 0, v26
	v_subrev_nc_u32_e32 v32, 28, v22
	v_sub_nc_u32_e32 v22, 29, v22
	v_lshlrev_b32_e32 v32, v32, v0
	v_lshlrev_b32_e32 v0, 24, v0
	v_cndmask_b32_e32 v22, v26, v22, vcc_lo
	v_and_b32_e32 v32, 7, v32
	v_and_b32_e32 v0, 0x80000000, v0
	v_lshl_add_u32 v22, v22, 23, 0x3b800000
	v_cndmask_b32_e32 v1, v1, v32, vcc_lo
	v_lshlrev_b32_e32 v1, 20, v1
	v_or3_b32 v1, v0, v22, v1
.LBB6_9173:                             ;   in Loop: Header=BB6_8085 Depth=2
	s_or_b32 exec_lo, exec_lo, s27
	v_add_f32_e32 v1, v8, v1
	v_and_b32_e32 v0, 0x7f800000, v1
	v_cmp_ne_u32_e32 vcc_lo, 0x7f800000, v0
	v_mov_b32_e32 v0, 0x80
	s_and_saveexec_b32 s27, vcc_lo
	s_cbranch_execz .LBB6_8084
; %bb.9174:                             ;   in Loop: Header=BB6_8085 Depth=2
	v_mov_b32_e32 v0, 0
	s_mov_b32 s28, exec_lo
	v_cmpx_ne_u32_e32 0, v1
	s_cbranch_execz .LBB6_8083
; %bb.9175:                             ;   in Loop: Header=BB6_8085 Depth=2
	v_bfe_u32 v0, v1, 23, 8
	v_and_b32_e32 v8, 0x7fffff, v1
	v_sub_nc_u32_e32 v22, 0x78, v0
	v_cmp_gt_u32_e32 vcc_lo, 0x79, v0
	v_or_b32_e32 v26, 0x800000, v8
	v_cndmask_b32_e32 v22, 0, v22, vcc_lo
	v_cmp_eq_u32_e32 vcc_lo, 0, v0
	v_add_nc_u32_e32 v0, 0xffffff89, v0
	v_cndmask_b32_e64 v22, v22, 0x77, vcc_lo
	v_cndmask_b32_e32 v8, v26, v8, vcc_lo
	v_cndmask_b32_e64 v0, v0, 0xffffff8a, vcc_lo
	v_lshl_add_u32 v26, 0x100000, v22, -1
	v_lshrrev_b32_e32 v32, v22, v8
	v_lshlrev_b32_e64 v66, v22, 0x80000
	v_add_nc_u32_e32 v22, v22, v0
	v_and_b32_e32 v8, v26, v8
	v_bfe_u32 v37, v32, 20, 1
	v_cmp_eq_u32_e64 s12, v8, v66
	v_add_nc_u32_e32 v26, -1, v37
	v_cndmask_b32_e64 v8, 0, v26, s12
	v_lshrrev_b32_e32 v26, 23, v32
	s_mov_b32 s12, exec_lo
	v_add_nc_u32_e32 v8, v8, v32
	v_xor_b32_e32 v26, 1, v26
	v_and_b32_e32 v0, 0xfffff, v8
	v_add_nc_u32_e32 v8, v0, v32
                                        ; implicit-def: $vgpr0
	v_cmpx_ne_u32_e64 v22, v26
	s_xor_b32 s12, exec_lo, s12
; %bb.9176:                             ;   in Loop: Header=BB6_8085 Depth=2
	v_cmp_lt_u32_e32 vcc_lo, 0xffffff, v8
	v_sub_nc_u32_e32 v0, v22, v26
	v_cndmask_b32_e64 v22, 0, 1, vcc_lo
	v_add_co_ci_u32_e64 v0, null, 0, v0, vcc_lo
	v_lshrrev_b32_e32 v8, v22, v8
; %bb.9177:                             ;   in Loop: Header=BB6_8085 Depth=2
	s_andn2_saveexec_b32 s12, s12
	s_cbranch_execz .LBB6_8082
; %bb.9178:                             ;   in Loop: Header=BB6_8085 Depth=2
	v_bfe_u32 v0, v8, 23, 1
	s_branch .LBB6_8082
.LBB6_9179:                             ;   in Loop: Header=BB6_8085 Depth=2
	s_or_saveexec_b32 s27, s27
	v_mov_b32_e32 v4, 0x7f800001
	s_xor_b32 exec_lo, exec_lo, s27
	s_cbranch_execz .LBB6_8097
.LBB6_9180:                             ;   in Loop: Header=BB6_8085 Depth=2
	v_cmp_ne_u16_e32 vcc_lo, 0, v1
	v_mov_b32_e32 v4, 0
	s_andn2_b32 s12, s12, exec_lo
	s_and_b32 s28, vcc_lo, exec_lo
	s_or_b32 s12, s12, s28
	s_or_b32 exec_lo, exec_lo, s27
	s_and_saveexec_b32 s27, s12
	s_cbranch_execnz .LBB6_8098
	s_branch .LBB6_8099
.LBB6_9181:                             ;   in Loop: Header=BB6_8085 Depth=2
	s_or_saveexec_b32 s27, s27
	v_mov_b32_e32 v4, 0x7f800001
	s_xor_b32 exec_lo, exec_lo, s27
	s_cbranch_execz .LBB6_8111
.LBB6_9182:                             ;   in Loop: Header=BB6_8085 Depth=2
	v_cmp_ne_u16_e32 vcc_lo, 0, v1
	v_mov_b32_e32 v4, 0
	s_andn2_b32 s12, s12, exec_lo
	s_and_b32 s28, vcc_lo, exec_lo
	s_or_b32 s12, s12, s28
	s_or_b32 exec_lo, exec_lo, s27
	s_and_saveexec_b32 s27, s12
	s_cbranch_execnz .LBB6_8112
	s_branch .LBB6_8113
.LBB6_9183:                             ;   in Loop: Header=BB6_8085 Depth=2
	s_or_saveexec_b32 s27, s27
	v_mov_b32_e32 v4, 0x7f800001
	s_xor_b32 exec_lo, exec_lo, s27
	s_cbranch_execz .LBB6_8125
.LBB6_9184:                             ;   in Loop: Header=BB6_8085 Depth=2
	v_cmp_ne_u16_e32 vcc_lo, 0, v1
	v_mov_b32_e32 v4, 0
	s_andn2_b32 s12, s12, exec_lo
	s_and_b32 s28, vcc_lo, exec_lo
	s_or_b32 s12, s12, s28
	s_or_b32 exec_lo, exec_lo, s27
	s_and_saveexec_b32 s27, s12
	s_cbranch_execnz .LBB6_8126
	s_branch .LBB6_8127
.LBB6_9185:                             ;   in Loop: Header=BB6_8085 Depth=2
	s_or_saveexec_b32 s27, s27
	v_mov_b32_e32 v4, 0x7f800001
	s_xor_b32 exec_lo, exec_lo, s27
	s_cbranch_execz .LBB6_8139
.LBB6_9186:                             ;   in Loop: Header=BB6_8085 Depth=2
	v_cmp_ne_u16_e32 vcc_lo, 0, v1
	v_mov_b32_e32 v4, 0
	s_andn2_b32 s12, s12, exec_lo
	s_and_b32 s28, vcc_lo, exec_lo
	s_or_b32 s12, s12, s28
	s_or_b32 exec_lo, exec_lo, s27
	s_and_saveexec_b32 s27, s12
	s_cbranch_execnz .LBB6_8140
	s_branch .LBB6_8141
.LBB6_9187:                             ;   in Loop: Header=BB6_8085 Depth=2
	s_or_saveexec_b32 s27, s27
	v_mov_b32_e32 v4, 0x7f800001
	s_xor_b32 exec_lo, exec_lo, s27
	s_cbranch_execz .LBB6_8153
.LBB6_9188:                             ;   in Loop: Header=BB6_8085 Depth=2
	v_cmp_ne_u16_e32 vcc_lo, 0, v1
	v_mov_b32_e32 v4, 0
	s_andn2_b32 s12, s12, exec_lo
	s_and_b32 s28, vcc_lo, exec_lo
	s_or_b32 s12, s12, s28
	s_or_b32 exec_lo, exec_lo, s27
	s_and_saveexec_b32 s27, s12
	s_cbranch_execnz .LBB6_8154
	s_branch .LBB6_8155
.LBB6_9189:                             ;   in Loop: Header=BB6_8085 Depth=2
	s_or_saveexec_b32 s27, s27
	v_mov_b32_e32 v4, 0x7f800001
	s_xor_b32 exec_lo, exec_lo, s27
	s_cbranch_execz .LBB6_8167
.LBB6_9190:                             ;   in Loop: Header=BB6_8085 Depth=2
	v_cmp_ne_u16_e32 vcc_lo, 0, v1
	v_mov_b32_e32 v4, 0
	s_andn2_b32 s12, s12, exec_lo
	s_and_b32 s28, vcc_lo, exec_lo
	s_or_b32 s12, s12, s28
	s_or_b32 exec_lo, exec_lo, s27
	s_and_saveexec_b32 s27, s12
	s_cbranch_execnz .LBB6_8168
	s_branch .LBB6_8169
.LBB6_9191:                             ;   in Loop: Header=BB6_8085 Depth=2
	s_or_saveexec_b32 s27, s27
	v_mov_b32_e32 v4, 0x7f800001
	s_xor_b32 exec_lo, exec_lo, s27
	s_cbranch_execz .LBB6_8181
.LBB6_9192:                             ;   in Loop: Header=BB6_8085 Depth=2
	v_cmp_ne_u16_e32 vcc_lo, 0, v1
	v_mov_b32_e32 v4, 0
	s_andn2_b32 s12, s12, exec_lo
	s_and_b32 s28, vcc_lo, exec_lo
	s_or_b32 s12, s12, s28
	s_or_b32 exec_lo, exec_lo, s27
	s_and_saveexec_b32 s27, s12
	s_cbranch_execnz .LBB6_8182
	s_branch .LBB6_8183
.LBB6_9193:                             ;   in Loop: Header=BB6_8085 Depth=2
	s_or_saveexec_b32 s27, s27
	v_mov_b32_e32 v4, 0x7f800001
	s_xor_b32 exec_lo, exec_lo, s27
	s_cbranch_execz .LBB6_8195
.LBB6_9194:                             ;   in Loop: Header=BB6_8085 Depth=2
	v_cmp_ne_u16_e32 vcc_lo, 0, v1
	v_mov_b32_e32 v4, 0
	s_andn2_b32 s12, s12, exec_lo
	s_and_b32 s28, vcc_lo, exec_lo
	s_or_b32 s12, s12, s28
	s_or_b32 exec_lo, exec_lo, s27
	s_and_saveexec_b32 s27, s12
	s_cbranch_execnz .LBB6_8196
	s_branch .LBB6_8197
.LBB6_9195:                             ;   in Loop: Header=BB6_8085 Depth=2
	s_or_saveexec_b32 s27, s27
	v_mov_b32_e32 v4, 0x7f800001
	s_xor_b32 exec_lo, exec_lo, s27
	s_cbranch_execz .LBB6_8209
.LBB6_9196:                             ;   in Loop: Header=BB6_8085 Depth=2
	v_cmp_ne_u16_e32 vcc_lo, 0, v1
	v_mov_b32_e32 v4, 0
	s_andn2_b32 s12, s12, exec_lo
	s_and_b32 s28, vcc_lo, exec_lo
	s_or_b32 s12, s12, s28
	s_or_b32 exec_lo, exec_lo, s27
	s_and_saveexec_b32 s27, s12
	s_cbranch_execnz .LBB6_8210
	s_branch .LBB6_8211
.LBB6_9197:                             ;   in Loop: Header=BB6_8085 Depth=2
	s_or_saveexec_b32 s27, s27
	v_mov_b32_e32 v4, 0x7f800001
	s_xor_b32 exec_lo, exec_lo, s27
	s_cbranch_execz .LBB6_8223
.LBB6_9198:                             ;   in Loop: Header=BB6_8085 Depth=2
	v_cmp_ne_u16_e32 vcc_lo, 0, v1
	v_mov_b32_e32 v4, 0
	s_andn2_b32 s12, s12, exec_lo
	s_and_b32 s28, vcc_lo, exec_lo
	s_or_b32 s12, s12, s28
	s_or_b32 exec_lo, exec_lo, s27
	s_and_saveexec_b32 s27, s12
	s_cbranch_execnz .LBB6_8224
	s_branch .LBB6_8225
.LBB6_9199:                             ;   in Loop: Header=BB6_8085 Depth=2
	s_or_saveexec_b32 s27, s27
	v_mov_b32_e32 v4, 0x7f800001
	s_xor_b32 exec_lo, exec_lo, s27
	s_cbranch_execz .LBB6_8237
.LBB6_9200:                             ;   in Loop: Header=BB6_8085 Depth=2
	v_cmp_ne_u16_e32 vcc_lo, 0, v1
	v_mov_b32_e32 v4, 0
	s_andn2_b32 s12, s12, exec_lo
	s_and_b32 s28, vcc_lo, exec_lo
	s_or_b32 s12, s12, s28
	s_or_b32 exec_lo, exec_lo, s27
	s_and_saveexec_b32 s27, s12
	s_cbranch_execnz .LBB6_8238
	s_branch .LBB6_8239
.LBB6_9201:                             ;   in Loop: Header=BB6_8085 Depth=2
	s_or_saveexec_b32 s27, s27
	v_mov_b32_e32 v4, 0x7f800001
	s_xor_b32 exec_lo, exec_lo, s27
	s_cbranch_execz .LBB6_8251
.LBB6_9202:                             ;   in Loop: Header=BB6_8085 Depth=2
	v_cmp_ne_u16_e32 vcc_lo, 0, v1
	v_mov_b32_e32 v4, 0
	s_andn2_b32 s12, s12, exec_lo
	s_and_b32 s28, vcc_lo, exec_lo
	s_or_b32 s12, s12, s28
	s_or_b32 exec_lo, exec_lo, s27
	s_and_saveexec_b32 s27, s12
	s_cbranch_execnz .LBB6_8252
	s_branch .LBB6_8253
.LBB6_9203:                             ;   in Loop: Header=BB6_8085 Depth=2
	s_or_saveexec_b32 s27, s27
	v_mov_b32_e32 v4, 0x7f800001
	s_xor_b32 exec_lo, exec_lo, s27
	s_cbranch_execz .LBB6_8265
.LBB6_9204:                             ;   in Loop: Header=BB6_8085 Depth=2
	v_cmp_ne_u16_e32 vcc_lo, 0, v1
	v_mov_b32_e32 v4, 0
	s_andn2_b32 s12, s12, exec_lo
	s_and_b32 s28, vcc_lo, exec_lo
	s_or_b32 s12, s12, s28
	s_or_b32 exec_lo, exec_lo, s27
	s_and_saveexec_b32 s27, s12
	s_cbranch_execnz .LBB6_8266
	s_branch .LBB6_8267
.LBB6_9205:                             ;   in Loop: Header=BB6_8085 Depth=2
	s_or_saveexec_b32 s27, s27
	v_mov_b32_e32 v4, 0x7f800001
	s_xor_b32 exec_lo, exec_lo, s27
	s_cbranch_execz .LBB6_8279
.LBB6_9206:                             ;   in Loop: Header=BB6_8085 Depth=2
	v_cmp_ne_u16_e32 vcc_lo, 0, v1
	v_mov_b32_e32 v4, 0
	s_andn2_b32 s12, s12, exec_lo
	s_and_b32 s28, vcc_lo, exec_lo
	s_or_b32 s12, s12, s28
	s_or_b32 exec_lo, exec_lo, s27
	s_and_saveexec_b32 s27, s12
	s_cbranch_execnz .LBB6_8280
	s_branch .LBB6_8281
.LBB6_9207:                             ;   in Loop: Header=BB6_8085 Depth=2
	s_or_saveexec_b32 s27, s27
	v_mov_b32_e32 v4, 0x7f800001
	s_xor_b32 exec_lo, exec_lo, s27
	s_cbranch_execz .LBB6_8293
.LBB6_9208:                             ;   in Loop: Header=BB6_8085 Depth=2
	v_cmp_ne_u16_e32 vcc_lo, 0, v1
	v_mov_b32_e32 v4, 0
	s_andn2_b32 s12, s12, exec_lo
	s_and_b32 s28, vcc_lo, exec_lo
	s_or_b32 s12, s12, s28
	s_or_b32 exec_lo, exec_lo, s27
	s_and_saveexec_b32 s27, s12
	s_cbranch_execnz .LBB6_8294
	s_branch .LBB6_8295
.LBB6_9209:                             ;   in Loop: Header=BB6_8085 Depth=2
	s_or_saveexec_b32 s27, s27
	v_mov_b32_e32 v4, 0x7f800001
	s_xor_b32 exec_lo, exec_lo, s27
	s_cbranch_execz .LBB6_8307
.LBB6_9210:                             ;   in Loop: Header=BB6_8085 Depth=2
	v_cmp_ne_u16_e32 vcc_lo, 0, v1
	v_mov_b32_e32 v4, 0
	s_andn2_b32 s12, s12, exec_lo
	s_and_b32 s28, vcc_lo, exec_lo
	s_or_b32 s12, s12, s28
	s_or_b32 exec_lo, exec_lo, s27
	s_and_saveexec_b32 s27, s12
	s_cbranch_execnz .LBB6_8308
	s_branch .LBB6_8309
.LBB6_9211:                             ;   in Loop: Header=BB6_8085 Depth=2
	s_or_saveexec_b32 s27, s27
	v_mov_b32_e32 v4, 0x7f800001
	s_xor_b32 exec_lo, exec_lo, s27
	s_cbranch_execz .LBB6_8321
.LBB6_9212:                             ;   in Loop: Header=BB6_8085 Depth=2
	v_cmp_ne_u16_e32 vcc_lo, 0, v1
	v_mov_b32_e32 v4, 0
	s_andn2_b32 s12, s12, exec_lo
	s_and_b32 s28, vcc_lo, exec_lo
	s_or_b32 s12, s12, s28
	s_or_b32 exec_lo, exec_lo, s27
	s_and_saveexec_b32 s27, s12
	s_cbranch_execnz .LBB6_8322
	s_branch .LBB6_8323
.LBB6_9213:                             ;   in Loop: Header=BB6_8085 Depth=2
	s_or_saveexec_b32 s27, s27
	v_mov_b32_e32 v4, 0x7f800001
	s_xor_b32 exec_lo, exec_lo, s27
	s_cbranch_execz .LBB6_8335
.LBB6_9214:                             ;   in Loop: Header=BB6_8085 Depth=2
	v_cmp_ne_u16_e32 vcc_lo, 0, v1
	v_mov_b32_e32 v4, 0
	s_andn2_b32 s12, s12, exec_lo
	s_and_b32 s28, vcc_lo, exec_lo
	s_or_b32 s12, s12, s28
	s_or_b32 exec_lo, exec_lo, s27
	s_and_saveexec_b32 s27, s12
	s_cbranch_execnz .LBB6_8336
	s_branch .LBB6_8337
.LBB6_9215:                             ;   in Loop: Header=BB6_8085 Depth=2
	s_or_saveexec_b32 s27, s27
	v_mov_b32_e32 v4, 0x7f800001
	s_xor_b32 exec_lo, exec_lo, s27
	s_cbranch_execz .LBB6_8349
.LBB6_9216:                             ;   in Loop: Header=BB6_8085 Depth=2
	v_cmp_ne_u16_e32 vcc_lo, 0, v1
	v_mov_b32_e32 v4, 0
	s_andn2_b32 s12, s12, exec_lo
	s_and_b32 s28, vcc_lo, exec_lo
	s_or_b32 s12, s12, s28
	s_or_b32 exec_lo, exec_lo, s27
	s_and_saveexec_b32 s27, s12
	s_cbranch_execnz .LBB6_8350
	s_branch .LBB6_8351
.LBB6_9217:                             ;   in Loop: Header=BB6_8085 Depth=2
	s_or_saveexec_b32 s27, s27
	v_mov_b32_e32 v4, 0x7f800001
	s_xor_b32 exec_lo, exec_lo, s27
	s_cbranch_execz .LBB6_8363
.LBB6_9218:                             ;   in Loop: Header=BB6_8085 Depth=2
	v_cmp_ne_u16_e32 vcc_lo, 0, v1
	v_mov_b32_e32 v4, 0
	s_andn2_b32 s12, s12, exec_lo
	s_and_b32 s28, vcc_lo, exec_lo
	s_or_b32 s12, s12, s28
	s_or_b32 exec_lo, exec_lo, s27
	s_and_saveexec_b32 s27, s12
	s_cbranch_execnz .LBB6_8364
	s_branch .LBB6_8365
.LBB6_9219:                             ;   in Loop: Header=BB6_8085 Depth=2
	s_or_saveexec_b32 s27, s27
	v_mov_b32_e32 v4, 0x7f800001
	s_xor_b32 exec_lo, exec_lo, s27
	s_cbranch_execz .LBB6_8377
.LBB6_9220:                             ;   in Loop: Header=BB6_8085 Depth=2
	v_cmp_ne_u16_e32 vcc_lo, 0, v1
	v_mov_b32_e32 v4, 0
	s_andn2_b32 s12, s12, exec_lo
	s_and_b32 s28, vcc_lo, exec_lo
	s_or_b32 s12, s12, s28
	s_or_b32 exec_lo, exec_lo, s27
	s_and_saveexec_b32 s27, s12
	s_cbranch_execnz .LBB6_8378
	s_branch .LBB6_8379
.LBB6_9221:                             ;   in Loop: Header=BB6_8085 Depth=2
	s_or_saveexec_b32 s27, s27
	v_mov_b32_e32 v4, 0x7f800001
	s_xor_b32 exec_lo, exec_lo, s27
	s_cbranch_execz .LBB6_8391
.LBB6_9222:                             ;   in Loop: Header=BB6_8085 Depth=2
	v_cmp_ne_u16_e32 vcc_lo, 0, v1
	v_mov_b32_e32 v4, 0
	s_andn2_b32 s12, s12, exec_lo
	s_and_b32 s28, vcc_lo, exec_lo
	s_or_b32 s12, s12, s28
	s_or_b32 exec_lo, exec_lo, s27
	s_and_saveexec_b32 s27, s12
	s_cbranch_execnz .LBB6_8392
	s_branch .LBB6_8393
.LBB6_9223:                             ;   in Loop: Header=BB6_8085 Depth=2
	s_or_saveexec_b32 s27, s27
	v_mov_b32_e32 v4, 0x7f800001
	s_xor_b32 exec_lo, exec_lo, s27
	s_cbranch_execz .LBB6_8405
.LBB6_9224:                             ;   in Loop: Header=BB6_8085 Depth=2
	v_cmp_ne_u16_e32 vcc_lo, 0, v1
	v_mov_b32_e32 v4, 0
	s_andn2_b32 s12, s12, exec_lo
	s_and_b32 s28, vcc_lo, exec_lo
	s_or_b32 s12, s12, s28
	s_or_b32 exec_lo, exec_lo, s27
	s_and_saveexec_b32 s27, s12
	s_cbranch_execnz .LBB6_8406
	s_branch .LBB6_8407
.LBB6_9225:                             ;   in Loop: Header=BB6_8085 Depth=2
	s_or_saveexec_b32 s27, s27
	v_mov_b32_e32 v4, 0x7f800001
	s_xor_b32 exec_lo, exec_lo, s27
	s_cbranch_execz .LBB6_8419
.LBB6_9226:                             ;   in Loop: Header=BB6_8085 Depth=2
	v_cmp_ne_u16_e32 vcc_lo, 0, v1
	v_mov_b32_e32 v4, 0
	s_andn2_b32 s12, s12, exec_lo
	s_and_b32 s28, vcc_lo, exec_lo
	s_or_b32 s12, s12, s28
	s_or_b32 exec_lo, exec_lo, s27
	s_and_saveexec_b32 s27, s12
	s_cbranch_execnz .LBB6_8420
	s_branch .LBB6_8421
.LBB6_9227:                             ;   in Loop: Header=BB6_8085 Depth=2
	s_or_saveexec_b32 s27, s27
	v_mov_b32_e32 v4, 0x7f800001
	s_xor_b32 exec_lo, exec_lo, s27
	s_cbranch_execz .LBB6_8433
.LBB6_9228:                             ;   in Loop: Header=BB6_8085 Depth=2
	v_cmp_ne_u16_e32 vcc_lo, 0, v1
	v_mov_b32_e32 v4, 0
	s_andn2_b32 s12, s12, exec_lo
	s_and_b32 s28, vcc_lo, exec_lo
	s_or_b32 s12, s12, s28
	s_or_b32 exec_lo, exec_lo, s27
	s_and_saveexec_b32 s27, s12
	s_cbranch_execnz .LBB6_8434
	s_branch .LBB6_8435
.LBB6_9229:                             ;   in Loop: Header=BB6_8085 Depth=2
	s_or_saveexec_b32 s27, s27
	v_mov_b32_e32 v4, 0x7f800001
	s_xor_b32 exec_lo, exec_lo, s27
	s_cbranch_execz .LBB6_8447
.LBB6_9230:                             ;   in Loop: Header=BB6_8085 Depth=2
	v_cmp_ne_u16_e32 vcc_lo, 0, v1
	v_mov_b32_e32 v4, 0
	s_andn2_b32 s12, s12, exec_lo
	s_and_b32 s28, vcc_lo, exec_lo
	s_or_b32 s12, s12, s28
	s_or_b32 exec_lo, exec_lo, s27
	s_and_saveexec_b32 s27, s12
	s_cbranch_execnz .LBB6_8448
	s_branch .LBB6_8449
.LBB6_9231:                             ;   in Loop: Header=BB6_8085 Depth=2
	s_or_saveexec_b32 s27, s27
	v_mov_b32_e32 v4, 0x7f800001
	s_xor_b32 exec_lo, exec_lo, s27
	s_cbranch_execz .LBB6_8461
.LBB6_9232:                             ;   in Loop: Header=BB6_8085 Depth=2
	v_cmp_ne_u16_e32 vcc_lo, 0, v1
	v_mov_b32_e32 v4, 0
	s_andn2_b32 s12, s12, exec_lo
	s_and_b32 s28, vcc_lo, exec_lo
	s_or_b32 s12, s12, s28
	s_or_b32 exec_lo, exec_lo, s27
	s_and_saveexec_b32 s27, s12
	s_cbranch_execnz .LBB6_8462
	s_branch .LBB6_8463
.LBB6_9233:                             ;   in Loop: Header=BB6_8085 Depth=2
	s_or_saveexec_b32 s27, s27
	v_mov_b32_e32 v4, 0x7f800001
	s_xor_b32 exec_lo, exec_lo, s27
	s_cbranch_execz .LBB6_8475
.LBB6_9234:                             ;   in Loop: Header=BB6_8085 Depth=2
	v_cmp_ne_u16_e32 vcc_lo, 0, v1
	v_mov_b32_e32 v4, 0
	s_andn2_b32 s12, s12, exec_lo
	s_and_b32 s28, vcc_lo, exec_lo
	s_or_b32 s12, s12, s28
	s_or_b32 exec_lo, exec_lo, s27
	s_and_saveexec_b32 s27, s12
	s_cbranch_execnz .LBB6_8476
	s_branch .LBB6_8477
.LBB6_9235:                             ;   in Loop: Header=BB6_8085 Depth=2
	s_or_saveexec_b32 s27, s27
	v_mov_b32_e32 v4, 0x7f800001
	s_xor_b32 exec_lo, exec_lo, s27
	s_cbranch_execz .LBB6_8489
.LBB6_9236:                             ;   in Loop: Header=BB6_8085 Depth=2
	v_cmp_ne_u16_e32 vcc_lo, 0, v1
	v_mov_b32_e32 v4, 0
	s_andn2_b32 s12, s12, exec_lo
	s_and_b32 s28, vcc_lo, exec_lo
	s_or_b32 s12, s12, s28
	s_or_b32 exec_lo, exec_lo, s27
	s_and_saveexec_b32 s27, s12
	s_cbranch_execnz .LBB6_8490
	s_branch .LBB6_8491
.LBB6_9237:                             ;   in Loop: Header=BB6_8085 Depth=2
	s_or_saveexec_b32 s27, s27
	v_mov_b32_e32 v4, 0x7f800001
	s_xor_b32 exec_lo, exec_lo, s27
	s_cbranch_execz .LBB6_8503
.LBB6_9238:                             ;   in Loop: Header=BB6_8085 Depth=2
	v_cmp_ne_u16_e32 vcc_lo, 0, v1
	v_mov_b32_e32 v4, 0
	s_andn2_b32 s12, s12, exec_lo
	s_and_b32 s28, vcc_lo, exec_lo
	s_or_b32 s12, s12, s28
	s_or_b32 exec_lo, exec_lo, s27
	s_and_saveexec_b32 s27, s12
	s_cbranch_execnz .LBB6_8504
	s_branch .LBB6_8505
.LBB6_9239:                             ;   in Loop: Header=BB6_8085 Depth=2
	s_or_saveexec_b32 s27, s27
	v_mov_b32_e32 v4, 0x7f800001
	s_xor_b32 exec_lo, exec_lo, s27
	s_cbranch_execz .LBB6_8517
.LBB6_9240:                             ;   in Loop: Header=BB6_8085 Depth=2
	v_cmp_ne_u16_e32 vcc_lo, 0, v1
	v_mov_b32_e32 v4, 0
	s_andn2_b32 s12, s12, exec_lo
	s_and_b32 s28, vcc_lo, exec_lo
	s_or_b32 s12, s12, s28
	s_or_b32 exec_lo, exec_lo, s27
	s_and_saveexec_b32 s27, s12
	s_cbranch_execnz .LBB6_8518
	s_branch .LBB6_8519
.LBB6_9241:                             ;   in Loop: Header=BB6_8085 Depth=2
	s_or_saveexec_b32 s27, s27
	v_mov_b32_e32 v8, 0x7f800001
	s_xor_b32 exec_lo, exec_lo, s27
	s_cbranch_execz .LBB6_8531
.LBB6_9242:                             ;   in Loop: Header=BB6_8085 Depth=2
	v_cmp_ne_u16_e32 vcc_lo, 0, v1
	v_mov_b32_e32 v8, 0
	s_andn2_b32 s12, s12, exec_lo
	s_and_b32 s28, vcc_lo, exec_lo
	s_or_b32 s12, s12, s28
	s_or_b32 exec_lo, exec_lo, s27
	s_and_saveexec_b32 s27, s12
	s_cbranch_execnz .LBB6_8532
	s_branch .LBB6_8533
.LBB6_9243:                             ;   in Loop: Header=BB6_8085 Depth=2
	s_or_saveexec_b32 s12, s12
	v_mov_b32_e32 v63, 0x7f800001
	s_xor_b32 exec_lo, exec_lo, s12
	s_cbranch_execz .LBB6_8545
.LBB6_9244:                             ;   in Loop: Header=BB6_8085 Depth=2
	v_cmp_ne_u16_sdwa s28, v5, v51 src0_sel:BYTE_0 src1_sel:DWORD
	v_mov_b32_e32 v63, 0
	s_andn2_b32 s27, s27, exec_lo
	s_and_b32 s28, s28, exec_lo
	s_or_b32 s27, s27, s28
	s_or_b32 exec_lo, exec_lo, s12
	s_and_saveexec_b32 s12, s27
	s_cbranch_execnz .LBB6_8546
	s_branch .LBB6_8547
.LBB6_9245:                             ;   in Loop: Header=BB6_8085 Depth=2
	s_or_saveexec_b32 s12, s12
	v_mov_b32_e32 v5, 0x7f800001
	s_xor_b32 exec_lo, exec_lo, s12
	s_cbranch_execz .LBB6_8551
.LBB6_9246:                             ;   in Loop: Header=BB6_8085 Depth=2
	v_cmp_ne_u16_sdwa s28, v62, v51 src0_sel:BYTE_0 src1_sel:DWORD
	v_mov_b32_e32 v5, 0
	s_andn2_b32 s27, s27, exec_lo
	s_and_b32 s28, s28, exec_lo
	s_or_b32 s27, s27, s28
	s_or_b32 exec_lo, exec_lo, s12
	s_and_saveexec_b32 s12, s27
	s_cbranch_execnz .LBB6_8552
	s_branch .LBB6_8553
.LBB6_9247:                             ;   in Loop: Header=BB6_8085 Depth=2
	s_or_saveexec_b32 s27, s27
	v_mov_b32_e32 v62, 0x7f800001
	s_xor_b32 exec_lo, exec_lo, s27
	s_cbranch_execz .LBB6_8565
.LBB6_9248:                             ;   in Loop: Header=BB6_8085 Depth=2
	v_cmp_ne_u16_sdwa s28, v17, v51 src0_sel:BYTE_0 src1_sel:DWORD
	v_mov_b32_e32 v62, 0
	s_andn2_b32 s12, s12, exec_lo
	s_and_b32 s28, s28, exec_lo
	s_or_b32 s12, s12, s28
	s_or_b32 exec_lo, exec_lo, s27
	s_and_saveexec_b32 s27, s12
	s_cbranch_execnz .LBB6_8566
	s_branch .LBB6_8567
.LBB6_9249:                             ;   in Loop: Header=BB6_8085 Depth=2
	s_or_saveexec_b32 s27, s27
	v_mov_b32_e32 v17, 0x7f800001
	s_xor_b32 exec_lo, exec_lo, s27
	s_cbranch_execz .LBB6_8571
.LBB6_9250:                             ;   in Loop: Header=BB6_8085 Depth=2
	v_cmp_ne_u16_sdwa s28, v61, v51 src0_sel:BYTE_0 src1_sel:DWORD
	v_mov_b32_e32 v17, 0
	s_andn2_b32 s12, s12, exec_lo
	s_and_b32 s28, s28, exec_lo
	s_or_b32 s12, s12, s28
	s_or_b32 exec_lo, exec_lo, s27
	s_and_saveexec_b32 s27, s12
	s_cbranch_execnz .LBB6_8572
	s_branch .LBB6_8573
.LBB6_9251:                             ;   in Loop: Header=BB6_8085 Depth=2
	s_or_saveexec_b32 s27, s27
	v_mov_b32_e32 v61, 0x7f800001
	s_xor_b32 exec_lo, exec_lo, s27
	s_cbranch_execz .LBB6_8585
.LBB6_9252:                             ;   in Loop: Header=BB6_8085 Depth=2
	v_cmp_ne_u16_sdwa s28, v27, v51 src0_sel:BYTE_0 src1_sel:DWORD
	v_mov_b32_e32 v61, 0
	s_andn2_b32 s12, s12, exec_lo
	s_and_b32 s28, s28, exec_lo
	s_or_b32 s12, s12, s28
	s_or_b32 exec_lo, exec_lo, s27
	s_and_saveexec_b32 s27, s12
	s_cbranch_execnz .LBB6_8586
	s_branch .LBB6_8587
.LBB6_9253:                             ;   in Loop: Header=BB6_8085 Depth=2
	s_or_saveexec_b32 s27, s27
	v_mov_b32_e32 v27, 0x7f800001
	s_xor_b32 exec_lo, exec_lo, s27
	s_cbranch_execz .LBB6_8591
.LBB6_9254:                             ;   in Loop: Header=BB6_8085 Depth=2
	v_cmp_ne_u16_sdwa s28, v60, v51 src0_sel:BYTE_0 src1_sel:DWORD
	v_mov_b32_e32 v27, 0
	s_andn2_b32 s12, s12, exec_lo
	s_and_b32 s28, s28, exec_lo
	s_or_b32 s12, s12, s28
	s_or_b32 exec_lo, exec_lo, s27
	s_and_saveexec_b32 s27, s12
	s_cbranch_execnz .LBB6_8592
	s_branch .LBB6_8593
.LBB6_9255:                             ;   in Loop: Header=BB6_8085 Depth=2
	s_or_saveexec_b32 s27, s27
	v_mov_b32_e32 v60, 0x7f800001
	s_xor_b32 exec_lo, exec_lo, s27
	s_cbranch_execz .LBB6_8605
.LBB6_9256:                             ;   in Loop: Header=BB6_8085 Depth=2
	v_cmp_ne_u16_sdwa s28, v33, v51 src0_sel:BYTE_0 src1_sel:DWORD
	v_mov_b32_e32 v60, 0
	s_andn2_b32 s12, s12, exec_lo
	s_and_b32 s28, s28, exec_lo
	s_or_b32 s12, s12, s28
	s_or_b32 exec_lo, exec_lo, s27
	s_and_saveexec_b32 s27, s12
	s_cbranch_execnz .LBB6_8606
	s_branch .LBB6_8607
.LBB6_9257:                             ;   in Loop: Header=BB6_8085 Depth=2
	s_or_saveexec_b32 s27, s27
	v_mov_b32_e32 v33, 0x7f800001
	s_xor_b32 exec_lo, exec_lo, s27
	s_cbranch_execz .LBB6_8611
.LBB6_9258:                             ;   in Loop: Header=BB6_8085 Depth=2
	v_cmp_ne_u16_sdwa s28, v59, v51 src0_sel:BYTE_0 src1_sel:DWORD
	v_mov_b32_e32 v33, 0
	s_andn2_b32 s12, s12, exec_lo
	s_and_b32 s28, s28, exec_lo
	s_or_b32 s12, s12, s28
	s_or_b32 exec_lo, exec_lo, s27
	s_and_saveexec_b32 s27, s12
	s_cbranch_execnz .LBB6_8612
	s_branch .LBB6_8613
.LBB6_9259:                             ;   in Loop: Header=BB6_8085 Depth=2
	s_or_saveexec_b32 s27, s27
	v_mov_b32_e32 v59, 0x7f800001
	s_xor_b32 exec_lo, exec_lo, s27
	s_cbranch_execz .LBB6_8625
.LBB6_9260:                             ;   in Loop: Header=BB6_8085 Depth=2
	v_cmp_ne_u16_sdwa s28, v48, v51 src0_sel:BYTE_0 src1_sel:DWORD
	v_mov_b32_e32 v59, 0
	s_andn2_b32 s12, s12, exec_lo
	s_and_b32 s28, s28, exec_lo
	s_or_b32 s12, s12, s28
	s_or_b32 exec_lo, exec_lo, s27
	s_and_saveexec_b32 s27, s12
	s_cbranch_execnz .LBB6_8626
	s_branch .LBB6_8627
.LBB6_9261:                             ;   in Loop: Header=BB6_8085 Depth=2
	s_or_saveexec_b32 s27, s27
	v_mov_b32_e32 v48, 0x7f800001
	s_xor_b32 exec_lo, exec_lo, s27
	s_cbranch_execz .LBB6_8631
.LBB6_9262:                             ;   in Loop: Header=BB6_8085 Depth=2
	v_cmp_ne_u16_sdwa s28, v58, v51 src0_sel:BYTE_0 src1_sel:DWORD
	v_mov_b32_e32 v48, 0
	s_andn2_b32 s12, s12, exec_lo
	s_and_b32 s28, s28, exec_lo
	s_or_b32 s12, s12, s28
	s_or_b32 exec_lo, exec_lo, s27
	s_and_saveexec_b32 s27, s12
	s_cbranch_execnz .LBB6_8632
	s_branch .LBB6_8633
.LBB6_9263:                             ;   in Loop: Header=BB6_8085 Depth=2
	s_or_saveexec_b32 s27, s27
	v_mov_b32_e32 v58, 0x7f800001
	s_xor_b32 exec_lo, exec_lo, s27
	s_cbranch_execz .LBB6_8645
.LBB6_9264:                             ;   in Loop: Header=BB6_8085 Depth=2
	v_cmp_ne_u16_sdwa s28, v67, v51 src0_sel:BYTE_0 src1_sel:DWORD
	v_mov_b32_e32 v58, 0
	s_andn2_b32 s12, s12, exec_lo
	s_and_b32 s28, s28, exec_lo
	s_or_b32 s12, s12, s28
	s_or_b32 exec_lo, exec_lo, s27
	s_and_saveexec_b32 s27, s12
	s_cbranch_execnz .LBB6_8646
	s_branch .LBB6_8647
.LBB6_9265:                             ;   in Loop: Header=BB6_8085 Depth=2
	s_or_saveexec_b32 s27, s27
	v_mov_b32_e32 v67, 0x7f800001
	s_xor_b32 exec_lo, exec_lo, s27
	s_cbranch_execz .LBB6_8651
.LBB6_9266:                             ;   in Loop: Header=BB6_8085 Depth=2
	v_cmp_ne_u16_sdwa s28, v57, v51 src0_sel:BYTE_0 src1_sel:DWORD
	v_mov_b32_e32 v67, 0
	s_andn2_b32 s12, s12, exec_lo
	s_and_b32 s28, s28, exec_lo
	s_or_b32 s12, s12, s28
	s_or_b32 exec_lo, exec_lo, s27
	s_and_saveexec_b32 s27, s12
	s_cbranch_execnz .LBB6_8652
	s_branch .LBB6_8653
.LBB6_9267:                             ;   in Loop: Header=BB6_8085 Depth=2
	s_or_saveexec_b32 s27, s27
	v_mov_b32_e32 v57, 0x7f800001
	s_xor_b32 exec_lo, exec_lo, s27
	s_cbranch_execz .LBB6_8665
.LBB6_9268:                             ;   in Loop: Header=BB6_8085 Depth=2
	v_cmp_ne_u16_sdwa s28, v80, v51 src0_sel:BYTE_0 src1_sel:DWORD
	v_mov_b32_e32 v57, 0
	s_andn2_b32 s12, s12, exec_lo
	s_and_b32 s28, s28, exec_lo
	s_or_b32 s12, s12, s28
	s_or_b32 exec_lo, exec_lo, s27
	s_and_saveexec_b32 s27, s12
	s_cbranch_execnz .LBB6_8666
	s_branch .LBB6_8667
.LBB6_9269:                             ;   in Loop: Header=BB6_8085 Depth=2
	s_or_saveexec_b32 s27, s27
	v_mov_b32_e32 v80, 0x7f800001
	s_xor_b32 exec_lo, exec_lo, s27
	s_cbranch_execz .LBB6_8671
.LBB6_9270:                             ;   in Loop: Header=BB6_8085 Depth=2
	v_cmp_ne_u16_sdwa s28, v56, v51 src0_sel:BYTE_0 src1_sel:DWORD
	v_mov_b32_e32 v80, 0
	s_andn2_b32 s12, s12, exec_lo
	s_and_b32 s28, s28, exec_lo
	s_or_b32 s12, s12, s28
	s_or_b32 exec_lo, exec_lo, s27
	s_and_saveexec_b32 s27, s12
	s_cbranch_execnz .LBB6_8672
	s_branch .LBB6_8673
.LBB6_9271:                             ;   in Loop: Header=BB6_8085 Depth=2
	s_or_saveexec_b32 s27, s27
	v_mov_b32_e32 v56, 0x7f800001
	s_xor_b32 exec_lo, exec_lo, s27
	s_cbranch_execz .LBB6_8685
.LBB6_9272:                             ;   in Loop: Header=BB6_8085 Depth=2
	v_cmp_ne_u16_sdwa s28, v82, v51 src0_sel:BYTE_0 src1_sel:DWORD
	v_mov_b32_e32 v56, 0
	s_andn2_b32 s12, s12, exec_lo
	s_and_b32 s28, s28, exec_lo
	s_or_b32 s12, s12, s28
	s_or_b32 exec_lo, exec_lo, s27
	s_and_saveexec_b32 s27, s12
	s_cbranch_execnz .LBB6_8686
	s_branch .LBB6_8687
.LBB6_9273:                             ;   in Loop: Header=BB6_8085 Depth=2
	s_or_saveexec_b32 s27, s27
	v_mov_b32_e32 v82, 0x7f800001
	s_xor_b32 exec_lo, exec_lo, s27
	s_cbranch_execz .LBB6_8691
.LBB6_9274:                             ;   in Loop: Header=BB6_8085 Depth=2
	v_cmp_ne_u16_sdwa s28, v47, v51 src0_sel:BYTE_0 src1_sel:DWORD
	v_mov_b32_e32 v82, 0
	s_andn2_b32 s12, s12, exec_lo
	s_and_b32 s28, s28, exec_lo
	s_or_b32 s12, s12, s28
	s_or_b32 exec_lo, exec_lo, s27
	s_and_saveexec_b32 s27, s12
	s_cbranch_execnz .LBB6_8692
	s_branch .LBB6_8693
.LBB6_9275:                             ;   in Loop: Header=BB6_8085 Depth=2
	s_or_saveexec_b32 s27, s27
	v_mov_b32_e32 v47, 0x7f800001
	s_xor_b32 exec_lo, exec_lo, s27
	s_cbranch_execz .LBB6_8705
.LBB6_9276:                             ;   in Loop: Header=BB6_8085 Depth=2
	v_cmp_ne_u16_sdwa s28, v71, v51 src0_sel:BYTE_0 src1_sel:DWORD
	v_mov_b32_e32 v47, 0
	s_andn2_b32 s12, s12, exec_lo
	s_and_b32 s28, s28, exec_lo
	s_or_b32 s12, s12, s28
	s_or_b32 exec_lo, exec_lo, s27
	s_and_saveexec_b32 s27, s12
	s_cbranch_execnz .LBB6_8706
	s_branch .LBB6_8707
.LBB6_9277:                             ;   in Loop: Header=BB6_8085 Depth=2
	s_or_saveexec_b32 s27, s27
	v_mov_b32_e32 v71, 0x7f800001
	s_xor_b32 exec_lo, exec_lo, s27
	s_cbranch_execz .LBB6_8711
.LBB6_9278:                             ;   in Loop: Header=BB6_8085 Depth=2
	v_cmp_ne_u16_sdwa s28, v46, v51 src0_sel:BYTE_0 src1_sel:DWORD
	v_mov_b32_e32 v71, 0
	s_andn2_b32 s12, s12, exec_lo
	s_and_b32 s28, s28, exec_lo
	s_or_b32 s12, s12, s28
	s_or_b32 exec_lo, exec_lo, s27
	s_and_saveexec_b32 s27, s12
	s_cbranch_execnz .LBB6_8712
	s_branch .LBB6_8713
.LBB6_9279:                             ;   in Loop: Header=BB6_8085 Depth=2
	s_or_saveexec_b32 s27, s27
	v_mov_b32_e32 v46, 0x7f800001
	s_xor_b32 exec_lo, exec_lo, s27
	s_cbranch_execz .LBB6_8725
.LBB6_9280:                             ;   in Loop: Header=BB6_8085 Depth=2
	v_cmp_ne_u16_sdwa s28, v70, v51 src0_sel:BYTE_0 src1_sel:DWORD
	v_mov_b32_e32 v46, 0
	s_andn2_b32 s12, s12, exec_lo
	s_and_b32 s28, s28, exec_lo
	s_or_b32 s12, s12, s28
	s_or_b32 exec_lo, exec_lo, s27
	s_and_saveexec_b32 s27, s12
	s_cbranch_execnz .LBB6_8726
	s_branch .LBB6_8727
.LBB6_9281:                             ;   in Loop: Header=BB6_8085 Depth=2
	s_or_saveexec_b32 s27, s27
	v_mov_b32_e32 v70, 0x7f800001
	s_xor_b32 exec_lo, exec_lo, s27
	s_cbranch_execz .LBB6_8731
.LBB6_9282:                             ;   in Loop: Header=BB6_8085 Depth=2
	v_cmp_ne_u16_sdwa s28, v45, v51 src0_sel:BYTE_0 src1_sel:DWORD
	v_mov_b32_e32 v70, 0
	s_andn2_b32 s12, s12, exec_lo
	s_and_b32 s28, s28, exec_lo
	s_or_b32 s12, s12, s28
	s_or_b32 exec_lo, exec_lo, s27
	s_and_saveexec_b32 s27, s12
	s_cbranch_execnz .LBB6_8732
	s_branch .LBB6_8733
.LBB6_9283:                             ;   in Loop: Header=BB6_8085 Depth=2
	s_or_saveexec_b32 s27, s27
	v_mov_b32_e32 v45, 0x7f800001
	s_xor_b32 exec_lo, exec_lo, s27
	s_cbranch_execz .LBB6_8745
.LBB6_9284:                             ;   in Loop: Header=BB6_8085 Depth=2
	v_cmp_ne_u16_sdwa s28, v69, v51 src0_sel:BYTE_0 src1_sel:DWORD
	v_mov_b32_e32 v45, 0
	s_andn2_b32 s12, s12, exec_lo
	s_and_b32 s28, s28, exec_lo
	s_or_b32 s12, s12, s28
	s_or_b32 exec_lo, exec_lo, s27
	s_and_saveexec_b32 s27, s12
	s_cbranch_execnz .LBB6_8746
	s_branch .LBB6_8747
.LBB6_9285:                             ;   in Loop: Header=BB6_8085 Depth=2
	s_or_saveexec_b32 s27, s27
	v_mov_b32_e32 v69, 0x7f800001
	s_xor_b32 exec_lo, exec_lo, s27
	s_cbranch_execz .LBB6_8751
.LBB6_9286:                             ;   in Loop: Header=BB6_8085 Depth=2
	v_cmp_ne_u16_sdwa s28, v44, v51 src0_sel:BYTE_0 src1_sel:DWORD
	v_mov_b32_e32 v69, 0
	s_andn2_b32 s12, s12, exec_lo
	s_and_b32 s28, s28, exec_lo
	s_or_b32 s12, s12, s28
	s_or_b32 exec_lo, exec_lo, s27
	s_and_saveexec_b32 s27, s12
	s_cbranch_execnz .LBB6_8752
	s_branch .LBB6_8753
.LBB6_9287:                             ;   in Loop: Header=BB6_8085 Depth=2
	s_or_saveexec_b32 s27, s27
	v_mov_b32_e32 v44, 0x7f800001
	s_xor_b32 exec_lo, exec_lo, s27
	s_cbranch_execz .LBB6_8765
.LBB6_9288:                             ;   in Loop: Header=BB6_8085 Depth=2
	v_cmp_ne_u16_sdwa s28, v68, v51 src0_sel:BYTE_0 src1_sel:DWORD
	v_mov_b32_e32 v44, 0
	s_andn2_b32 s12, s12, exec_lo
	s_and_b32 s28, s28, exec_lo
	s_or_b32 s12, s12, s28
	s_or_b32 exec_lo, exec_lo, s27
	s_and_saveexec_b32 s27, s12
	s_cbranch_execnz .LBB6_8766
	s_branch .LBB6_8767
.LBB6_9289:                             ;   in Loop: Header=BB6_8085 Depth=2
	s_or_saveexec_b32 s27, s27
	v_mov_b32_e32 v68, 0x7f800001
	s_xor_b32 exec_lo, exec_lo, s27
	s_cbranch_execz .LBB6_8771
.LBB6_9290:                             ;   in Loop: Header=BB6_8085 Depth=2
	v_cmp_ne_u16_sdwa s28, v43, v51 src0_sel:BYTE_0 src1_sel:DWORD
	v_mov_b32_e32 v68, 0
	s_andn2_b32 s12, s12, exec_lo
	s_and_b32 s28, s28, exec_lo
	s_or_b32 s12, s12, s28
	s_or_b32 exec_lo, exec_lo, s27
	s_and_saveexec_b32 s27, s12
	s_cbranch_execnz .LBB6_8772
	s_branch .LBB6_8773
.LBB6_9291:                             ;   in Loop: Header=BB6_8085 Depth=2
	s_or_saveexec_b32 s27, s27
	v_mov_b32_e32 v43, 0x7f800001
	s_xor_b32 exec_lo, exec_lo, s27
	s_cbranch_execz .LBB6_8785
.LBB6_9292:                             ;   in Loop: Header=BB6_8085 Depth=2
	v_cmp_ne_u16_sdwa s28, v65, v51 src0_sel:BYTE_0 src1_sel:DWORD
	v_mov_b32_e32 v43, 0
	s_andn2_b32 s12, s12, exec_lo
	s_and_b32 s28, s28, exec_lo
	s_or_b32 s12, s12, s28
	s_or_b32 exec_lo, exec_lo, s27
	s_and_saveexec_b32 s27, s12
	s_cbranch_execnz .LBB6_8786
	s_branch .LBB6_8787
.LBB6_9293:                             ;   in Loop: Header=BB6_8085 Depth=2
	s_or_saveexec_b32 s27, s27
	v_mov_b32_e32 v65, 0x7f800001
	s_xor_b32 exec_lo, exec_lo, s27
	s_cbranch_execz .LBB6_8791
.LBB6_9294:                             ;   in Loop: Header=BB6_8085 Depth=2
	v_cmp_ne_u16_sdwa s28, v42, v51 src0_sel:BYTE_0 src1_sel:DWORD
	v_mov_b32_e32 v65, 0
	s_andn2_b32 s12, s12, exec_lo
	s_and_b32 s28, s28, exec_lo
	s_or_b32 s12, s12, s28
	s_or_b32 exec_lo, exec_lo, s27
	s_and_saveexec_b32 s27, s12
	s_cbranch_execnz .LBB6_8792
	s_branch .LBB6_8793
.LBB6_9295:                             ;   in Loop: Header=BB6_8085 Depth=2
	s_or_saveexec_b32 s27, s27
	v_mov_b32_e32 v42, 0x7f800001
	s_xor_b32 exec_lo, exec_lo, s27
	s_cbranch_execz .LBB6_8805
.LBB6_9296:                             ;   in Loop: Header=BB6_8085 Depth=2
	v_cmp_ne_u16_sdwa s28, v64, v51 src0_sel:BYTE_0 src1_sel:DWORD
	v_mov_b32_e32 v42, 0
	s_andn2_b32 s12, s12, exec_lo
	s_and_b32 s28, s28, exec_lo
	s_or_b32 s12, s12, s28
	s_or_b32 exec_lo, exec_lo, s27
	s_and_saveexec_b32 s27, s12
	s_cbranch_execnz .LBB6_8806
	s_branch .LBB6_8807
.LBB6_9297:                             ;   in Loop: Header=BB6_8085 Depth=2
	s_or_saveexec_b32 s27, s27
	v_mov_b32_e32 v64, 0x7f800001
	s_xor_b32 exec_lo, exec_lo, s27
	s_cbranch_execz .LBB6_8811
.LBB6_9298:                             ;   in Loop: Header=BB6_8085 Depth=2
	v_cmp_ne_u16_sdwa s28, v41, v51 src0_sel:BYTE_0 src1_sel:DWORD
	v_mov_b32_e32 v64, 0
	s_andn2_b32 s12, s12, exec_lo
	s_and_b32 s28, s28, exec_lo
	s_or_b32 s12, s12, s28
	s_or_b32 exec_lo, exec_lo, s27
	s_and_saveexec_b32 s27, s12
	s_cbranch_execnz .LBB6_8812
	s_branch .LBB6_8813
.LBB6_9299:                             ;   in Loop: Header=BB6_8085 Depth=2
	s_or_saveexec_b32 s27, s27
	v_mov_b32_e32 v41, 0x7f800001
	s_xor_b32 exec_lo, exec_lo, s27
	s_cbranch_execz .LBB6_8825
.LBB6_9300:                             ;   in Loop: Header=BB6_8085 Depth=2
	v_cmp_ne_u16_sdwa s28, v49, v51 src0_sel:BYTE_0 src1_sel:DWORD
	v_mov_b32_e32 v41, 0
	s_andn2_b32 s12, s12, exec_lo
	s_and_b32 s28, s28, exec_lo
	s_or_b32 s12, s12, s28
	s_or_b32 exec_lo, exec_lo, s27
	s_and_saveexec_b32 s27, s12
	s_cbranch_execnz .LBB6_8826
	s_branch .LBB6_8827
.LBB6_9301:                             ;   in Loop: Header=BB6_8085 Depth=2
	s_or_saveexec_b32 s27, s27
	v_mov_b32_e32 v49, 0x7f800001
	s_xor_b32 exec_lo, exec_lo, s27
	s_cbranch_execz .LBB6_8831
.LBB6_9302:                             ;   in Loop: Header=BB6_8085 Depth=2
	v_cmp_ne_u16_sdwa s28, v40, v51 src0_sel:BYTE_0 src1_sel:DWORD
	v_mov_b32_e32 v49, 0
	s_andn2_b32 s12, s12, exec_lo
	s_and_b32 s28, s28, exec_lo
	s_or_b32 s12, s12, s28
	s_or_b32 exec_lo, exec_lo, s27
	s_and_saveexec_b32 s27, s12
	s_cbranch_execnz .LBB6_8832
	s_branch .LBB6_8833
.LBB6_9303:                             ;   in Loop: Header=BB6_8085 Depth=2
	s_or_saveexec_b32 s27, s27
	v_mov_b32_e32 v40, 0x7f800001
	s_xor_b32 exec_lo, exec_lo, s27
	s_cbranch_execz .LBB6_8845
.LBB6_9304:                             ;   in Loop: Header=BB6_8085 Depth=2
	v_cmp_ne_u16_sdwa s28, v36, v51 src0_sel:BYTE_0 src1_sel:DWORD
	v_mov_b32_e32 v40, 0
	s_andn2_b32 s12, s12, exec_lo
	s_and_b32 s28, s28, exec_lo
	s_or_b32 s12, s12, s28
	s_or_b32 exec_lo, exec_lo, s27
	s_and_saveexec_b32 s27, s12
	s_cbranch_execnz .LBB6_8846
	s_branch .LBB6_8847
.LBB6_9305:                             ;   in Loop: Header=BB6_8085 Depth=2
	s_or_saveexec_b32 s27, s27
	v_mov_b32_e32 v36, 0x7f800001
	s_xor_b32 exec_lo, exec_lo, s27
	s_cbranch_execz .LBB6_8851
.LBB6_9306:                             ;   in Loop: Header=BB6_8085 Depth=2
	v_cmp_ne_u16_sdwa s28, v119, v51 src0_sel:BYTE_0 src1_sel:DWORD
	v_mov_b32_e32 v36, 0
	s_andn2_b32 s12, s12, exec_lo
	s_and_b32 s28, s28, exec_lo
	s_or_b32 s12, s12, s28
	s_or_b32 exec_lo, exec_lo, s27
	s_and_saveexec_b32 s27, s12
	s_cbranch_execnz .LBB6_8852
	s_branch .LBB6_8853
.LBB6_9307:                             ;   in Loop: Header=BB6_8085 Depth=2
	s_or_saveexec_b32 s27, s27
	v_mov_b32_e32 v119, 0x7f800001
	s_xor_b32 exec_lo, exec_lo, s27
	s_cbranch_execz .LBB6_8865
.LBB6_9308:                             ;   in Loop: Header=BB6_8085 Depth=2
	v_cmp_ne_u16_sdwa s28, v35, v51 src0_sel:BYTE_0 src1_sel:DWORD
	v_mov_b32_e32 v119, 0
	s_andn2_b32 s12, s12, exec_lo
	s_and_b32 s28, s28, exec_lo
	s_or_b32 s12, s12, s28
	s_or_b32 exec_lo, exec_lo, s27
	s_and_saveexec_b32 s27, s12
	s_cbranch_execnz .LBB6_8866
	s_branch .LBB6_8867
.LBB6_9309:                             ;   in Loop: Header=BB6_8085 Depth=2
	s_or_saveexec_b32 s27, s27
	v_mov_b32_e32 v35, 0x7f800001
	s_xor_b32 exec_lo, exec_lo, s27
	s_cbranch_execz .LBB6_8871
.LBB6_9310:                             ;   in Loop: Header=BB6_8085 Depth=2
	v_cmp_ne_u16_sdwa s28, v118, v51 src0_sel:BYTE_0 src1_sel:DWORD
	v_mov_b32_e32 v35, 0
	s_andn2_b32 s12, s12, exec_lo
	s_and_b32 s28, s28, exec_lo
	s_or_b32 s12, s12, s28
	s_or_b32 exec_lo, exec_lo, s27
	s_and_saveexec_b32 s27, s12
	s_cbranch_execnz .LBB6_8872
	s_branch .LBB6_8873
.LBB6_9311:                             ;   in Loop: Header=BB6_8085 Depth=2
	s_or_saveexec_b32 s27, s27
	v_mov_b32_e32 v118, 0x7f800001
	s_xor_b32 exec_lo, exec_lo, s27
	s_cbranch_execz .LBB6_8885
.LBB6_9312:                             ;   in Loop: Header=BB6_8085 Depth=2
	v_cmp_ne_u16_sdwa s28, v34, v51 src0_sel:BYTE_0 src1_sel:DWORD
	v_mov_b32_e32 v118, 0
	s_andn2_b32 s12, s12, exec_lo
	s_and_b32 s28, s28, exec_lo
	s_or_b32 s12, s12, s28
	s_or_b32 exec_lo, exec_lo, s27
	s_and_saveexec_b32 s27, s12
	s_cbranch_execnz .LBB6_8886
	s_branch .LBB6_8887
.LBB6_9313:                             ;   in Loop: Header=BB6_8085 Depth=2
	s_or_saveexec_b32 s27, s27
	v_mov_b32_e32 v34, 0x7f800001
	s_xor_b32 exec_lo, exec_lo, s27
	s_cbranch_execz .LBB6_8891
.LBB6_9314:                             ;   in Loop: Header=BB6_8085 Depth=2
	v_cmp_ne_u16_sdwa s28, v117, v51 src0_sel:BYTE_0 src1_sel:DWORD
	v_mov_b32_e32 v34, 0
	s_andn2_b32 s12, s12, exec_lo
	s_and_b32 s28, s28, exec_lo
	s_or_b32 s12, s12, s28
	s_or_b32 exec_lo, exec_lo, s27
	s_and_saveexec_b32 s27, s12
	s_cbranch_execnz .LBB6_8892
	s_branch .LBB6_8893
.LBB6_9315:                             ;   in Loop: Header=BB6_8085 Depth=2
	s_or_saveexec_b32 s27, s27
	v_mov_b32_e32 v117, 0x7f800001
	s_xor_b32 exec_lo, exec_lo, s27
	s_cbranch_execz .LBB6_8905
.LBB6_9316:                             ;   in Loop: Header=BB6_8085 Depth=2
	v_cmp_ne_u16_sdwa s28, v31, v51 src0_sel:BYTE_0 src1_sel:DWORD
	v_mov_b32_e32 v117, 0
	s_andn2_b32 s12, s12, exec_lo
	s_and_b32 s28, s28, exec_lo
	s_or_b32 s12, s12, s28
	s_or_b32 exec_lo, exec_lo, s27
	s_and_saveexec_b32 s27, s12
	s_cbranch_execnz .LBB6_8906
	s_branch .LBB6_8907
.LBB6_9317:                             ;   in Loop: Header=BB6_8085 Depth=2
	s_or_saveexec_b32 s27, s27
	v_mov_b32_e32 v31, 0x7f800001
	s_xor_b32 exec_lo, exec_lo, s27
	s_cbranch_execz .LBB6_8911
.LBB6_9318:                             ;   in Loop: Header=BB6_8085 Depth=2
	v_cmp_ne_u16_sdwa s28, v116, v51 src0_sel:BYTE_0 src1_sel:DWORD
	v_mov_b32_e32 v31, 0
	s_andn2_b32 s12, s12, exec_lo
	s_and_b32 s28, s28, exec_lo
	s_or_b32 s12, s12, s28
	s_or_b32 exec_lo, exec_lo, s27
	s_and_saveexec_b32 s27, s12
	s_cbranch_execnz .LBB6_8912
	s_branch .LBB6_8913
.LBB6_9319:                             ;   in Loop: Header=BB6_8085 Depth=2
	s_or_saveexec_b32 s27, s27
	v_mov_b32_e32 v116, 0x7f800001
	s_xor_b32 exec_lo, exec_lo, s27
	s_cbranch_execz .LBB6_8925
.LBB6_9320:                             ;   in Loop: Header=BB6_8085 Depth=2
	v_cmp_ne_u16_sdwa s28, v30, v51 src0_sel:BYTE_0 src1_sel:DWORD
	v_mov_b32_e32 v116, 0
	s_andn2_b32 s12, s12, exec_lo
	s_and_b32 s28, s28, exec_lo
	s_or_b32 s12, s12, s28
	s_or_b32 exec_lo, exec_lo, s27
	s_and_saveexec_b32 s27, s12
	s_cbranch_execnz .LBB6_8926
	s_branch .LBB6_8927
.LBB6_9321:                             ;   in Loop: Header=BB6_8085 Depth=2
	s_or_saveexec_b32 s27, s27
	v_mov_b32_e32 v30, 0x7f800001
	s_xor_b32 exec_lo, exec_lo, s27
	s_cbranch_execz .LBB6_8931
.LBB6_9322:                             ;   in Loop: Header=BB6_8085 Depth=2
	v_cmp_ne_u16_sdwa s28, v115, v51 src0_sel:BYTE_0 src1_sel:DWORD
	v_mov_b32_e32 v30, 0
	s_andn2_b32 s12, s12, exec_lo
	s_and_b32 s28, s28, exec_lo
	s_or_b32 s12, s12, s28
	s_or_b32 exec_lo, exec_lo, s27
	s_and_saveexec_b32 s27, s12
	s_cbranch_execnz .LBB6_8932
	s_branch .LBB6_8933
.LBB6_9323:                             ;   in Loop: Header=BB6_8085 Depth=2
	s_or_saveexec_b32 s27, s27
	v_mov_b32_e32 v115, 0x7f800001
	s_xor_b32 exec_lo, exec_lo, s27
	s_cbranch_execz .LBB6_8945
.LBB6_9324:                             ;   in Loop: Header=BB6_8085 Depth=2
	v_cmp_ne_u16_sdwa s28, v29, v51 src0_sel:BYTE_0 src1_sel:DWORD
	v_mov_b32_e32 v115, 0
	s_andn2_b32 s12, s12, exec_lo
	s_and_b32 s28, s28, exec_lo
	s_or_b32 s12, s12, s28
	s_or_b32 exec_lo, exec_lo, s27
	s_and_saveexec_b32 s27, s12
	s_cbranch_execnz .LBB6_8946
	s_branch .LBB6_8947
.LBB6_9325:                             ;   in Loop: Header=BB6_8085 Depth=2
	s_or_saveexec_b32 s27, s27
	v_mov_b32_e32 v29, 0x7f800001
	s_xor_b32 exec_lo, exec_lo, s27
	s_cbranch_execz .LBB6_8951
.LBB6_9326:                             ;   in Loop: Header=BB6_8085 Depth=2
	v_cmp_ne_u16_sdwa s28, v100, v51 src0_sel:BYTE_0 src1_sel:DWORD
	v_mov_b32_e32 v29, 0
	s_andn2_b32 s12, s12, exec_lo
	s_and_b32 s28, s28, exec_lo
	s_or_b32 s12, s12, s28
	s_or_b32 exec_lo, exec_lo, s27
	s_and_saveexec_b32 s27, s12
	s_cbranch_execnz .LBB6_8952
	s_branch .LBB6_8953
.LBB6_9327:                             ;   in Loop: Header=BB6_8085 Depth=2
	s_or_saveexec_b32 s27, s27
	v_mov_b32_e32 v100, 0x7f800001
	s_xor_b32 exec_lo, exec_lo, s27
	s_cbranch_execz .LBB6_8965
.LBB6_9328:                             ;   in Loop: Header=BB6_8085 Depth=2
	v_cmp_ne_u16_sdwa s28, v28, v51 src0_sel:BYTE_0 src1_sel:DWORD
	v_mov_b32_e32 v100, 0
	s_andn2_b32 s12, s12, exec_lo
	s_and_b32 s28, s28, exec_lo
	s_or_b32 s12, s12, s28
	s_or_b32 exec_lo, exec_lo, s27
	s_and_saveexec_b32 s27, s12
	s_cbranch_execnz .LBB6_8966
	s_branch .LBB6_8967
.LBB6_9329:                             ;   in Loop: Header=BB6_8085 Depth=2
	s_or_saveexec_b32 s27, s27
	v_mov_b32_e32 v28, 0x7f800001
	s_xor_b32 exec_lo, exec_lo, s27
	s_cbranch_execz .LBB6_8971
.LBB6_9330:                             ;   in Loop: Header=BB6_8085 Depth=2
	v_cmp_ne_u16_sdwa s28, v85, v51 src0_sel:BYTE_0 src1_sel:DWORD
	v_mov_b32_e32 v28, 0
	s_andn2_b32 s12, s12, exec_lo
	s_and_b32 s28, s28, exec_lo
	s_or_b32 s12, s12, s28
	s_or_b32 exec_lo, exec_lo, s27
	s_and_saveexec_b32 s27, s12
	s_cbranch_execnz .LBB6_8972
	s_branch .LBB6_8973
.LBB6_9331:                             ;   in Loop: Header=BB6_8085 Depth=2
	s_or_saveexec_b32 s27, s27
	v_mov_b32_e32 v85, 0x7f800001
	s_xor_b32 exec_lo, exec_lo, s27
	s_cbranch_execz .LBB6_8985
.LBB6_9332:                             ;   in Loop: Header=BB6_8085 Depth=2
	v_cmp_ne_u16_sdwa s28, v25, v51 src0_sel:BYTE_0 src1_sel:DWORD
	v_mov_b32_e32 v85, 0
	s_andn2_b32 s12, s12, exec_lo
	s_and_b32 s28, s28, exec_lo
	s_or_b32 s12, s12, s28
	s_or_b32 exec_lo, exec_lo, s27
	s_and_saveexec_b32 s27, s12
	s_cbranch_execnz .LBB6_8986
	s_branch .LBB6_8987
.LBB6_9333:                             ;   in Loop: Header=BB6_8085 Depth=2
	s_or_saveexec_b32 s27, s27
	v_mov_b32_e32 v25, 0x7f800001
	s_xor_b32 exec_lo, exec_lo, s27
	s_cbranch_execz .LBB6_8991
.LBB6_9334:                             ;   in Loop: Header=BB6_8085 Depth=2
	v_cmp_ne_u16_sdwa s28, v84, v51 src0_sel:BYTE_0 src1_sel:DWORD
	v_mov_b32_e32 v25, 0
	s_andn2_b32 s12, s12, exec_lo
	s_and_b32 s28, s28, exec_lo
	s_or_b32 s12, s12, s28
	s_or_b32 exec_lo, exec_lo, s27
	s_and_saveexec_b32 s27, s12
	s_cbranch_execnz .LBB6_8992
	s_branch .LBB6_8993
.LBB6_9335:                             ;   in Loop: Header=BB6_8085 Depth=2
	s_or_saveexec_b32 s27, s27
	v_mov_b32_e32 v84, 0x7f800001
	s_xor_b32 exec_lo, exec_lo, s27
	s_cbranch_execz .LBB6_9005
.LBB6_9336:                             ;   in Loop: Header=BB6_8085 Depth=2
	v_cmp_ne_u16_sdwa s28, v24, v51 src0_sel:BYTE_0 src1_sel:DWORD
	v_mov_b32_e32 v84, 0
	s_andn2_b32 s12, s12, exec_lo
	s_and_b32 s28, s28, exec_lo
	s_or_b32 s12, s12, s28
	s_or_b32 exec_lo, exec_lo, s27
	s_and_saveexec_b32 s27, s12
	s_cbranch_execnz .LBB6_9006
	s_branch .LBB6_9007
.LBB6_9337:                             ;   in Loop: Header=BB6_8085 Depth=2
	s_or_saveexec_b32 s27, s27
	v_mov_b32_e32 v24, 0x7f800001
	s_xor_b32 exec_lo, exec_lo, s27
	s_cbranch_execz .LBB6_9011
.LBB6_9338:                             ;   in Loop: Header=BB6_8085 Depth=2
	v_cmp_ne_u16_sdwa s28, v83, v51 src0_sel:BYTE_0 src1_sel:DWORD
	v_mov_b32_e32 v24, 0
	s_andn2_b32 s12, s12, exec_lo
	s_and_b32 s28, s28, exec_lo
	s_or_b32 s12, s12, s28
	s_or_b32 exec_lo, exec_lo, s27
	s_and_saveexec_b32 s27, s12
	s_cbranch_execnz .LBB6_9012
	s_branch .LBB6_9013
.LBB6_9339:                             ;   in Loop: Header=BB6_8085 Depth=2
	s_or_saveexec_b32 s27, s27
	v_mov_b32_e32 v83, 0x7f800001
	s_xor_b32 exec_lo, exec_lo, s27
	s_cbranch_execz .LBB6_9025
.LBB6_9340:                             ;   in Loop: Header=BB6_8085 Depth=2
	v_cmp_ne_u16_sdwa s28, v23, v51 src0_sel:BYTE_0 src1_sel:DWORD
	v_mov_b32_e32 v83, 0
	s_andn2_b32 s12, s12, exec_lo
	s_and_b32 s28, s28, exec_lo
	s_or_b32 s12, s12, s28
	s_or_b32 exec_lo, exec_lo, s27
	s_and_saveexec_b32 s27, s12
	s_cbranch_execnz .LBB6_9026
	s_branch .LBB6_9027
.LBB6_9341:                             ;   in Loop: Header=BB6_8085 Depth=2
	s_or_saveexec_b32 s27, s27
	v_mov_b32_e32 v23, 0x7f800001
	s_xor_b32 exec_lo, exec_lo, s27
	s_cbranch_execz .LBB6_9031
.LBB6_9342:                             ;   in Loop: Header=BB6_8085 Depth=2
	v_cmp_ne_u16_sdwa s28, v81, v51 src0_sel:BYTE_0 src1_sel:DWORD
	v_mov_b32_e32 v23, 0
	s_andn2_b32 s12, s12, exec_lo
	s_and_b32 s28, s28, exec_lo
	s_or_b32 s12, s12, s28
	s_or_b32 exec_lo, exec_lo, s27
	s_and_saveexec_b32 s27, s12
	s_cbranch_execnz .LBB6_9032
	s_branch .LBB6_9033
.LBB6_9343:                             ;   in Loop: Header=BB6_8085 Depth=2
	s_or_saveexec_b32 s27, s27
	v_mov_b32_e32 v81, 0x7f800001
	s_xor_b32 exec_lo, exec_lo, s27
	s_cbranch_execz .LBB6_9045
.LBB6_9344:                             ;   in Loop: Header=BB6_8085 Depth=2
	v_cmp_ne_u16_sdwa s28, v21, v51 src0_sel:BYTE_0 src1_sel:DWORD
	v_mov_b32_e32 v81, 0
	s_andn2_b32 s12, s12, exec_lo
	s_and_b32 s28, s28, exec_lo
	s_or_b32 s12, s12, s28
	s_or_b32 exec_lo, exec_lo, s27
	s_and_saveexec_b32 s27, s12
	s_cbranch_execnz .LBB6_9046
	s_branch .LBB6_9047
.LBB6_9345:                             ;   in Loop: Header=BB6_8085 Depth=2
	s_or_saveexec_b32 s27, s27
	v_mov_b32_e32 v21, 0x7f800001
	s_xor_b32 exec_lo, exec_lo, s27
	s_cbranch_execz .LBB6_9051
.LBB6_9346:                             ;   in Loop: Header=BB6_8085 Depth=2
	v_cmp_ne_u16_sdwa s28, v66, v51 src0_sel:BYTE_0 src1_sel:DWORD
	v_mov_b32_e32 v21, 0
	s_andn2_b32 s12, s12, exec_lo
	s_and_b32 s28, s28, exec_lo
	s_or_b32 s12, s12, s28
	s_or_b32 exec_lo, exec_lo, s27
	s_and_saveexec_b32 s27, s12
	s_cbranch_execnz .LBB6_9052
	s_branch .LBB6_9053
.LBB6_9347:                             ;   in Loop: Header=BB6_8085 Depth=2
	s_or_saveexec_b32 s27, s27
	v_mov_b32_e32 v66, 0x7f800001
	s_xor_b32 exec_lo, exec_lo, s27
	s_cbranch_execz .LBB6_9065
.LBB6_9348:                             ;   in Loop: Header=BB6_8085 Depth=2
	v_cmp_ne_u16_sdwa s28, v16, v51 src0_sel:BYTE_0 src1_sel:DWORD
	v_mov_b32_e32 v66, 0
	s_andn2_b32 s12, s12, exec_lo
	s_and_b32 s28, s28, exec_lo
	s_or_b32 s12, s12, s28
	s_or_b32 exec_lo, exec_lo, s27
	s_and_saveexec_b32 s27, s12
	s_cbranch_execnz .LBB6_9066
	s_branch .LBB6_9067
.LBB6_9349:                             ;   in Loop: Header=BB6_8085 Depth=2
	s_or_saveexec_b32 s27, s27
	v_mov_b32_e32 v16, 0x7f800001
	s_xor_b32 exec_lo, exec_lo, s27
	s_cbranch_execz .LBB6_9071
.LBB6_9350:                             ;   in Loop: Header=BB6_8085 Depth=2
	v_cmp_ne_u16_sdwa s28, v37, v51 src0_sel:BYTE_0 src1_sel:DWORD
	v_mov_b32_e32 v16, 0
	s_andn2_b32 s12, s12, exec_lo
	s_and_b32 s28, s28, exec_lo
	s_or_b32 s12, s12, s28
	s_or_b32 exec_lo, exec_lo, s27
	s_and_saveexec_b32 s27, s12
	s_cbranch_execnz .LBB6_9072
	s_branch .LBB6_9073
.LBB6_9351:                             ;   in Loop: Header=BB6_8085 Depth=2
	s_or_saveexec_b32 s27, s27
	v_mov_b32_e32 v37, 0x7f800001
	s_xor_b32 exec_lo, exec_lo, s27
	s_cbranch_execz .LBB6_9085
.LBB6_9352:                             ;   in Loop: Header=BB6_8085 Depth=2
	v_cmp_ne_u16_sdwa s28, v9, v51 src0_sel:BYTE_0 src1_sel:DWORD
	v_mov_b32_e32 v37, 0
	s_andn2_b32 s12, s12, exec_lo
	s_and_b32 s28, s28, exec_lo
	s_or_b32 s12, s12, s28
	s_or_b32 exec_lo, exec_lo, s27
	s_and_saveexec_b32 s27, s12
	s_cbranch_execnz .LBB6_9086
	s_branch .LBB6_9087
.LBB6_9353:                             ;   in Loop: Header=BB6_8085 Depth=2
	s_or_saveexec_b32 s27, s27
	v_mov_b32_e32 v9, 0x7f800001
	s_xor_b32 exec_lo, exec_lo, s27
	s_cbranch_execz .LBB6_9091
.LBB6_9354:                             ;   in Loop: Header=BB6_8085 Depth=2
	v_cmp_ne_u16_sdwa s28, v32, v51 src0_sel:BYTE_0 src1_sel:DWORD
	v_mov_b32_e32 v9, 0
	s_andn2_b32 s12, s12, exec_lo
	s_and_b32 s28, s28, exec_lo
	s_or_b32 s12, s12, s28
	s_or_b32 exec_lo, exec_lo, s27
	s_and_saveexec_b32 s27, s12
	s_cbranch_execnz .LBB6_9092
	s_branch .LBB6_9093
.LBB6_9355:                             ;   in Loop: Header=BB6_8085 Depth=2
	s_or_saveexec_b32 s27, s27
	v_mov_b32_e32 v32, 0x7f800001
	s_xor_b32 exec_lo, exec_lo, s27
	s_cbranch_execz .LBB6_9105
.LBB6_9356:                             ;   in Loop: Header=BB6_8085 Depth=2
	v_cmp_ne_u16_sdwa s28, v7, v51 src0_sel:BYTE_0 src1_sel:DWORD
	v_mov_b32_e32 v32, 0
	s_andn2_b32 s12, s12, exec_lo
	s_and_b32 s28, s28, exec_lo
	s_or_b32 s12, s12, s28
	s_or_b32 exec_lo, exec_lo, s27
	s_and_saveexec_b32 s27, s12
	s_cbranch_execnz .LBB6_9106
	s_branch .LBB6_9107
.LBB6_9357:                             ;   in Loop: Header=BB6_8085 Depth=2
	s_or_saveexec_b32 s27, s27
	v_mov_b32_e32 v7, 0x7f800001
	s_xor_b32 exec_lo, exec_lo, s27
	s_cbranch_execz .LBB6_9111
.LBB6_9358:                             ;   in Loop: Header=BB6_8085 Depth=2
	v_cmp_ne_u16_sdwa s28, v26, v51 src0_sel:BYTE_0 src1_sel:DWORD
	v_mov_b32_e32 v7, 0
	s_andn2_b32 s12, s12, exec_lo
	s_and_b32 s28, s28, exec_lo
	s_or_b32 s12, s12, s28
	s_or_b32 exec_lo, exec_lo, s27
	s_and_saveexec_b32 s27, s12
	s_cbranch_execnz .LBB6_9112
	s_branch .LBB6_9113
.LBB6_9359:                             ;   in Loop: Header=BB6_8085 Depth=2
	s_or_saveexec_b32 s27, s27
	v_mov_b32_e32 v26, 0x7f800001
	s_xor_b32 exec_lo, exec_lo, s27
	s_cbranch_execz .LBB6_9125
.LBB6_9360:                             ;   in Loop: Header=BB6_8085 Depth=2
	v_cmp_ne_u16_sdwa s28, v6, v51 src0_sel:BYTE_0 src1_sel:DWORD
	v_mov_b32_e32 v26, 0
	s_andn2_b32 s12, s12, exec_lo
	s_and_b32 s28, s28, exec_lo
	s_or_b32 s12, s12, s28
	s_or_b32 exec_lo, exec_lo, s27
	s_and_saveexec_b32 s27, s12
	s_cbranch_execnz .LBB6_9126
	s_branch .LBB6_9127
.LBB6_9361:                             ;   in Loop: Header=BB6_8085 Depth=2
	s_or_saveexec_b32 s27, s27
	v_mov_b32_e32 v6, 0x7f800001
	s_xor_b32 exec_lo, exec_lo, s27
	s_cbranch_execz .LBB6_9131
.LBB6_9362:                             ;   in Loop: Header=BB6_8085 Depth=2
	v_cmp_ne_u16_sdwa s28, v22, v51 src0_sel:BYTE_0 src1_sel:DWORD
	v_mov_b32_e32 v6, 0
	s_andn2_b32 s12, s12, exec_lo
	s_and_b32 s28, s28, exec_lo
	s_or_b32 s12, s12, s28
	s_or_b32 exec_lo, exec_lo, s27
	s_and_saveexec_b32 s27, s12
	s_cbranch_execnz .LBB6_9132
	s_branch .LBB6_9133
.LBB6_9363:                             ;   in Loop: Header=BB6_8085 Depth=2
	s_or_saveexec_b32 s27, s27
	v_mov_b32_e32 v22, 0x7f800001
	s_xor_b32 exec_lo, exec_lo, s27
	s_cbranch_execz .LBB6_9145
.LBB6_9364:                             ;   in Loop: Header=BB6_8085 Depth=2
	v_cmp_ne_u16_sdwa s28, v4, v51 src0_sel:BYTE_0 src1_sel:DWORD
	v_mov_b32_e32 v22, 0
	s_andn2_b32 s12, s12, exec_lo
	s_and_b32 s28, s28, exec_lo
	s_or_b32 s12, s12, s28
	s_or_b32 exec_lo, exec_lo, s27
	s_and_saveexec_b32 s27, s12
	s_cbranch_execnz .LBB6_9146
	s_branch .LBB6_9147
.LBB6_9365:                             ;   in Loop: Header=BB6_8085 Depth=2
	s_or_saveexec_b32 s27, s27
	v_mov_b32_e32 v4, 0x7f800001
	s_xor_b32 exec_lo, exec_lo, s27
	s_cbranch_execz .LBB6_9151
.LBB6_9366:                             ;   in Loop: Header=BB6_8085 Depth=2
	v_cmp_ne_u16_sdwa s28, v8, v51 src0_sel:BYTE_0 src1_sel:DWORD
	v_mov_b32_e32 v4, 0
	s_andn2_b32 s12, s12, exec_lo
	s_and_b32 s28, s28, exec_lo
	s_or_b32 s12, s12, s28
	s_or_b32 exec_lo, exec_lo, s27
	s_and_saveexec_b32 s27, s12
	s_cbranch_execnz .LBB6_9152
	s_branch .LBB6_9153
.LBB6_9367:                             ;   in Loop: Header=BB6_8085 Depth=2
	s_or_saveexec_b32 s27, s27
	v_mov_b32_e32 v8, 0x7f800001
	s_xor_b32 exec_lo, exec_lo, s27
	s_cbranch_execz .LBB6_9165
.LBB6_9368:                             ;   in Loop: Header=BB6_8085 Depth=2
	v_cmp_ne_u16_sdwa s28, v1, v51 src0_sel:BYTE_0 src1_sel:DWORD
	v_mov_b32_e32 v8, 0
	s_andn2_b32 s12, s12, exec_lo
	s_and_b32 s28, s28, exec_lo
	s_or_b32 s12, s12, s28
	s_or_b32 exec_lo, exec_lo, s27
	s_and_saveexec_b32 s27, s12
	s_cbranch_execnz .LBB6_9166
	s_branch .LBB6_9167
.LBB6_9369:                             ;   in Loop: Header=BB6_8085 Depth=2
	s_or_saveexec_b32 s27, s27
	v_mov_b32_e32 v1, 0x7f800001
	s_xor_b32 exec_lo, exec_lo, s27
	s_cbranch_execz .LBB6_9171
.LBB6_9370:                             ;   in Loop: Header=BB6_8085 Depth=2
	v_cmp_ne_u16_sdwa s28, v0, v51 src0_sel:BYTE_0 src1_sel:DWORD
	v_mov_b32_e32 v1, 0
	s_andn2_b32 s12, s12, exec_lo
	s_and_b32 s28, s28, exec_lo
	s_or_b32 s12, s12, s28
	s_or_b32 exec_lo, exec_lo, s27
	s_and_saveexec_b32 s27, s12
	s_cbranch_execnz .LBB6_9172
	s_branch .LBB6_9173
.LBB6_9371:                             ;   in Loop: Header=BB6_4781 Depth=1
	s_or_b32 exec_lo, exec_lo, s26
.LBB6_9372:                             ;   in Loop: Header=BB6_4781 Depth=1
	s_or_b32 exec_lo, exec_lo, s25
	v_and_b32_e32 v1, 0xfffffc00, v3
	v_cmp_ne_u32_e32 vcc_lo, v3, v1
	s_and_b32 exec_lo, exec_lo, vcc_lo
	s_cbranch_execz .LBB6_9424
; %bb.9373:                             ;   in Loop: Header=BB6_4781 Depth=1
	v_lshlrev_b32_e32 v0, 5, v19
	v_lshlrev_b32_e32 v4, 5, v20
	v_sub_nc_u32_e32 v0, v18, v0
	v_sub_nc_u32_e32 v4, v0, v4
	v_and_b32_e32 v0, 0x3ff, v3
	v_sub_nc_u32_e32 v0, v0, v4
	v_cmp_lt_i32_e32 vcc_lo, 0, v0
	s_and_b32 exec_lo, exec_lo, vcc_lo
	s_cbranch_execz .LBB6_9424
; %bb.9374:                             ;   in Loop: Header=BB6_4781 Depth=1
	s_trap 2
	ds_read_b128 v[5:8], v0
	ds_read_b64 v[14:15], v0
	v_add3_u32 v1, v1, v2, v4
	s_mov_b32 s25, 0
	v_ashrrev_i32_e32 v2, 31, v1
	s_waitcnt lgkmcnt(1)
	v_add_co_u32 v10, vcc_lo, v5, v1
	v_add_co_ci_u32_e64 v11, null, v6, v2, vcc_lo
	v_add_co_u32 v12, vcc_lo, v7, v1
	v_add_co_ci_u32_e64 v13, null, v8, v2, vcc_lo
	s_waitcnt lgkmcnt(0)
	v_add_co_u32 v14, vcc_lo, v14, v1
	v_add_co_ci_u32_e64 v15, null, v15, v2, vcc_lo
	s_branch .LBB6_9378
.LBB6_9375:                             ;   in Loop: Header=BB6_9378 Depth=2
	s_or_b32 exec_lo, exec_lo, s12
	v_lshrrev_b32_e32 v3, 20, v3
	v_cmp_gt_i32_e32 vcc_lo, 16, v2
	v_min_i32_e32 v4, 15, v2
	v_and_b32_sdwa v1, v1, v102 dst_sel:DWORD dst_unused:UNUSED_PAD src0_sel:BYTE_3 src1_sel:DWORD
	v_cndmask_b32_e32 v3, 7, v3, vcc_lo
	v_lshlrev_b32_e32 v4, 3, v4
	v_and_b32_e32 v5, 7, v3
	v_or_b32_e32 v2, v2, v3
	v_or3_b32 v1, v4, v1, v5
	v_cmp_ne_u32_e32 vcc_lo, 0, v2
	v_cndmask_b32_e32 v2, 0, v1, vcc_lo
.LBB6_9376:                             ;   in Loop: Header=BB6_9378 Depth=2
	s_or_b32 exec_lo, exec_lo, s27
.LBB6_9377:                             ;   in Loop: Header=BB6_9378 Depth=2
	s_or_b32 exec_lo, exec_lo, s26
	v_sub_nc_u32_e32 v0, v0, v99
	v_add_co_u32 v10, vcc_lo, v10, v99
	v_add_co_ci_u32_e64 v11, null, 0, v11, vcc_lo
	v_add_co_u32 v12, vcc_lo, v12, v99
	flat_store_byte v[14:15], v2 glc slc
	v_add_co_ci_u32_e64 v13, null, 0, v13, vcc_lo
	v_cmp_gt_i32_e32 vcc_lo, 1, v0
	v_add_co_u32 v14, s12, v14, v99
	v_add_co_ci_u32_e64 v15, null, 0, v15, s12
	s_or_b32 s25, vcc_lo, s25
	s_andn2_b32 exec_lo, exec_lo, s25
	s_cbranch_execz .LBB6_9424
.LBB6_9378:                             ;   Parent Loop BB6_4781 Depth=1
                                        ; =>  This Inner Loop Header: Depth=2
	s_trap 2
	ds_read_b64 v[16:17], v0
	s_waitcnt lgkmcnt(0)
	v_readfirstlane_b32 s12, v16
	s_and_b32 s26, s12, 0xff
	s_cmpk_lt_i32 s26, 0x80
	s_cbranch_scc1 .LBB6_9382
; %bb.9379:                             ;   in Loop: Header=BB6_9378 Depth=2
	s_and_b32 s27, 0xffff, s26
	s_cmpk_eq_i32 s27, 0x80
	s_mov_b32 s27, -1
	s_cbranch_scc0 .LBB6_9381
; %bb.9380:                             ;   in Loop: Header=BB6_9378 Depth=2
	s_mov_b32 s27, 0
.LBB6_9381:                             ;   in Loop: Header=BB6_9378 Depth=2
	s_mov_b32 s28, 0x7f800001
	s_branch .LBB6_9384
.LBB6_9382:                             ;   in Loop: Header=BB6_9378 Depth=2
	s_mov_b32 s27, 0
	s_mov_b32 s28, 0x7f800001
	s_cbranch_execz .LBB6_9384
; %bb.9383:                             ;   in Loop: Header=BB6_9378 Depth=2
	s_and_b32 s26, 0xffff, s26
	s_mov_b32 s28, 0
	s_cmp_lg_u32 s26, 0
	s_cselect_b32 s27, -1, 0
.LBB6_9384:                             ;   in Loop: Header=BB6_9378 Depth=2
	v_mov_b32_e32 v1, s28
	s_andn2_b32 vcc_lo, exec_lo, s27
	s_cbranch_vccnz .LBB6_9386
; %bb.9385:                             ;   in Loop: Header=BB6_9378 Depth=2
	s_and_b32 s26, s12, 7
	s_bfe_u32 s28, s12, 0x40003
	s_flbit_i32_b32 s27, s26
	v_lshlrev_b32_e32 v1, 24, v16
	s_min_u32 s27, s27, 32
	s_sub_i32 s29, s27, 28
	s_sub_i32 s27, 29, s27
	s_lshl_b32 s12, s12, s29
	v_and_b32_e32 v1, 0x80000000, v1
	s_and_b32 s12, s12, 7
	s_cmp_eq_u32 s28, 0
	s_cselect_b32 s27, s27, s28
	s_cselect_b32 s12, s12, s26
	s_lshl_b32 s26, s27, 23
	s_lshl_b32 s12, s12, 20
	s_add_i32 s26, s26, 0x3b800000
	v_or_b32_e32 v1, s26, v1
	v_or_b32_e32 v1, s12, v1
.LBB6_9386:                             ;   in Loop: Header=BB6_9378 Depth=2
	flat_load_ubyte v2, v[10:11] slc
	s_mov_b32 s12, 0
	s_mov_b32 s26, exec_lo
	s_waitcnt vmcnt(0) lgkmcnt(0)
	v_cmpx_lt_i16_e32 0x7f, v2
	s_xor_b32 s26, exec_lo, s26
	s_cbranch_execz .LBB6_9418
; %bb.9387:                             ;   in Loop: Header=BB6_9378 Depth=2
	s_mov_b32 s12, -1
	s_mov_b32 s27, exec_lo
	v_cmpx_eq_u16_e32 0x80, v2
; %bb.9388:                             ;   in Loop: Header=BB6_9378 Depth=2
	s_xor_b32 s12, exec_lo, -1
; %bb.9389:                             ;   in Loop: Header=BB6_9378 Depth=2
	s_or_b32 exec_lo, exec_lo, s27
	s_and_b32 s12, s12, exec_lo
	s_or_saveexec_b32 s26, s26
	v_mov_b32_e32 v3, 0x7f800001
	s_xor_b32 exec_lo, exec_lo, s26
	s_cbranch_execnz .LBB6_9419
.LBB6_9390:                             ;   in Loop: Header=BB6_9378 Depth=2
	s_or_b32 exec_lo, exec_lo, s26
	s_and_saveexec_b32 s26, s12
	s_cbranch_execz .LBB6_9392
.LBB6_9391:                             ;   in Loop: Header=BB6_9378 Depth=2
	v_and_b32_e32 v3, 0xffff, v2
	v_lshlrev_b32_e32 v2, 24, v2
	v_and_b32_e32 v4, 7, v3
	v_bfe_u32 v7, v3, 3, 4
	v_and_b32_e32 v2, 0x80000000, v2
	v_ffbh_u32_e32 v5, v4
	v_cmp_eq_u32_e32 vcc_lo, 0, v7
	v_min_u32_e32 v5, 32, v5
	v_subrev_nc_u32_e32 v6, 28, v5
	v_sub_nc_u32_e32 v5, 29, v5
	v_lshlrev_b32_e32 v3, v6, v3
	v_cndmask_b32_e32 v5, v7, v5, vcc_lo
	v_and_b32_e32 v3, 7, v3
	v_cndmask_b32_e32 v3, v4, v3, vcc_lo
	v_lshl_add_u32 v4, v5, 23, 0x3b800000
	v_lshlrev_b32_e32 v3, 20, v3
	v_or3_b32 v3, v2, v4, v3
.LBB6_9392:                             ;   in Loop: Header=BB6_9378 Depth=2
	s_or_b32 exec_lo, exec_lo, s26
	v_mul_f32_e32 v1, v1, v3
	v_mov_b32_e32 v3, 0x80
	s_mov_b32 s26, exec_lo
	v_and_b32_e32 v2, 0x7f800000, v1
	v_cmpx_ne_u32_e32 0x7f800000, v2
	s_cbranch_execz .LBB6_9400
; %bb.9393:                             ;   in Loop: Header=BB6_9378 Depth=2
	v_mov_b32_e32 v3, 0
	s_mov_b32 s27, exec_lo
	v_cmpx_ne_u32_e32 0, v1
	s_cbranch_execz .LBB6_9399
; %bb.9394:                             ;   in Loop: Header=BB6_9378 Depth=2
	v_bfe_u32 v2, v1, 23, 8
	v_and_b32_e32 v3, 0x7fffff, v1
	v_sub_nc_u32_e32 v4, 0x78, v2
	v_cmp_gt_u32_e32 vcc_lo, 0x79, v2
	v_or_b32_e32 v5, 0x800000, v3
	v_cndmask_b32_e32 v4, 0, v4, vcc_lo
	v_cmp_eq_u32_e32 vcc_lo, 0, v2
	v_add_nc_u32_e32 v2, 0xffffff89, v2
	v_cndmask_b32_e64 v4, v4, 0x77, vcc_lo
	v_cndmask_b32_e32 v3, v5, v3, vcc_lo
	v_cndmask_b32_e64 v2, v2, 0xffffff8a, vcc_lo
	v_lshl_add_u32 v5, 0x100000, v4, -1
	v_lshrrev_b32_e32 v6, v4, v3
	v_lshlrev_b32_e64 v8, v4, 0x80000
	v_add_nc_u32_e32 v4, v4, v2
	v_and_b32_e32 v3, v5, v3
	v_bfe_u32 v7, v6, 20, 1
	v_cmp_eq_u32_e64 s12, v3, v8
	v_add_nc_u32_e32 v5, -1, v7
	v_cndmask_b32_e64 v3, 0, v5, s12
	v_lshrrev_b32_e32 v5, 23, v6
	s_mov_b32 s12, exec_lo
	v_add_nc_u32_e32 v3, v3, v6
	v_xor_b32_e32 v5, 1, v5
	v_and_b32_e32 v2, 0xfffff, v3
	v_add_nc_u32_e32 v3, v2, v6
                                        ; implicit-def: $vgpr2
	v_cmpx_ne_u32_e64 v4, v5
	s_xor_b32 s12, exec_lo, s12
; %bb.9395:                             ;   in Loop: Header=BB6_9378 Depth=2
	v_cmp_lt_u32_e32 vcc_lo, 0xffffff, v3
	v_sub_nc_u32_e32 v2, v4, v5
	v_cndmask_b32_e64 v4, 0, 1, vcc_lo
	v_add_co_ci_u32_e64 v2, null, 0, v2, vcc_lo
	v_lshrrev_b32_e32 v3, v4, v3
; %bb.9396:                             ;   in Loop: Header=BB6_9378 Depth=2
	s_andn2_saveexec_b32 s12, s12
; %bb.9397:                             ;   in Loop: Header=BB6_9378 Depth=2
	v_bfe_u32 v2, v3, 23, 1
; %bb.9398:                             ;   in Loop: Header=BB6_9378 Depth=2
	s_or_b32 exec_lo, exec_lo, s12
	v_lshrrev_b32_e32 v3, 20, v3
	v_cmp_gt_i32_e32 vcc_lo, 16, v2
	v_min_i32_e32 v4, 15, v2
	v_and_b32_sdwa v1, v1, v102 dst_sel:DWORD dst_unused:UNUSED_PAD src0_sel:BYTE_3 src1_sel:DWORD
	v_cndmask_b32_e32 v3, 7, v3, vcc_lo
	v_lshlrev_b32_e32 v4, 3, v4
	v_and_b32_e32 v5, 7, v3
	v_or_b32_e32 v2, v2, v3
	v_or3_b32 v1, v4, v1, v5
	v_cmp_ne_u32_e32 vcc_lo, 0, v2
	v_cndmask_b32_e32 v3, 0, v1, vcc_lo
.LBB6_9399:                             ;   in Loop: Header=BB6_9378 Depth=2
	s_or_b32 exec_lo, exec_lo, s27
.LBB6_9400:                             ;   in Loop: Header=BB6_9378 Depth=2
	s_or_b32 exec_lo, exec_lo, s26
	flat_load_ubyte v1, v[12:13] slc
	v_cmp_gt_i16_sdwa s26, v3, v101 src0_sel:BYTE_0 src1_sel:DWORD
	s_mov_b32 s12, 0
	s_and_saveexec_b32 s27, s26
	s_xor_b32 s26, exec_lo, s27
	s_cbranch_execz .LBB6_9420
; %bb.9401:                             ;   in Loop: Header=BB6_9378 Depth=2
	v_cmp_eq_u16_sdwa s28, v3, v102 src0_sel:BYTE_0 src1_sel:DWORD
	s_mov_b32 s12, -1
	s_and_saveexec_b32 s27, s28
; %bb.9402:                             ;   in Loop: Header=BB6_9378 Depth=2
	s_xor_b32 s12, exec_lo, -1
; %bb.9403:                             ;   in Loop: Header=BB6_9378 Depth=2
	s_or_b32 exec_lo, exec_lo, s27
	s_and_b32 s12, s12, exec_lo
	s_or_saveexec_b32 s26, s26
	v_mov_b32_e32 v2, 0x7f800001
	s_xor_b32 exec_lo, exec_lo, s26
	s_cbranch_execnz .LBB6_9421
.LBB6_9404:                             ;   in Loop: Header=BB6_9378 Depth=2
	s_or_b32 exec_lo, exec_lo, s26
	s_and_saveexec_b32 s26, s12
	s_cbranch_execz .LBB6_9406
.LBB6_9405:                             ;   in Loop: Header=BB6_9378 Depth=2
	v_and_b32_e32 v2, 7, v3
	v_lshrrev_b16 v5, 3, v3
	v_ffbh_u32_e32 v4, v2
	v_and_b32_e32 v5, 15, v5
	v_min_u32_e32 v4, 32, v4
	v_cmp_eq_u32_e32 vcc_lo, 0, v5
	v_subrev_nc_u32_e32 v6, 28, v4
	v_sub_nc_u32_e32 v4, 29, v4
	v_lshlrev_b32_e32 v6, v6, v3
	v_lshlrev_b32_e32 v3, 24, v3
	v_cndmask_b32_e32 v4, v5, v4, vcc_lo
	v_and_b32_e32 v6, 7, v6
	v_and_b32_e32 v3, 0x80000000, v3
	v_lshl_add_u32 v4, v4, 23, 0x3b800000
	v_cndmask_b32_e32 v2, v2, v6, vcc_lo
	v_lshlrev_b32_e32 v2, 20, v2
	v_or3_b32 v2, v3, v4, v2
.LBB6_9406:                             ;   in Loop: Header=BB6_9378 Depth=2
	s_or_b32 exec_lo, exec_lo, s26
	s_waitcnt vmcnt(0) lgkmcnt(0)
	v_cmp_gt_i16_sdwa s26, v1, v101 src0_sel:BYTE_0 src1_sel:DWORD
	s_mov_b32 s12, 0
	s_and_saveexec_b32 s27, s26
	s_xor_b32 s26, exec_lo, s27
	s_cbranch_execz .LBB6_9422
; %bb.9407:                             ;   in Loop: Header=BB6_9378 Depth=2
	v_cmp_eq_u16_sdwa s28, v1, v102 src0_sel:BYTE_0 src1_sel:DWORD
	s_mov_b32 s12, -1
	s_and_saveexec_b32 s27, s28
; %bb.9408:                             ;   in Loop: Header=BB6_9378 Depth=2
	s_xor_b32 s12, exec_lo, -1
; %bb.9409:                             ;   in Loop: Header=BB6_9378 Depth=2
	s_or_b32 exec_lo, exec_lo, s27
	s_and_b32 s12, s12, exec_lo
	s_or_saveexec_b32 s26, s26
	v_mov_b32_e32 v3, 0x7f800001
	s_xor_b32 exec_lo, exec_lo, s26
	s_cbranch_execnz .LBB6_9423
.LBB6_9410:                             ;   in Loop: Header=BB6_9378 Depth=2
	s_or_b32 exec_lo, exec_lo, s26
	s_and_saveexec_b32 s26, s12
	s_cbranch_execz .LBB6_9412
.LBB6_9411:                             ;   in Loop: Header=BB6_9378 Depth=2
	v_and_b32_e32 v3, 7, v1
	v_lshrrev_b16 v5, 3, v1
	v_ffbh_u32_e32 v4, v3
	v_and_b32_e32 v5, 15, v5
	v_min_u32_e32 v4, 32, v4
	v_cmp_eq_u32_e32 vcc_lo, 0, v5
	v_subrev_nc_u32_e32 v6, 28, v4
	v_sub_nc_u32_e32 v4, 29, v4
	v_lshlrev_b32_e32 v6, v6, v1
	v_lshlrev_b32_e32 v1, 24, v1
	v_cndmask_b32_e32 v4, v5, v4, vcc_lo
	v_and_b32_e32 v6, 7, v6
	v_and_b32_e32 v1, 0x80000000, v1
	v_lshl_add_u32 v4, v4, 23, 0x3b800000
	v_cndmask_b32_e32 v3, v3, v6, vcc_lo
	v_lshlrev_b32_e32 v3, 20, v3
	v_or3_b32 v3, v1, v4, v3
.LBB6_9412:                             ;   in Loop: Header=BB6_9378 Depth=2
	s_or_b32 exec_lo, exec_lo, s26
	v_add_f32_e32 v1, v2, v3
	v_and_b32_e32 v2, 0x7f800000, v1
	v_cmp_ne_u32_e32 vcc_lo, 0x7f800000, v2
	v_mov_b32_e32 v2, 0x80
	s_and_saveexec_b32 s26, vcc_lo
	s_cbranch_execz .LBB6_9377
; %bb.9413:                             ;   in Loop: Header=BB6_9378 Depth=2
	v_mov_b32_e32 v2, 0
	s_mov_b32 s27, exec_lo
	v_cmpx_ne_u32_e32 0, v1
	s_cbranch_execz .LBB6_9376
; %bb.9414:                             ;   in Loop: Header=BB6_9378 Depth=2
	v_bfe_u32 v2, v1, 23, 8
	v_and_b32_e32 v3, 0x7fffff, v1
	v_sub_nc_u32_e32 v4, 0x78, v2
	v_cmp_gt_u32_e32 vcc_lo, 0x79, v2
	v_or_b32_e32 v5, 0x800000, v3
	v_cndmask_b32_e32 v4, 0, v4, vcc_lo
	v_cmp_eq_u32_e32 vcc_lo, 0, v2
	v_add_nc_u32_e32 v2, 0xffffff89, v2
	v_cndmask_b32_e64 v4, v4, 0x77, vcc_lo
	v_cndmask_b32_e32 v3, v5, v3, vcc_lo
	v_cndmask_b32_e64 v2, v2, 0xffffff8a, vcc_lo
	v_lshl_add_u32 v5, 0x100000, v4, -1
	v_lshrrev_b32_e32 v6, v4, v3
	v_lshlrev_b32_e64 v8, v4, 0x80000
	v_add_nc_u32_e32 v4, v4, v2
	v_and_b32_e32 v3, v5, v3
	v_bfe_u32 v7, v6, 20, 1
	v_cmp_eq_u32_e64 s12, v3, v8
	v_add_nc_u32_e32 v5, -1, v7
	v_cndmask_b32_e64 v3, 0, v5, s12
	v_lshrrev_b32_e32 v5, 23, v6
	s_mov_b32 s12, exec_lo
	v_add_nc_u32_e32 v3, v3, v6
	v_xor_b32_e32 v5, 1, v5
	v_and_b32_e32 v2, 0xfffff, v3
	v_add_nc_u32_e32 v3, v2, v6
                                        ; implicit-def: $vgpr2
	v_cmpx_ne_u32_e64 v4, v5
	s_xor_b32 s12, exec_lo, s12
; %bb.9415:                             ;   in Loop: Header=BB6_9378 Depth=2
	v_cmp_lt_u32_e32 vcc_lo, 0xffffff, v3
	v_sub_nc_u32_e32 v2, v4, v5
	v_cndmask_b32_e64 v4, 0, 1, vcc_lo
	v_add_co_ci_u32_e64 v2, null, 0, v2, vcc_lo
	v_lshrrev_b32_e32 v3, v4, v3
; %bb.9416:                             ;   in Loop: Header=BB6_9378 Depth=2
	s_andn2_saveexec_b32 s12, s12
	s_cbranch_execz .LBB6_9375
; %bb.9417:                             ;   in Loop: Header=BB6_9378 Depth=2
	v_bfe_u32 v2, v3, 23, 1
	s_branch .LBB6_9375
.LBB6_9418:                             ;   in Loop: Header=BB6_9378 Depth=2
	s_or_saveexec_b32 s26, s26
	v_mov_b32_e32 v3, 0x7f800001
	s_xor_b32 exec_lo, exec_lo, s26
	s_cbranch_execz .LBB6_9390
.LBB6_9419:                             ;   in Loop: Header=BB6_9378 Depth=2
	v_cmp_ne_u16_e32 vcc_lo, 0, v2
	v_mov_b32_e32 v3, 0
	s_andn2_b32 s12, s12, exec_lo
	s_and_b32 s27, vcc_lo, exec_lo
	s_or_b32 s12, s12, s27
	s_or_b32 exec_lo, exec_lo, s26
	s_and_saveexec_b32 s26, s12
	s_cbranch_execnz .LBB6_9391
	s_branch .LBB6_9392
.LBB6_9420:                             ;   in Loop: Header=BB6_9378 Depth=2
	s_or_saveexec_b32 s26, s26
	v_mov_b32_e32 v2, 0x7f800001
	s_xor_b32 exec_lo, exec_lo, s26
	s_cbranch_execz .LBB6_9404
.LBB6_9421:                             ;   in Loop: Header=BB6_9378 Depth=2
	v_cmp_ne_u16_sdwa s27, v3, v51 src0_sel:BYTE_0 src1_sel:DWORD
	v_mov_b32_e32 v2, 0
	s_andn2_b32 s12, s12, exec_lo
	s_and_b32 s27, s27, exec_lo
	s_or_b32 s12, s12, s27
	s_or_b32 exec_lo, exec_lo, s26
	s_and_saveexec_b32 s26, s12
	s_cbranch_execnz .LBB6_9405
	s_branch .LBB6_9406
.LBB6_9422:                             ;   in Loop: Header=BB6_9378 Depth=2
	s_or_saveexec_b32 s26, s26
	v_mov_b32_e32 v3, 0x7f800001
	s_xor_b32 exec_lo, exec_lo, s26
	s_cbranch_execz .LBB6_9410
.LBB6_9423:                             ;   in Loop: Header=BB6_9378 Depth=2
	v_cmp_ne_u16_sdwa s27, v1, v51 src0_sel:BYTE_0 src1_sel:DWORD
	v_mov_b32_e32 v3, 0
	s_andn2_b32 s12, s12, exec_lo
	s_and_b32 s27, s27, exec_lo
	s_or_b32 s12, s12, s27
	s_or_b32 exec_lo, exec_lo, s26
	s_and_saveexec_b32 s26, s12
	s_cbranch_execnz .LBB6_9411
	s_branch .LBB6_9412
.LBB6_9424:                             ;   in Loop: Header=BB6_4781 Depth=1
	s_or_b32 exec_lo, exec_lo, s13
	s_clause 0x3
	buffer_load_dword v19, off, s[0:3], s33 offset:344
	buffer_load_dword v20, off, s[0:3], s33 offset:348
	;; [unrolled: 1-line block ×4, first 2 shown]
	v_cmp_ne_u32_e64 s12, 0, v50
	s_and_saveexec_b32 s13, s6
	s_cbranch_execz .LBB6_9443
.LBB6_9425:                             ;   in Loop: Header=BB6_4781 Depth=1
	s_and_saveexec_b32 s25, s19
	s_xor_b32 s25, exec_lo, s25
	s_cbranch_execz .LBB6_9440
; %bb.9426:                             ;   in Loop: Header=BB6_4781 Depth=1
	s_and_saveexec_b32 s26, s7
	s_cbranch_execz .LBB6_9439
; %bb.9427:                             ;   in Loop: Header=BB6_4781 Depth=1
	s_mov_b32 s28, exec_lo
	s_mov_b32 s27, exec_lo
	v_mbcnt_lo_u32_b32 v0, s28, 0
	s_waitcnt vmcnt(0) lgkmcnt(0)
	s_waitcnt_vscnt null, 0x0
	buffer_gl1_inv
	buffer_gl0_inv
	v_cmpx_eq_u32_e32 0, v0
	s_cbranch_execz .LBB6_9429
; %bb.9428:                             ;   in Loop: Header=BB6_4781 Depth=1
	s_bcnt1_i32_b32 s28, s28
	v_mov_b32_e32 v50, s28
	ds_add_u64 v0, v[50:51]
	s_trap 2
.LBB6_9429:                             ;   in Loop: Header=BB6_4781 Depth=1
	s_or_b32 exec_lo, exec_lo, s27
	s_trap 2
	ds_read_b64 v[0:1], v0
	s_waitcnt lgkmcnt(0)
	buffer_gl0_inv
	s_clause 0x1
	buffer_load_dword v2, off, s[0:3], s33 offset:216
	buffer_load_dword v3, off, s[0:3], s33 offset:220
	s_mov_b32 s27, exec_lo
	s_waitcnt vmcnt(1)
	v_add_co_u32 v2, vcc_lo, v2, v86
	s_waitcnt vmcnt(0)
	v_add_co_ci_u32_e64 v3, null, 0, v3, vcc_lo
	buffer_store_dword v2, off, s[0:3], s33 offset:216 ; 4-byte Folded Spill
	buffer_store_dword v3, off, s[0:3], s33 offset:220 ; 4-byte Folded Spill
	v_cmpx_lt_u64_e64 v[0:1], v[2:3]
	s_cbranch_execz .LBB6_9438
; %bb.9430:                             ;   in Loop: Header=BB6_4781 Depth=1
	s_mov_b32 s28, 0
	s_mov_b32 s41, 0
                                        ; implicit-def: $sgpr29
                                        ; implicit-def: $sgpr40
	s_inst_prefetch 0x1
	s_branch .LBB6_9432
	.p2align	6
.LBB6_9431:                             ;   in Loop: Header=BB6_9432 Depth=2
	s_or_b32 exec_lo, exec_lo, s43
	s_and_b32 s42, exec_lo, s44
	s_or_b32 s28, s42, s28
	s_andn2_b32 s29, s29, exec_lo
	s_and_b32 s42, s40, exec_lo
	s_or_b32 s29, s29, s42
	s_andn2_b32 exec_lo, exec_lo, s28
	s_cbranch_execz .LBB6_9436
.LBB6_9432:                             ;   Parent Loop BB6_4781 Depth=1
                                        ; =>  This Inner Loop Header: Depth=2
	s_add_i32 s41, s41, 1
	s_cmpk_lg_i32 s41, 0x2710
	s_cselect_b32 s42, -1, 0
	s_and_b32 vcc_lo, exec_lo, s42
	s_cbranch_vccz .LBB6_9434
; %bb.9433:                             ;   in Loop: Header=BB6_9432 Depth=2
	s_mov_b32 s44, -1
	s_or_b32 s40, s40, exec_lo
	s_and_saveexec_b32 s43, s42
	s_cbranch_execz .LBB6_9431
	s_branch .LBB6_9435
.LBB6_9434:                             ;   in Loop: Header=BB6_9432 Depth=2
	s_trap 2
	ds_read_b64 v[0:1], v0
	s_andn2_b32 s42, s42, exec_lo
	s_mov_b32 s41, 0
	s_waitcnt lgkmcnt(0)
	s_waitcnt_vscnt null, 0x0
	flat_load_dword v0, v[0:1] glc dlc
	s_waitcnt vmcnt(0) lgkmcnt(0)
	buffer_gl1_inv
	buffer_gl0_inv
	v_cmp_eq_u32_e32 vcc_lo, 0, v0
	s_and_b32 s43, vcc_lo, exec_lo
	s_or_b32 s42, s42, s43
	s_mov_b32 s44, -1
	s_or_b32 s40, s40, exec_lo
	s_and_saveexec_b32 s43, s42
	s_cbranch_execz .LBB6_9431
.LBB6_9435:                             ;   in Loop: Header=BB6_9432 Depth=2
	s_sleep 1
	s_trap 2
	ds_read_b64 v[0:1], v0
	s_waitcnt lgkmcnt(0)
	buffer_gl0_inv
	s_clause 0x1
	buffer_load_dword v2, off, s[0:3], s33 offset:216
	buffer_load_dword v3, off, s[0:3], s33 offset:220
	s_andn2_b32 s40, s40, exec_lo
	s_waitcnt vmcnt(0)
	v_cmp_ge_u64_e32 vcc_lo, v[0:1], v[2:3]
	s_orn2_b32 s44, vcc_lo, exec_lo
	s_branch .LBB6_9431
.LBB6_9436:                             ;   in Loop: Header=BB6_4781 Depth=1
	s_inst_prefetch 0x2
	s_or_b32 exec_lo, exec_lo, s28
	s_and_saveexec_b32 s28, s29
	s_xor_b32 s28, exec_lo, s28
	s_cbranch_execz .LBB6_9438
; %bb.9437:                             ;   in Loop: Header=BB6_4781 Depth=1
	v_mov_b32_e32 v0, 1
	ds_write_b32 v0, v0
	s_trap 2
.LBB6_9438:                             ;   in Loop: Header=BB6_4781 Depth=1
	s_or_b32 exec_lo, exec_lo, s27
	;;#ASMSTART
	s_wakeup
	;;#ASMEND
.LBB6_9439:                             ;   in Loop: Header=BB6_4781 Depth=1
	s_or_b32 exec_lo, exec_lo, s26
.LBB6_9440:                             ;   in Loop: Header=BB6_4781 Depth=1
	s_andn2_saveexec_b32 s25, s25
	s_cbranch_execz .LBB6_9442
; %bb.9441:                             ;   in Loop: Header=BB6_4781 Depth=1
	s_waitcnt vmcnt(0) lgkmcnt(0)
	s_waitcnt_vscnt null, 0x0
	buffer_gl1_inv
	buffer_gl0_inv
	s_barrier
.LBB6_9442:                             ;   in Loop: Header=BB6_4781 Depth=1
	s_or_b32 exec_lo, exec_lo, s25
.LBB6_9443:                             ;   in Loop: Header=BB6_4781 Depth=1
	s_or_b32 exec_lo, exec_lo, s13
	buffer_load_dword v0, off, s[0:3], s33 offset:196 ; 4-byte Folded Reload
	s_waitcnt vmcnt(0)
	v_and_b32_e32 v0, 16, v0
	v_cmp_ne_u32_e32 vcc_lo, 0, v0
	s_and_b32 s13, vcc_lo, s12
	s_and_saveexec_b32 s12, s13
	s_cbranch_execz .LBB6_9445
; %bb.9444:                             ;   in Loop: Header=BB6_4781 Depth=1
	s_waitcnt lgkmcnt(0)
	s_waitcnt_vscnt null, 0x0
	buffer_gl1_inv
	buffer_gl0_inv
.LBB6_9445:                             ;   in Loop: Header=BB6_4781 Depth=1
	s_or_b32 exec_lo, exec_lo, s12
	buffer_load_dword v0, off, s[0:3], s33 offset:196 ; 4-byte Folded Reload
	s_mov_b32 s12, exec_lo
	s_waitcnt vmcnt(0)
	v_and_b32_e32 v0, 32, v0
	v_cmpx_ne_u32_e32 0, v0
	s_cbranch_execz .LBB6_9447
; %bb.9446:                             ;   in Loop: Header=BB6_4781 Depth=1
	s_clause 0x3
	buffer_load_dword v0, off, s[0:3], s33 offset:200
	buffer_load_dword v1, off, s[0:3], s33 offset:204
	;; [unrolled: 1-line block ×4, first 2 shown]
	s_waitcnt vmcnt(1)
	v_add_co_u32 v2, vcc_lo, v2, 1
	s_waitcnt vmcnt(0)
	v_add_co_ci_u32_e64 v3, null, 0, v3, vcc_lo
	buffer_store_dword v0, off, s[0:3], s33 offset:200 ; 4-byte Folded Spill
	buffer_store_dword v1, off, s[0:3], s33 offset:204 ; 4-byte Folded Spill
	;; [unrolled: 1-line block ×4, first 2 shown]
	s_clause 0x1
	buffer_load_dword v0, off, s[0:3], s33 offset:188
	buffer_load_dword v1, off, s[0:3], s33 offset:192
	s_waitcnt vmcnt(0) lgkmcnt(0)
	s_waitcnt_vscnt null, 0x0
	flat_store_dwordx2 v[0:1], v[2:3]
.LBB6_9447:                             ;   in Loop: Header=BB6_4781 Depth=1
	s_or_b32 exec_lo, exec_lo, s12
	v_mov_b32_e32 v0, v55
.LBB6_9448:                             ;   in Loop: Header=BB6_4781 Depth=1
	s_or_b32 exec_lo, exec_lo, s24
	s_and_saveexec_b32 s13, s23
	s_cbranch_execnz .LBB6_9449
; %bb.12610:                            ;   in Loop: Header=BB6_4781 Depth=1
	s_getpc_b64 s[34:35]
.Lpost_getpc24:
	s_add_u32 s34, s34, (.LBB6_4780-.Lpost_getpc24)&4294967295
	s_addc_u32 s35, s35, (.LBB6_4780-.Lpost_getpc24)>>32
	s_setpc_b64 s[34:35]
.LBB6_9449:                             ;   in Loop: Header=BB6_4781 Depth=1
	buffer_load_dword v1, off, s[0:3], s33 offset:196 ; 4-byte Folded Reload
	s_mov_b32 s23, exec_lo
	s_waitcnt vmcnt(0)
	v_and_b32_e32 v1, 4, v1
	v_cmpx_ne_u32_e32 0, v1
	s_cbranch_execz .LBB6_9471
; %bb.9450:                             ;   in Loop: Header=BB6_4781 Depth=1
	s_clause 0x3
	buffer_load_dword v1, off, s[0:3], s33 offset:200
	buffer_load_dword v2, off, s[0:3], s33 offset:204
	buffer_load_dword v3, off, s[0:3], s33 offset:208
	buffer_load_dword v4, off, s[0:3], s33 offset:212
	s_mov_b32 s24, exec_lo
	s_waitcnt vmcnt(1)
	v_add_co_u32 v10, vcc_lo, v3, 1
	s_waitcnt vmcnt(0)
	v_add_co_ci_u32_e64 v11, null, 0, v4, vcc_lo
	v_cmpx_lt_u64_e64 v[38:39], v[10:11]
	s_cbranch_execz .LBB6_9462
; %bb.9451:                             ;   in Loop: Header=BB6_4781 Depth=1
	buffer_load_dword v1, off, s[0:3], s33 offset:196 ; 4-byte Folded Reload
	s_mov_b32 s25, 0
	s_mov_b32 s29, 0
                                        ; implicit-def: $sgpr26
                                        ; implicit-def: $sgpr27
                                        ; implicit-def: $sgpr28
	s_waitcnt vmcnt(0)
	v_and_b32_e32 v1, 64, v1
	v_cmp_eq_u32_e32 vcc_lo, 0, v1
	s_branch .LBB6_9455
.LBB6_9452:                             ;   in Loop: Header=BB6_9455 Depth=2
	s_waitcnt vmcnt(0) lgkmcnt(0)
	v_cmp_ge_u64_e64 s12, v[38:39], v[10:11]
	s_or_b32 s42, s42, exec_lo
	s_orn2_b32 s41, s12, exec_lo
.LBB6_9453:                             ;   in Loop: Header=BB6_9455 Depth=2
	s_or_b32 exec_lo, exec_lo, s44
	s_andn2_b32 s12, s28, exec_lo
	s_and_b32 s28, s42, exec_lo
	s_andn2_b32 s27, s27, exec_lo
	s_and_b32 s41, s41, exec_lo
	s_or_b32 s28, s12, s28
	s_or_b32 s27, s27, s41
.LBB6_9454:                             ;   in Loop: Header=BB6_9455 Depth=2
	s_or_b32 exec_lo, exec_lo, s40
	s_and_b32 s12, exec_lo, s27
	s_or_b32 s25, s12, s25
	s_andn2_b32 s12, s26, exec_lo
	s_and_b32 s26, s28, exec_lo
	s_or_b32 s26, s12, s26
	s_andn2_b32 exec_lo, exec_lo, s25
	s_cbranch_execz .LBB6_9459
.LBB6_9455:                             ;   Parent Loop BB6_4781 Depth=1
                                        ; =>  This Inner Loop Header: Depth=2
	s_sleep 1
	s_clause 0x1
	buffer_load_dword v1, off, s[0:3], s33 offset:188
	buffer_load_dword v2, off, s[0:3], s33 offset:192
	s_or_b32 s28, s28, exec_lo
	s_or_b32 s27, s27, exec_lo
	s_waitcnt vmcnt(0) lgkmcnt(0)
	flat_load_dwordx2 v[38:39], v[1:2] glc dlc
                                        ; implicit-def: $vgpr1
	s_and_saveexec_b32 s40, vcc_lo
	s_cbranch_execz .LBB6_9454
; %bb.9456:                             ;   in Loop: Header=BB6_9455 Depth=2
	s_cmpk_lt_i32 s29, 0x270f
	s_mov_b32 s41, -1
	s_cselect_b32 s43, -1, 0
	s_cmpk_gt_i32 s29, 0x270e
	s_cbranch_scc0 .LBB6_9458
; %bb.9457:                             ;   in Loop: Header=BB6_9455 Depth=2
	s_trap 2
	ds_read_b64 v[1:2], v0
	s_andn2_b32 s29, s43, exec_lo
	s_mov_b32 s42, 0
	s_waitcnt vmcnt(0) lgkmcnt(0)
	s_waitcnt_vscnt null, 0x0
	flat_load_dword v1, v[1:2] glc dlc
	s_waitcnt vmcnt(0) lgkmcnt(0)
	buffer_gl1_inv
	buffer_gl0_inv
	v_cmp_eq_u32_e64 s12, 0, v1
	s_and_b32 s12, s12, exec_lo
	s_or_b32 s43, s29, s12
	s_mov_b32 s29, 0
	s_and_saveexec_b32 s44, s43
	s_cbranch_execz .LBB6_9453
	s_branch .LBB6_9452
.LBB6_9458:                             ;   in Loop: Header=BB6_9455 Depth=2
	s_add_i32 s29, s29, 1
	s_mov_b32 s42, -1
                                        ; implicit-def: $vgpr1
	s_and_saveexec_b32 s44, s43
	s_cbranch_execz .LBB6_9453
	s_branch .LBB6_9452
.LBB6_9459:                             ;   in Loop: Header=BB6_4781 Depth=1
	s_or_b32 exec_lo, exec_lo, s25
	s_xor_b32 s12, s26, -1
	s_and_saveexec_b32 s25, s12
	s_xor_b32 s12, exec_lo, s25
	s_cbranch_execz .LBB6_9461
; %bb.9460:                             ;   in Loop: Header=BB6_4781 Depth=1
	buffer_load_dword v2, off, s[0:3], s33 offset:196 ; 4-byte Folded Reload
	s_waitcnt vmcnt(0)
	v_or_b32_e32 v2, 64, v2
	buffer_store_dword v2, off, s[0:3], s33 offset:196 ; 4-byte Folded Spill
	s_waitcnt lgkmcnt(0)
	s_waitcnt_vscnt null, 0x0
	ds_write_b32 v0, v1
	s_trap 2
.LBB6_9461:                             ;   in Loop: Header=BB6_4781 Depth=1
	s_or_b32 exec_lo, exec_lo, s12
.LBB6_9462:                             ;   in Loop: Header=BB6_4781 Depth=1
	s_or_b32 exec_lo, exec_lo, s24
	buffer_load_dword v1, off, s[0:3], s33 offset:196 ; 4-byte Folded Reload
	s_mov_b32 s12, -1
                                        ; implicit-def: $vgpr8_vgpr9
	s_waitcnt vmcnt(0)
	v_and_b32_e32 v1, 0x100, v1
	v_cmp_ne_u32_e32 vcc_lo, 0, v1
	s_clause 0x3
	buffer_load_dword v1, off, s[0:3], s33 offset:200
	buffer_load_dword v2, off, s[0:3], s33 offset:204
	buffer_load_dword v3, off, s[0:3], s33 offset:208
	buffer_load_dword v4, off, s[0:3], s33 offset:212
	;;#ASMSTART
	s_wakeup
	;;#ASMEND
	s_waitcnt vmcnt(1)
	v_and_b32_e32 v1, 7, v3
	s_and_saveexec_b32 s24, vcc_lo
	s_cbranch_execz .LBB6_9466
; %bb.9463:                             ;   in Loop: Header=BB6_4781 Depth=1
	s_clause 0x3
	buffer_load_dword v2, off, s[0:3], s33 offset:200
	buffer_load_dword v3, off, s[0:3], s33 offset:204
	;; [unrolled: 1-line block ×4, first 2 shown]
	s_mov_b32 s25, exec_lo
                                        ; implicit-def: $vgpr8_vgpr9
	s_waitcnt vmcnt(2)
	v_mad_u64_u32 v[12:13], null, v1, 24, v[2:3]
	flat_load_dword v2, v[12:13]
	s_waitcnt vmcnt(0) lgkmcnt(0)
	v_cmp_ne_u32_e32 vcc_lo, 1, v2
	v_cmpx_eq_u32_e32 1, v2
	s_cbranch_execz .LBB6_9465
; %bb.9464:                             ;   in Loop: Header=BB6_4781 Depth=1
	flat_load_dword v8, v[12:13] offset:4 glc dlc
	s_waitcnt vmcnt(0) lgkmcnt(0)
	v_ashrrev_i32_e32 v9, 31, v8
.LBB6_9465:                             ;   in Loop: Header=BB6_4781 Depth=1
	s_or_b32 exec_lo, exec_lo, s25
	s_orn2_b32 s12, vcc_lo, exec_lo
.LBB6_9466:                             ;   in Loop: Header=BB6_4781 Depth=1
	s_or_b32 exec_lo, exec_lo, s24
	s_and_saveexec_b32 s24, s12
	s_cbranch_execz .LBB6_9468
; %bb.9467:                             ;   in Loop: Header=BB6_4781 Depth=1
	buffer_load_dword v2, off, s[0:3], s33 offset:396 ; 4-byte Folded Reload
	s_waitcnt vmcnt(0)
	v_mad_i64_i32 v[8:9], null, v1, v2, 0
.LBB6_9468:                             ;   in Loop: Header=BB6_4781 Depth=1
	s_or_b32 exec_lo, exec_lo, s24
	buffer_load_dword v1, off, s[0:3], s33 offset:196 ; 4-byte Folded Reload
	s_mov_b32 s12, exec_lo
	s_waitcnt vmcnt(0)
	v_and_b32_e32 v3, 0x2000, v1
	s_clause 0x1
	buffer_load_dword v1, off, s[0:3], s33 offset:368
	buffer_load_dword v2, off, s[0:3], s33 offset:372
	s_waitcnt vmcnt(1)
	v_add_co_u32 v1, vcc_lo, v1, v8
	s_waitcnt vmcnt(0)
	v_add_co_ci_u32_e64 v2, null, v2, v9, vcc_lo
	ds_write_b64 v0, v[1:2] offset:728
	v_cmpx_ne_u32_e32 0, v3
	s_cbranch_execz .LBB6_9470
; %bb.9469:                             ;   in Loop: Header=BB6_4781 Depth=1
	ds_read_b64 v[1:2], v0 offset:872
	s_waitcnt lgkmcnt(0)
	v_add_co_u32 v1, vcc_lo, v1, 1
	v_add_co_ci_u32_e64 v2, null, 0, v2, vcc_lo
	ds_write_b64 v0, v[1:2] offset:872
.LBB6_9470:                             ;   in Loop: Header=BB6_4781 Depth=1
	s_or_b32 exec_lo, exec_lo, s12
	s_clause 0x3
	buffer_load_dword v1, off, s[0:3], s33 offset:200
	buffer_load_dword v2, off, s[0:3], s33 offset:204
	;; [unrolled: 1-line block ×4, first 2 shown]
	s_waitcnt vmcnt(0)
	v_mov_b32_e32 v3, v10
	v_mov_b32_e32 v4, v11
	buffer_store_dword v1, off, s[0:3], s33 offset:200 ; 4-byte Folded Spill
	buffer_store_dword v2, off, s[0:3], s33 offset:204 ; 4-byte Folded Spill
	;; [unrolled: 1-line block ×4, first 2 shown]
.LBB6_9471:                             ;   in Loop: Header=BB6_4781 Depth=1
	s_or_b32 exec_lo, exec_lo, s23
	s_and_saveexec_b32 s12, s6
	s_cbranch_execz .LBB6_9490
; %bb.9472:                             ;   in Loop: Header=BB6_4781 Depth=1
	s_and_saveexec_b32 s23, s19
	s_xor_b32 s23, exec_lo, s23
	s_cbranch_execz .LBB6_9487
; %bb.9473:                             ;   in Loop: Header=BB6_4781 Depth=1
	s_and_saveexec_b32 s24, s7
	s_cbranch_execz .LBB6_9486
; %bb.9474:                             ;   in Loop: Header=BB6_4781 Depth=1
	s_mov_b32 s26, exec_lo
	s_mov_b32 s25, exec_lo
	v_mbcnt_lo_u32_b32 v1, s26, 0
	s_waitcnt lgkmcnt(0)
	s_waitcnt_vscnt null, 0x0
	buffer_gl1_inv
	buffer_gl0_inv
	v_cmpx_eq_u32_e32 0, v1
	s_cbranch_execz .LBB6_9476
; %bb.9475:                             ;   in Loop: Header=BB6_4781 Depth=1
	s_bcnt1_i32_b32 s26, s26
	v_mov_b32_e32 v50, s26
	ds_add_u64 v0, v[50:51]
	s_trap 2
.LBB6_9476:                             ;   in Loop: Header=BB6_4781 Depth=1
	s_or_b32 exec_lo, exec_lo, s25
	s_trap 2
	ds_read_b64 v[1:2], v0
	s_waitcnt lgkmcnt(0)
	buffer_gl0_inv
	s_clause 0x1
	buffer_load_dword v3, off, s[0:3], s33 offset:216
	buffer_load_dword v4, off, s[0:3], s33 offset:220
	s_mov_b32 s25, exec_lo
	s_waitcnt vmcnt(1)
	v_add_co_u32 v3, vcc_lo, v3, v86
	s_waitcnt vmcnt(0)
	v_add_co_ci_u32_e64 v4, null, 0, v4, vcc_lo
	buffer_store_dword v3, off, s[0:3], s33 offset:216 ; 4-byte Folded Spill
	buffer_store_dword v4, off, s[0:3], s33 offset:220 ; 4-byte Folded Spill
	v_cmpx_lt_u64_e64 v[1:2], v[3:4]
	s_cbranch_execz .LBB6_9485
; %bb.9477:                             ;   in Loop: Header=BB6_4781 Depth=1
	s_mov_b32 s26, 0
	s_mov_b32 s29, 0
                                        ; implicit-def: $sgpr27
                                        ; implicit-def: $sgpr28
	s_inst_prefetch 0x1
	s_branch .LBB6_9479
	.p2align	6
.LBB6_9478:                             ;   in Loop: Header=BB6_9479 Depth=2
	s_or_b32 exec_lo, exec_lo, s41
	s_and_b32 s40, exec_lo, s42
	s_or_b32 s26, s40, s26
	s_andn2_b32 s27, s27, exec_lo
	s_and_b32 s40, s28, exec_lo
	s_or_b32 s27, s27, s40
	s_andn2_b32 exec_lo, exec_lo, s26
	s_cbranch_execz .LBB6_9483
.LBB6_9479:                             ;   Parent Loop BB6_4781 Depth=1
                                        ; =>  This Inner Loop Header: Depth=2
	s_add_i32 s29, s29, 1
	s_cmpk_lg_i32 s29, 0x2710
	s_cselect_b32 s40, -1, 0
	s_and_b32 vcc_lo, exec_lo, s40
	s_cbranch_vccz .LBB6_9481
; %bb.9480:                             ;   in Loop: Header=BB6_9479 Depth=2
	s_mov_b32 s42, -1
	s_or_b32 s28, s28, exec_lo
	s_and_saveexec_b32 s41, s40
	s_cbranch_execz .LBB6_9478
	s_branch .LBB6_9482
.LBB6_9481:                             ;   in Loop: Header=BB6_9479 Depth=2
	s_trap 2
	ds_read_b64 v[1:2], v0
	s_andn2_b32 s40, s40, exec_lo
	s_mov_b32 s29, 0
	s_waitcnt lgkmcnt(0)
	s_waitcnt_vscnt null, 0x0
	flat_load_dword v1, v[1:2] glc dlc
	s_waitcnt vmcnt(0) lgkmcnt(0)
	buffer_gl1_inv
	buffer_gl0_inv
	v_cmp_eq_u32_e32 vcc_lo, 0, v1
	s_and_b32 s41, vcc_lo, exec_lo
	s_or_b32 s40, s40, s41
	s_mov_b32 s42, -1
	s_or_b32 s28, s28, exec_lo
	s_and_saveexec_b32 s41, s40
	s_cbranch_execz .LBB6_9478
.LBB6_9482:                             ;   in Loop: Header=BB6_9479 Depth=2
	s_sleep 1
	s_trap 2
	ds_read_b64 v[1:2], v0
	s_waitcnt lgkmcnt(0)
	buffer_gl0_inv
	s_clause 0x1
	buffer_load_dword v3, off, s[0:3], s33 offset:216
	buffer_load_dword v4, off, s[0:3], s33 offset:220
	s_andn2_b32 s28, s28, exec_lo
	s_waitcnt vmcnt(0)
	v_cmp_ge_u64_e32 vcc_lo, v[1:2], v[3:4]
	s_orn2_b32 s42, vcc_lo, exec_lo
	s_branch .LBB6_9478
.LBB6_9483:                             ;   in Loop: Header=BB6_4781 Depth=1
	s_inst_prefetch 0x2
	s_or_b32 exec_lo, exec_lo, s26
	s_and_saveexec_b32 s26, s27
	s_xor_b32 s26, exec_lo, s26
	s_cbranch_execz .LBB6_9485
; %bb.9484:                             ;   in Loop: Header=BB6_4781 Depth=1
	v_mov_b32_e32 v1, 1
	ds_write_b32 v0, v1
	s_trap 2
.LBB6_9485:                             ;   in Loop: Header=BB6_4781 Depth=1
	s_or_b32 exec_lo, exec_lo, s25
	;;#ASMSTART
	s_wakeup
	;;#ASMEND
.LBB6_9486:                             ;   in Loop: Header=BB6_4781 Depth=1
	s_or_b32 exec_lo, exec_lo, s24
.LBB6_9487:                             ;   in Loop: Header=BB6_4781 Depth=1
	s_andn2_saveexec_b32 s23, s23
	s_cbranch_execz .LBB6_9489
; %bb.9488:                             ;   in Loop: Header=BB6_4781 Depth=1
	s_waitcnt lgkmcnt(0)
	s_waitcnt_vscnt null, 0x0
	buffer_gl1_inv
	buffer_gl0_inv
	s_barrier
.LBB6_9489:                             ;   in Loop: Header=BB6_4781 Depth=1
	s_or_b32 exec_lo, exec_lo, s23
.LBB6_9490:                             ;   in Loop: Header=BB6_4781 Depth=1
	s_or_b32 exec_lo, exec_lo, s12
	s_trap 2
	ds_read_b32 v1, v0
	v_sub_nc_u32_e32 v0, v54, v0
	v_min_i32_e32 v0, v55, v0
	v_cmp_lt_i32_e32 vcc_lo, 0, v0
	s_waitcnt lgkmcnt(0)
	v_readfirstlane_b32 s12, v1
	buffer_load_dword v1, off, s[0:3], s33 offset:196 ; 4-byte Folded Reload
	s_cmp_eq_u32 s12, 0
	s_cselect_b32 s23, -1, 0
	s_and_b32 s23, vcc_lo, s23
	s_waitcnt vmcnt(0)
	v_and_b32_e32 v1, 16, v1
	v_cmp_ne_u32_e64 s12, 0, v1
	s_and_b32 s23, s12, s23
	s_and_saveexec_b32 s12, s23
	s_cbranch_execz .LBB6_9492
; %bb.9491:                             ;   in Loop: Header=BB6_4781 Depth=1
	s_waitcnt_vscnt null, 0x0
	buffer_gl1_inv
	buffer_gl0_inv
.LBB6_9492:                             ;   in Loop: Header=BB6_4781 Depth=1
	s_or_b32 exec_lo, exec_lo, s12
	buffer_load_dword v0, off, s[0:3], s33 offset:196 ; 4-byte Folded Reload
	s_mov_b32 s12, exec_lo
	s_waitcnt vmcnt(0)
	v_and_b32_e32 v0, 32, v0
	v_cmpx_ne_u32_e32 0, v0
	s_cbranch_execnz .LBB6_9493
; %bb.12612:                            ;   in Loop: Header=BB6_4781 Depth=1
	s_getpc_b64 s[34:35]
.Lpost_getpc25:
	s_add_u32 s34, s34, (.LBB6_4779-.Lpost_getpc25)&4294967295
	s_addc_u32 s35, s35, (.LBB6_4779-.Lpost_getpc25)>>32
	s_setpc_b64 s[34:35]
.LBB6_9493:                             ;   in Loop: Header=BB6_4781 Depth=1
	s_clause 0x3
	buffer_load_dword v0, off, s[0:3], s33 offset:200
	buffer_load_dword v1, off, s[0:3], s33 offset:204
	;; [unrolled: 1-line block ×4, first 2 shown]
	s_waitcnt vmcnt(1)
	v_add_co_u32 v2, vcc_lo, v2, 1
	s_waitcnt vmcnt(0)
	v_add_co_ci_u32_e64 v3, null, 0, v3, vcc_lo
	buffer_store_dword v0, off, s[0:3], s33 offset:200 ; 4-byte Folded Spill
	buffer_store_dword v1, off, s[0:3], s33 offset:204 ; 4-byte Folded Spill
	;; [unrolled: 1-line block ×4, first 2 shown]
	s_clause 0x1
	buffer_load_dword v0, off, s[0:3], s33 offset:188
	buffer_load_dword v1, off, s[0:3], s33 offset:192
	s_waitcnt vmcnt(0)
	s_waitcnt_vscnt null, 0x0
	flat_store_dwordx2 v[0:1], v[2:3]
; %bb.12580:                            ;   in Loop: Header=BB6_4781 Depth=1
	s_getpc_b64 s[34:35]
.Lpost_getpc9:
	s_add_u32 s34, s34, (.LBB6_4779-.Lpost_getpc9)&4294967295
	s_addc_u32 s35, s35, (.LBB6_4779-.Lpost_getpc9)>>32
	s_setpc_b64 s[34:35]
.LBB6_9494:
	s_or_b32 exec_lo, exec_lo, s20
.LBB6_9495:
	s_or_b32 exec_lo, exec_lo, s18
.LBB6_9496:
	s_or_b32 exec_lo, exec_lo, s14
                                        ; implicit-def: $vgpr0_vgpr1
                                        ; kill: killed $vgpr0_vgpr1
                                        ; implicit-def: $vgpr96_vgpr97
                                        ; implicit-def: $vgpr19_vgpr20
                                        ; implicit-def: $vgpr38_vgpr39
                                        ; implicit-def: $vgpr0
                                        ; kill: killed $vgpr0
                                        ; implicit-def: $vgpr0_vgpr1
                                        ; kill: killed $vgpr0_vgpr1
                                        ; implicit-def: $vgpr0_vgpr1
                                        ; kill: killed $vgpr0_vgpr1
                                        ; implicit-def: $vgpr0
                                        ; implicit-def: $vgpr1
                                        ; kill: killed $vgpr0
                                        ; implicit-def: $vgpr0
	buffer_store_dword v1, off, s[0:3], s33 offset:336 ; 4-byte Folded Spill
	buffer_store_dword v2, off, s[0:3], s33 offset:340 ; 4-byte Folded Spill
.LBB6_9497:
	s_andn2_saveexec_b32 s17, s17
	s_cbranch_execz .LBB6_12533
; %bb.9498:
	v_mov_b32_e32 v1, 0
	v_mov_b32_e32 v2, 0
	s_mov_b32 s18, exec_lo
	buffer_store_dword v1, off, s[0:3], s33 offset:216 ; 4-byte Folded Spill
	buffer_store_dword v2, off, s[0:3], s33 offset:220 ; 4-byte Folded Spill
	s_waitcnt vmcnt(2)
	v_cmpx_ne_u64_e32 0, v[19:20]
	s_cbranch_execz .LBB6_12532
; %bb.9499:
	s_clause 0x3
	buffer_load_dword v2, off, s[0:3], s33 offset:384
	buffer_load_dword v4, off, s[0:3], s33 offset:376
	;; [unrolled: 1-line block ×4, first 2 shown]
	s_ashr_i32 s6, s16, 31
	v_mov_b32_e32 v16, 0
	s_lshr_b32 s6, s6, 24
	v_mov_b32_e32 v15, 0
	s_add_i32 s13, s16, s6
	v_mov_b32_e32 v17, 0
	v_mov_b32_e32 v80, 0x7f
	v_mov_b32_e32 v81, 0x80
	v_mov_b32_e32 v82, 0xffff
	v_mov_b32_e32 v83, 24
	v_mov_b32_e32 v86, 0xff
	s_ashr_i32 s20, s13, 8
	s_mov_b32 s19, 0
	s_waitcnt vmcnt(3)
	v_lshrrev_b32_e32 v59, 5, v2
	s_waitcnt vmcnt(2)
	v_and_b32_e32 v5, 31, v4
	s_waitcnt vmcnt(1)
	v_and_b32_e32 v1, 31, v1
	v_cmp_ge_u32_e64 s5, v4, v2
	v_cmp_eq_u32_e32 vcc_lo, 32, v2
	v_cmp_ne_u32_e64 s6, 32, v2
	buffer_store_dword v5, off, s[0:3], s33 offset:436 ; 4-byte Folded Spill
	v_cmp_eq_u32_e64 s7, 0, v1
	v_lshlrev_b32_e32 v1, 12, v59
	s_waitcnt vmcnt(0)
	v_cmp_ne_u32_sdwa s16, v2, v3 src0_sel:DWORD src1_sel:WORD_0
	v_cmp_lt_u32_e64 s11, v5, v0
	v_lshrrev_b32_e32 v3, 5, v4
	v_lshlrev_b32_e32 v0, 4, v5
	buffer_store_dword v1, off, s[0:3], s33 offset:364 ; 4-byte Folded Spill
	v_lshlrev_b32_e32 v1, 9, v59
	v_cmp_eq_u32_e64 s10, 0, v5
	s_xor_b32 s21, vcc_lo, -1
	v_lshl_or_b32 v0, v3, 12, v0
	buffer_store_dword v1, off, s[0:3], s33 offset:448 ; 4-byte Folded Spill
	v_lshlrev_b32_e32 v1, 10, v59
	buffer_store_dword v1, off, s[0:3], s33 offset:360 ; 4-byte Folded Spill
	v_and_b32_e32 v1, 0x1fe0, v2
	buffer_store_dword v1, off, s[0:3], s33 offset:380 ; 4-byte Folded Spill
	s_clause 0x1
	buffer_load_dword v1, off, s[0:3], s33 offset:400
	buffer_load_dword v2, off, s[0:3], s33 offset:404
	buffer_store_dword v0, off, s[0:3], s33 offset:264 ; 4-byte Folded Spill
	buffer_store_dword v3, off, s[0:3], s33 offset:432 ; 4-byte Folded Spill
	s_waitcnt vmcnt(0)
	v_cmp_ne_u64_e64 s12, 0, v[1:2]
	v_mov_b32_e32 v0, 0
	v_mov_b32_e32 v1, 0
	buffer_store_dword v0, off, s[0:3], s33 offset:216 ; 4-byte Folded Spill
	buffer_store_dword v1, off, s[0:3], s33 offset:220 ; 4-byte Folded Spill
	s_trap 2
	s_clause 0x1
	buffer_load_dword v3, off, s[0:3], s33 offset:336
	buffer_load_dword v4, off, s[0:3], s33 offset:340
	buffer_store_dword v59, off, s[0:3], s33 offset:388 ; 4-byte Folded Spill
	buffer_store_dword v19, off, s[0:3], s33 offset:344 ; 4-byte Folded Spill
	;; [unrolled: 1-line block ×7, first 2 shown]
	s_branch .LBB6_9503
.LBB6_9500:                             ;   in Loop: Header=BB6_9503 Depth=1
	s_or_b32 exec_lo, exec_lo, s22
	s_clause 0x3
	buffer_load_dword v0, off, s[0:3], s33 offset:200
	buffer_load_dword v1, off, s[0:3], s33 offset:204
	;; [unrolled: 1-line block ×4, first 2 shown]
	s_waitcnt vmcnt(1)
	v_add_co_u32 v2, vcc_lo, v2, 1
	s_waitcnt vmcnt(0)
	v_add_co_ci_u32_e64 v3, null, 0, v3, vcc_lo
	buffer_store_dword v0, off, s[0:3], s33 offset:200 ; 4-byte Folded Spill
	buffer_store_dword v1, off, s[0:3], s33 offset:204 ; 4-byte Folded Spill
	;; [unrolled: 1-line block ×4, first 2 shown]
	s_clause 0x1
	buffer_load_dword v0, off, s[0:3], s33 offset:188
	buffer_load_dword v1, off, s[0:3], s33 offset:192
	s_waitcnt vmcnt(0) lgkmcnt(0)
	s_waitcnt_vscnt null, 0x0
	flat_store_dwordx2 v[0:1], v[2:3]
.LBB6_9501:                             ;   in Loop: Header=BB6_9503 Depth=1
	s_or_b32 exec_lo, exec_lo, s13
.LBB6_9502:                             ;   in Loop: Header=BB6_9503 Depth=1
	s_or_b32 exec_lo, exec_lo, s14
	s_clause 0x1
	buffer_load_dword v3, off, s[0:3], s33 offset:336
	buffer_load_dword v4, off, s[0:3], s33 offset:340
	s_waitcnt vmcnt(1)
	v_add_co_u32 v16, vcc_lo, v16, v3
	v_add_co_ci_u32_e64 v17, null, 0, v17, vcc_lo
	v_cmp_ge_u64_e32 vcc_lo, v[16:17], v[19:20]
	s_or_b32 s19, vcc_lo, s19
	s_andn2_b32 exec_lo, exec_lo, s19
	s_cbranch_execz .LBB6_12531
.LBB6_9503:                             ; =>This Loop Header: Depth=1
                                        ;     Child Loop BB6_9512 Depth 2
                                        ;     Child Loop BB6_9536 Depth 2
	;; [unrolled: 1-line block ×10, first 2 shown]
	v_sub_co_u32 v0, vcc_lo, v19, v16
	v_sub_co_ci_u32_e64 v1, null, v20, v17, vcc_lo
	s_waitcnt vmcnt(0)
	v_cmp_lt_u64_e32 vcc_lo, v[3:4], v[0:1]
	v_cndmask_b32_e32 v18, v0, v3, vcc_lo
	v_cndmask_b32_e64 v19, v1, 0, vcc_lo
	v_add_nc_u32_e32 v0, 15, v18
	v_cmp_eq_u64_e32 vcc_lo, 0, v[18:19]
	v_and_b32_e32 v0, 0x7ffffff0, v0
	s_or_b32 s22, s5, vcc_lo
	s_xor_b32 s13, s22, -1
	v_max_i32_e32 v14, s20, v0
	v_mov_b32_e32 v0, 0
	s_and_saveexec_b32 s23, s13
	s_cbranch_execz .LBB6_12484
; %bb.9504:                             ;   in Loop: Header=BB6_9503 Depth=1
	s_and_saveexec_b32 s13, s4
	s_cbranch_execz .LBB6_9506
; %bb.9505:                             ;   in Loop: Header=BB6_9503 Depth=1
	s_trap 2
	ds_read_b64 v[0:1], v0
	s_waitcnt lgkmcnt(0)
	v_add_co_u32 v2, vcc_lo, v0, v96
	v_add_co_ci_u32_e64 v1, null, v1, v97, vcc_lo
	v_mov_b32_e32 v0, v15
	v_add_co_u32 v2, vcc_lo, v2, v16
	v_add_co_ci_u32_e64 v3, null, v1, v17, vcc_lo
	v_mov_b32_e32 v1, v15
	ds_write_b64 v0, v[2:3]
	ds_write_b64 v0, v[0:1]
.LBB6_9506:                             ;   in Loop: Header=BB6_9503 Depth=1
	s_or_b32 exec_lo, exec_lo, s13
	buffer_load_dword v0, off, s[0:3], s33 offset:196 ; 4-byte Folded Reload
	v_min_u32_e32 v14, v14, v18
	s_mov_b32 s14, exec_lo
	s_waitcnt vmcnt(0)
	v_and_b32_e32 v0, 8, v0
	v_cmpx_ne_u32_e32 0, v0
	s_cbranch_execz .LBB6_9528
; %bb.9507:                             ;   in Loop: Header=BB6_9503 Depth=1
	s_clause 0x3
	buffer_load_dword v2, off, s[0:3], s33 offset:200
	buffer_load_dword v3, off, s[0:3], s33 offset:204
	;; [unrolled: 1-line block ×4, first 2 shown]
	v_add_co_u32 v0, vcc_lo, v38, 8
	v_add_co_ci_u32_e64 v1, null, 0, v39, vcc_lo
	s_mov_b32 s24, exec_lo
	s_waitcnt vmcnt(1)
	v_add_co_u32 v10, vcc_lo, v4, 1
	s_waitcnt vmcnt(0)
	v_add_co_ci_u32_e64 v11, null, 0, v5, vcc_lo
	v_cmpx_lt_u64_e64 v[0:1], v[10:11]
	s_cbranch_execz .LBB6_9519
; %bb.9508:                             ;   in Loop: Header=BB6_9503 Depth=1
	buffer_load_dword v0, off, s[0:3], s33 offset:196 ; 4-byte Folded Reload
	s_mov_b32 s25, 0
	s_mov_b32 s29, 0
                                        ; implicit-def: $sgpr26
                                        ; implicit-def: $sgpr27
                                        ; implicit-def: $sgpr28
	s_waitcnt vmcnt(0)
	v_and_b32_e32 v0, 64, v0
	v_cmp_eq_u32_e32 vcc_lo, 0, v0
	s_branch .LBB6_9512
.LBB6_9509:                             ;   in Loop: Header=BB6_9512 Depth=2
	s_waitcnt vmcnt(0) lgkmcnt(0)
	v_add_co_u32 v1, s13, v38, 8
	v_add_co_ci_u32_e64 v2, null, 0, v39, s13
	s_or_b32 s42, s42, exec_lo
	v_cmp_ge_u64_e64 s13, v[1:2], v[10:11]
	s_orn2_b32 s41, s13, exec_lo
.LBB6_9510:                             ;   in Loop: Header=BB6_9512 Depth=2
	s_or_b32 exec_lo, exec_lo, s44
	s_andn2_b32 s13, s28, exec_lo
	s_and_b32 s28, s42, exec_lo
	s_andn2_b32 s27, s27, exec_lo
	s_and_b32 s41, s41, exec_lo
	s_or_b32 s28, s13, s28
	s_or_b32 s27, s27, s41
.LBB6_9511:                             ;   in Loop: Header=BB6_9512 Depth=2
	s_or_b32 exec_lo, exec_lo, s40
	s_and_b32 s13, exec_lo, s27
	s_or_b32 s25, s13, s25
	s_andn2_b32 s13, s26, exec_lo
	s_and_b32 s26, s28, exec_lo
	s_or_b32 s26, s13, s26
	s_andn2_b32 exec_lo, exec_lo, s25
	s_cbranch_execz .LBB6_9516
.LBB6_9512:                             ;   Parent Loop BB6_9503 Depth=1
                                        ; =>  This Inner Loop Header: Depth=2
	s_sleep 1
	s_clause 0x1
	buffer_load_dword v0, off, s[0:3], s33 offset:188
	buffer_load_dword v1, off, s[0:3], s33 offset:192
	s_or_b32 s28, s28, exec_lo
	s_or_b32 s27, s27, exec_lo
	s_waitcnt vmcnt(0) lgkmcnt(0)
	flat_load_dwordx2 v[38:39], v[0:1] glc dlc
                                        ; implicit-def: $vgpr0
	s_and_saveexec_b32 s40, vcc_lo
	s_cbranch_execz .LBB6_9511
; %bb.9513:                             ;   in Loop: Header=BB6_9512 Depth=2
	s_cmpk_lt_i32 s29, 0x270f
	s_mov_b32 s41, -1
	s_cselect_b32 s43, -1, 0
	s_cmpk_gt_i32 s29, 0x270e
	s_cbranch_scc0 .LBB6_9515
; %bb.9514:                             ;   in Loop: Header=BB6_9512 Depth=2
	s_trap 2
	ds_read_b64 v[0:1], v0
	s_andn2_b32 s29, s43, exec_lo
	s_mov_b32 s42, 0
	s_waitcnt vmcnt(0) lgkmcnt(0)
	s_waitcnt_vscnt null, 0x0
	flat_load_dword v0, v[0:1] glc dlc
	s_waitcnt vmcnt(0) lgkmcnt(0)
	buffer_gl1_inv
	buffer_gl0_inv
	v_cmp_eq_u32_e64 s13, 0, v0
	s_and_b32 s13, s13, exec_lo
	s_or_b32 s43, s29, s13
	s_mov_b32 s29, 0
	s_and_saveexec_b32 s44, s43
	s_cbranch_execz .LBB6_9510
	s_branch .LBB6_9509
.LBB6_9515:                             ;   in Loop: Header=BB6_9512 Depth=2
	s_add_i32 s29, s29, 1
	s_mov_b32 s42, -1
                                        ; implicit-def: $vgpr0
	s_and_saveexec_b32 s44, s43
	s_cbranch_execz .LBB6_9510
	s_branch .LBB6_9509
.LBB6_9516:                             ;   in Loop: Header=BB6_9503 Depth=1
	s_or_b32 exec_lo, exec_lo, s25
	s_xor_b32 s13, s26, -1
	s_and_saveexec_b32 s25, s13
	s_xor_b32 s13, exec_lo, s25
	s_cbranch_execz .LBB6_9518
; %bb.9517:                             ;   in Loop: Header=BB6_9503 Depth=1
	buffer_load_dword v1, off, s[0:3], s33 offset:196 ; 4-byte Folded Reload
	s_waitcnt vmcnt(0)
	v_or_b32_e32 v1, 64, v1
	buffer_store_dword v1, off, s[0:3], s33 offset:196 ; 4-byte Folded Spill
	s_waitcnt lgkmcnt(0)
	s_waitcnt_vscnt null, 0x0
	ds_write_b32 v0, v0
	s_trap 2
.LBB6_9518:                             ;   in Loop: Header=BB6_9503 Depth=1
	s_or_b32 exec_lo, exec_lo, s13
.LBB6_9519:                             ;   in Loop: Header=BB6_9503 Depth=1
	s_or_b32 exec_lo, exec_lo, s24
	buffer_load_dword v0, off, s[0:3], s33 offset:196 ; 4-byte Folded Reload
	s_mov_b32 s13, -1
                                        ; implicit-def: $vgpr8_vgpr9
	s_waitcnt vmcnt(0)
	v_and_b32_e32 v0, 0x100, v0
	v_cmp_ne_u32_e32 vcc_lo, 0, v0
	s_clause 0x3
	buffer_load_dword v0, off, s[0:3], s33 offset:200
	buffer_load_dword v1, off, s[0:3], s33 offset:204
	;; [unrolled: 1-line block ×4, first 2 shown]
	;;#ASMSTART
	s_wakeup
	;;#ASMEND
	s_waitcnt vmcnt(1)
	v_and_b32_e32 v0, 7, v2
	s_and_saveexec_b32 s24, vcc_lo
	s_cbranch_execz .LBB6_9523
; %bb.9520:                             ;   in Loop: Header=BB6_9503 Depth=1
	s_clause 0x3
	buffer_load_dword v1, off, s[0:3], s33 offset:200
	buffer_load_dword v2, off, s[0:3], s33 offset:204
	;; [unrolled: 1-line block ×4, first 2 shown]
	s_mov_b32 s25, exec_lo
                                        ; implicit-def: $vgpr8_vgpr9
	s_waitcnt vmcnt(2)
	v_mad_u64_u32 v[12:13], null, v0, 24, v[1:2]
	flat_load_dword v1, v[12:13]
	flat_store_dwordx2 v[12:13], v[14:15] offset:8
	s_waitcnt vmcnt(0) lgkmcnt(1)
	v_cmp_ne_u32_e32 vcc_lo, 1, v1
	v_cmpx_eq_u32_e32 1, v1
	s_cbranch_execz .LBB6_9522
; %bb.9521:                             ;   in Loop: Header=BB6_9503 Depth=1
	flat_load_dword v8, v[12:13] offset:4 glc dlc
	s_waitcnt vmcnt(0) lgkmcnt(0)
	v_ashrrev_i32_e32 v9, 31, v8
.LBB6_9522:                             ;   in Loop: Header=BB6_9503 Depth=1
	s_or_b32 exec_lo, exec_lo, s25
	s_orn2_b32 s13, vcc_lo, exec_lo
.LBB6_9523:                             ;   in Loop: Header=BB6_9503 Depth=1
	s_or_b32 exec_lo, exec_lo, s24
	s_and_saveexec_b32 s24, s13
	s_cbranch_execz .LBB6_9525
; %bb.9524:                             ;   in Loop: Header=BB6_9503 Depth=1
	buffer_load_dword v1, off, s[0:3], s33 offset:396 ; 4-byte Folded Reload
	s_waitcnt vmcnt(0)
	v_mad_i64_i32 v[8:9], null, v0, v1, 0
.LBB6_9525:                             ;   in Loop: Header=BB6_9503 Depth=1
	s_or_b32 exec_lo, exec_lo, s24
	buffer_load_dword v0, off, s[0:3], s33 offset:196 ; 4-byte Folded Reload
	s_mov_b32 s13, exec_lo
	s_waitcnt vmcnt(0)
	v_and_b32_e32 v2, 0x2000, v0
	s_clause 0x1
	buffer_load_dword v0, off, s[0:3], s33 offset:368
	buffer_load_dword v1, off, s[0:3], s33 offset:372
	s_waitcnt vmcnt(1)
	v_add_co_u32 v0, vcc_lo, v0, v8
	s_waitcnt vmcnt(0)
	v_add_co_ci_u32_e64 v1, null, v1, v9, vcc_lo
	ds_write_b64 v0, v[0:1] offset:784
	v_cmpx_ne_u32_e32 0, v2
	s_cbranch_execz .LBB6_9527
; %bb.9526:                             ;   in Loop: Header=BB6_9503 Depth=1
	ds_read_b64 v[0:1], v0 offset:872
	s_waitcnt lgkmcnt(0)
	v_add_co_u32 v0, vcc_lo, v0, 1
	v_add_co_ci_u32_e64 v1, null, 0, v1, vcc_lo
	ds_write_b64 v0, v[0:1] offset:872
.LBB6_9527:                             ;   in Loop: Header=BB6_9503 Depth=1
	s_or_b32 exec_lo, exec_lo, s13
	s_clause 0x3
	buffer_load_dword v0, off, s[0:3], s33 offset:200
	buffer_load_dword v1, off, s[0:3], s33 offset:204
	;; [unrolled: 1-line block ×4, first 2 shown]
	s_waitcnt vmcnt(0)
	v_mov_b32_e32 v2, v10
	v_mov_b32_e32 v3, v11
	buffer_store_dword v0, off, s[0:3], s33 offset:200 ; 4-byte Folded Spill
	buffer_store_dword v1, off, s[0:3], s33 offset:204 ; 4-byte Folded Spill
	buffer_store_dword v2, off, s[0:3], s33 offset:208 ; 4-byte Folded Spill
	buffer_store_dword v3, off, s[0:3], s33 offset:212 ; 4-byte Folded Spill
.LBB6_9528:                             ;   in Loop: Header=BB6_9503 Depth=1
	s_or_b32 exec_lo, exec_lo, s14
	s_and_saveexec_b32 s13, s6
	s_cbranch_execz .LBB6_9547
; %bb.9529:                             ;   in Loop: Header=BB6_9503 Depth=1
	s_and_saveexec_b32 s14, s16
	s_xor_b32 s14, exec_lo, s14
	s_cbranch_execz .LBB6_9544
; %bb.9530:                             ;   in Loop: Header=BB6_9503 Depth=1
	s_and_saveexec_b32 s24, s7
	s_cbranch_execz .LBB6_9543
; %bb.9531:                             ;   in Loop: Header=BB6_9503 Depth=1
	s_mov_b32 s26, exec_lo
	s_mov_b32 s25, exec_lo
	v_mbcnt_lo_u32_b32 v0, s26, 0
	s_waitcnt lgkmcnt(0)
	s_waitcnt_vscnt null, 0x0
	buffer_gl1_inv
	buffer_gl0_inv
	v_cmpx_eq_u32_e32 0, v0
	s_cbranch_execz .LBB6_9533
; %bb.9532:                             ;   in Loop: Header=BB6_9503 Depth=1
	s_bcnt1_i32_b32 s26, s26
	v_mov_b32_e32 v1, v15
	v_mov_b32_e32 v0, s26
	ds_add_u64 v0, v[0:1]
	s_trap 2
.LBB6_9533:                             ;   in Loop: Header=BB6_9503 Depth=1
	s_or_b32 exec_lo, exec_lo, s25
	s_trap 2
	ds_read_b64 v[0:1], v0
	s_waitcnt lgkmcnt(0)
	buffer_gl0_inv
	s_clause 0x1
	buffer_load_dword v2, off, s[0:3], s33 offset:216
	buffer_load_dword v3, off, s[0:3], s33 offset:220
	s_mov_b32 s25, exec_lo
	s_waitcnt vmcnt(1)
	v_add_co_u32 v2, vcc_lo, v2, v59
	s_waitcnt vmcnt(0)
	v_add_co_ci_u32_e64 v3, null, 0, v3, vcc_lo
	buffer_store_dword v2, off, s[0:3], s33 offset:216 ; 4-byte Folded Spill
	buffer_store_dword v3, off, s[0:3], s33 offset:220 ; 4-byte Folded Spill
	v_cmpx_lt_u64_e64 v[0:1], v[2:3]
	s_cbranch_execz .LBB6_9542
; %bb.9534:                             ;   in Loop: Header=BB6_9503 Depth=1
	s_mov_b32 s26, 0
	s_mov_b32 s29, 0
                                        ; implicit-def: $sgpr27
                                        ; implicit-def: $sgpr28
	s_inst_prefetch 0x1
	s_branch .LBB6_9536
	.p2align	6
.LBB6_9535:                             ;   in Loop: Header=BB6_9536 Depth=2
	s_or_b32 exec_lo, exec_lo, s41
	s_and_b32 s40, exec_lo, s42
	s_or_b32 s26, s40, s26
	s_andn2_b32 s27, s27, exec_lo
	s_and_b32 s40, s28, exec_lo
	s_or_b32 s27, s27, s40
	s_andn2_b32 exec_lo, exec_lo, s26
	s_cbranch_execz .LBB6_9540
.LBB6_9536:                             ;   Parent Loop BB6_9503 Depth=1
                                        ; =>  This Inner Loop Header: Depth=2
	s_add_i32 s29, s29, 1
	s_cmpk_lg_i32 s29, 0x2710
	s_cselect_b32 s40, -1, 0
	s_and_b32 vcc_lo, exec_lo, s40
	s_cbranch_vccz .LBB6_9538
; %bb.9537:                             ;   in Loop: Header=BB6_9536 Depth=2
	s_mov_b32 s42, -1
	s_or_b32 s28, s28, exec_lo
	s_and_saveexec_b32 s41, s40
	s_cbranch_execz .LBB6_9535
	s_branch .LBB6_9539
.LBB6_9538:                             ;   in Loop: Header=BB6_9536 Depth=2
	s_trap 2
	ds_read_b64 v[0:1], v0
	s_andn2_b32 s40, s40, exec_lo
	s_mov_b32 s29, 0
	s_waitcnt lgkmcnt(0)
	s_waitcnt_vscnt null, 0x0
	flat_load_dword v0, v[0:1] glc dlc
	s_waitcnt vmcnt(0) lgkmcnt(0)
	buffer_gl1_inv
	buffer_gl0_inv
	v_cmp_eq_u32_e32 vcc_lo, 0, v0
	s_and_b32 s41, vcc_lo, exec_lo
	s_or_b32 s40, s40, s41
	s_mov_b32 s42, -1
	s_or_b32 s28, s28, exec_lo
	s_and_saveexec_b32 s41, s40
	s_cbranch_execz .LBB6_9535
.LBB6_9539:                             ;   in Loop: Header=BB6_9536 Depth=2
	s_sleep 1
	s_trap 2
	ds_read_b64 v[0:1], v0
	s_waitcnt lgkmcnt(0)
	buffer_gl0_inv
	s_clause 0x1
	buffer_load_dword v2, off, s[0:3], s33 offset:216
	buffer_load_dword v3, off, s[0:3], s33 offset:220
	s_andn2_b32 s28, s28, exec_lo
	s_waitcnt vmcnt(0)
	v_cmp_ge_u64_e32 vcc_lo, v[0:1], v[2:3]
	s_orn2_b32 s42, vcc_lo, exec_lo
	s_branch .LBB6_9535
.LBB6_9540:                             ;   in Loop: Header=BB6_9503 Depth=1
	s_inst_prefetch 0x2
	s_or_b32 exec_lo, exec_lo, s26
	s_and_saveexec_b32 s26, s27
	s_xor_b32 s26, exec_lo, s26
	s_cbranch_execz .LBB6_9542
; %bb.9541:                             ;   in Loop: Header=BB6_9503 Depth=1
	v_mov_b32_e32 v0, 1
	ds_write_b32 v0, v0
	s_trap 2
.LBB6_9542:                             ;   in Loop: Header=BB6_9503 Depth=1
	s_or_b32 exec_lo, exec_lo, s25
	;;#ASMSTART
	s_wakeup
	;;#ASMEND
.LBB6_9543:                             ;   in Loop: Header=BB6_9503 Depth=1
	s_or_b32 exec_lo, exec_lo, s24
.LBB6_9544:                             ;   in Loop: Header=BB6_9503 Depth=1
	s_andn2_saveexec_b32 s14, s14
	s_cbranch_execz .LBB6_9546
; %bb.9545:                             ;   in Loop: Header=BB6_9503 Depth=1
	s_waitcnt lgkmcnt(0)
	s_waitcnt_vscnt null, 0x0
	buffer_gl1_inv
	buffer_gl0_inv
	s_barrier
.LBB6_9546:                             ;   in Loop: Header=BB6_9503 Depth=1
	s_or_b32 exec_lo, exec_lo, s14
.LBB6_9547:                             ;   in Loop: Header=BB6_9503 Depth=1
	s_or_b32 exec_lo, exec_lo, s13
	s_trap 2
	buffer_load_dword v1, off, s[0:3], s33 offset:196 ; 4-byte Folded Reload
	ds_read_b32 v0, v0
	s_waitcnt vmcnt(0)
	v_and_b32_e32 v1, 0x4000, v1
	v_cmp_ne_u32_e32 vcc_lo, 0, v1
	s_and_b32 s14, s21, vcc_lo
	s_and_saveexec_b32 s13, s14
	s_cbranch_execz .LBB6_9566
; %bb.9548:                             ;   in Loop: Header=BB6_9503 Depth=1
	s_and_saveexec_b32 s14, s16
	s_xor_b32 s14, exec_lo, s14
	s_cbranch_execz .LBB6_9563
; %bb.9549:                             ;   in Loop: Header=BB6_9503 Depth=1
	s_and_saveexec_b32 s24, s7
	s_cbranch_execz .LBB6_9562
; %bb.9550:                             ;   in Loop: Header=BB6_9503 Depth=1
	s_mov_b32 s26, exec_lo
	s_mov_b32 s25, exec_lo
	v_mbcnt_lo_u32_b32 v1, s26, 0
	s_waitcnt lgkmcnt(0)
	s_waitcnt_vscnt null, 0x0
	buffer_gl1_inv
	buffer_gl0_inv
	v_cmpx_eq_u32_e32 0, v1
	s_cbranch_execz .LBB6_9552
; %bb.9551:                             ;   in Loop: Header=BB6_9503 Depth=1
	s_bcnt1_i32_b32 s26, s26
	v_mov_b32_e32 v2, v15
	v_mov_b32_e32 v1, s26
	ds_add_u64 v0, v[1:2]
	s_trap 2
.LBB6_9552:                             ;   in Loop: Header=BB6_9503 Depth=1
	s_or_b32 exec_lo, exec_lo, s25
	s_trap 2
	ds_read_b64 v[1:2], v0
	s_waitcnt lgkmcnt(0)
	buffer_gl0_inv
	s_clause 0x1
	buffer_load_dword v3, off, s[0:3], s33 offset:216
	buffer_load_dword v4, off, s[0:3], s33 offset:220
	s_mov_b32 s25, exec_lo
	s_waitcnt vmcnt(1)
	v_add_co_u32 v3, vcc_lo, v3, v59
	s_waitcnt vmcnt(0)
	v_add_co_ci_u32_e64 v4, null, 0, v4, vcc_lo
	buffer_store_dword v3, off, s[0:3], s33 offset:216 ; 4-byte Folded Spill
	buffer_store_dword v4, off, s[0:3], s33 offset:220 ; 4-byte Folded Spill
	v_cmpx_lt_u64_e64 v[1:2], v[3:4]
	s_cbranch_execz .LBB6_9561
; %bb.9553:                             ;   in Loop: Header=BB6_9503 Depth=1
	s_mov_b32 s26, 0
	s_mov_b32 s29, 0
                                        ; implicit-def: $sgpr27
                                        ; implicit-def: $sgpr28
	s_inst_prefetch 0x1
	s_branch .LBB6_9555
	.p2align	6
.LBB6_9554:                             ;   in Loop: Header=BB6_9555 Depth=2
	s_or_b32 exec_lo, exec_lo, s41
	s_and_b32 s40, exec_lo, s42
	s_or_b32 s26, s40, s26
	s_andn2_b32 s27, s27, exec_lo
	s_and_b32 s40, s28, exec_lo
	s_or_b32 s27, s27, s40
	s_andn2_b32 exec_lo, exec_lo, s26
	s_cbranch_execz .LBB6_9559
.LBB6_9555:                             ;   Parent Loop BB6_9503 Depth=1
                                        ; =>  This Inner Loop Header: Depth=2
	s_add_i32 s29, s29, 1
	s_cmpk_lg_i32 s29, 0x2710
	s_cselect_b32 s40, -1, 0
	s_and_b32 vcc_lo, exec_lo, s40
	s_cbranch_vccz .LBB6_9557
; %bb.9556:                             ;   in Loop: Header=BB6_9555 Depth=2
	s_mov_b32 s42, -1
	s_or_b32 s28, s28, exec_lo
	s_and_saveexec_b32 s41, s40
	s_cbranch_execz .LBB6_9554
	s_branch .LBB6_9558
.LBB6_9557:                             ;   in Loop: Header=BB6_9555 Depth=2
	s_trap 2
	ds_read_b64 v[1:2], v0
	s_andn2_b32 s40, s40, exec_lo
	s_mov_b32 s29, 0
	s_waitcnt lgkmcnt(0)
	s_waitcnt_vscnt null, 0x0
	flat_load_dword v1, v[1:2] glc dlc
	s_waitcnt vmcnt(0) lgkmcnt(0)
	buffer_gl1_inv
	buffer_gl0_inv
	v_cmp_eq_u32_e32 vcc_lo, 0, v1
	s_and_b32 s41, vcc_lo, exec_lo
	s_or_b32 s40, s40, s41
	s_mov_b32 s42, -1
	s_or_b32 s28, s28, exec_lo
	s_and_saveexec_b32 s41, s40
	s_cbranch_execz .LBB6_9554
.LBB6_9558:                             ;   in Loop: Header=BB6_9555 Depth=2
	s_sleep 1
	s_trap 2
	ds_read_b64 v[1:2], v0
	s_waitcnt lgkmcnt(0)
	buffer_gl0_inv
	s_clause 0x1
	buffer_load_dword v3, off, s[0:3], s33 offset:216
	buffer_load_dword v4, off, s[0:3], s33 offset:220
	s_andn2_b32 s28, s28, exec_lo
	s_waitcnt vmcnt(0)
	v_cmp_ge_u64_e32 vcc_lo, v[1:2], v[3:4]
	s_orn2_b32 s42, vcc_lo, exec_lo
	s_branch .LBB6_9554
.LBB6_9559:                             ;   in Loop: Header=BB6_9503 Depth=1
	s_inst_prefetch 0x2
	s_or_b32 exec_lo, exec_lo, s26
	s_and_saveexec_b32 s26, s27
	s_xor_b32 s26, exec_lo, s26
	s_cbranch_execz .LBB6_9561
; %bb.9560:                             ;   in Loop: Header=BB6_9503 Depth=1
	v_mov_b32_e32 v1, 1
	ds_write_b32 v0, v1
	s_trap 2
.LBB6_9561:                             ;   in Loop: Header=BB6_9503 Depth=1
	s_or_b32 exec_lo, exec_lo, s25
	;;#ASMSTART
	s_wakeup
	;;#ASMEND
.LBB6_9562:                             ;   in Loop: Header=BB6_9503 Depth=1
	s_or_b32 exec_lo, exec_lo, s24
.LBB6_9563:                             ;   in Loop: Header=BB6_9503 Depth=1
	s_andn2_saveexec_b32 s14, s14
	s_cbranch_execz .LBB6_9565
; %bb.9564:                             ;   in Loop: Header=BB6_9503 Depth=1
	s_waitcnt lgkmcnt(0)
	s_waitcnt_vscnt null, 0x0
	buffer_gl1_inv
	buffer_gl0_inv
	s_barrier
.LBB6_9565:                             ;   in Loop: Header=BB6_9503 Depth=1
	s_or_b32 exec_lo, exec_lo, s14
.LBB6_9566:                             ;   in Loop: Header=BB6_9503 Depth=1
	s_or_b32 exec_lo, exec_lo, s13
	s_trap 2
	s_waitcnt lgkmcnt(0)
	ds_read_b64 v[19:20], v0
	s_waitcnt lgkmcnt(0)
	v_cmp_eq_u64_e32 vcc_lo, 0, v[19:20]
	s_cbranch_vccnz .LBB6_9574
; %bb.9567:                             ;   in Loop: Header=BB6_9503 Depth=1
	s_trap 2
	ds_read_b64 v[21:22], v0
	s_waitcnt lgkmcnt(0)
	v_cmp_eq_u64_e32 vcc_lo, 0, v[21:22]
	s_cbranch_vccnz .LBB6_9574
; %bb.9568:                             ;   in Loop: Header=BB6_9503 Depth=1
	s_mov_b32 s13, -1
	s_and_saveexec_b32 s14, s10
	s_cbranch_execz .LBB6_9570
; %bb.9569:                             ;   in Loop: Header=BB6_9503 Depth=1
	ds_read_b32 v1, v0 offset:720
	s_waitcnt lgkmcnt(0)
	v_and_b32_e32 v1, 15, v1
	v_cmp_eq_u32_e32 vcc_lo, 0, v1
	s_orn2_b32 s13, vcc_lo, exec_lo
.LBB6_9570:                             ;   in Loop: Header=BB6_9503 Depth=1
	s_or_b32 exec_lo, exec_lo, s14
	s_and_saveexec_b32 s14, s11
	s_cbranch_execz .LBB6_9572
; %bb.9571:                             ;   in Loop: Header=BB6_9503 Depth=1
	ds_read_b32 v1, v0 offset:784
	s_waitcnt lgkmcnt(0)
	v_and_b32_e32 v1, 15, v1
	v_cmp_eq_u32_e32 vcc_lo, 0, v1
	s_and_b32 s24, s13, vcc_lo
	s_andn2_b32 s13, s13, exec_lo
	s_and_b32 s24, s24, exec_lo
	s_or_b32 s13, s13, s24
.LBB6_9572:                             ;   in Loop: Header=BB6_9503 Depth=1
	s_or_b32 exec_lo, exec_lo, s14
	v_cmp_eq_u32_e32 vcc_lo, 0, v0
	s_xor_b32 s13, s13, -1
	v_mov_b32_e32 v0, 0
	v_cndmask_b32_e64 v1, 0, 1, s13
	s_mov_b32 s13, -1
	v_cndmask_b32_e32 v2, 0, v14, vcc_lo
	v_cmp_ne_u32_e32 vcc_lo, 0, v1
	buffer_store_dword v2, off, s[0:3], s33 offset:392 ; 4-byte Folded Spill
	v_mov_b32_e32 v1, v2
	buffer_load_dword v2, off, s[0:3], s33 offset:376 ; 4-byte Folded Reload
	s_cbranch_vccz .LBB6_9575
; %bb.9573:                             ;   in Loop: Header=BB6_9503 Depth=1
	s_and_saveexec_b32 s14, s13
	s_cbranch_execnz .LBB6_11906
	s_branch .LBB6_12458
.LBB6_9574:                             ;   in Loop: Header=BB6_9503 Depth=1
	s_mov_b32 s13, 0
	s_and_saveexec_b32 s14, s6
	s_cbranch_execnz .LBB6_12459
	s_branch .LBB6_12477
.LBB6_9575:                             ;   in Loop: Header=BB6_9503 Depth=1
	s_clause 0x1
	buffer_load_dword v0, off, s[0:3], s33 offset:392
	buffer_load_dword v1, off, s[0:3], s33 offset:432
	s_mov_b32 s14, exec_lo
	s_waitcnt vmcnt(1)
	v_lshrrev_b32_e32 v0, 12, v0
	s_waitcnt vmcnt(0)
	v_sub_nc_u32_e32 v96, v0, v1
	v_cmpx_lt_i32_e32 0, v96
	s_cbranch_execz .LBB6_11635
; %bb.9576:                             ;   in Loop: Header=BB6_9503 Depth=1
	s_trap 2
	ds_read_b64 v[0:1], v0
	v_mov_b32_e32 v24, v22
	v_mov_b32_e32 v53, v20
	;; [unrolled: 1-line block ×4, first 2 shown]
	s_mov_b32 s24, 0
	s_waitcnt lgkmcnt(0)
	v_readfirstlane_b32 s13, v0
	s_and_b32 s25, s13, 7
	s_bfe_u32 s28, s13, 0x40003
	s_flbit_i32_b32 s26, s25
	s_min_u32 s26, s26, 32
	s_sub_i32 s27, s26, 28
	s_sub_i32 s26, 29, s26
	s_lshl_b32 s27, s13, s27
	s_and_b32 s27, s27, 7
	s_cmp_eq_u32 s28, 0
	s_cselect_b32 s26, s26, s28
	s_cselect_b32 s25, s27, s25
	s_lshl_b32 s27, s13, 24
	s_lshl_b32 s26, s26, 23
	s_and_b32 s27, s27, 0x80000000
	s_add_i32 s26, s26, 0x3b800000
	s_lshl_b32 s28, s25, 20
	s_or_b32 s26, s27, s26
	s_and_b32 s25, s13, 0xff
	s_or_b32 s26, s26, s28
	s_and_b32 s27, 0xffff, s25
	s_branch .LBB6_9580
.LBB6_9577:                             ;   in Loop: Header=BB6_9580 Depth=2
	s_or_b32 exec_lo, exec_lo, s13
	buffer_load_dword v59, off, s[0:3], s33 offset:388 ; 4-byte Folded Reload
	v_and_b32_sdwa v13, v47, v81 dst_sel:DWORD dst_unused:UNUSED_PAD src0_sel:BYTE_3 src1_sel:DWORD
	v_lshrrev_b32_e32 v47, 20, v57
	v_min_i32_e32 v56, 15, v58
	v_cmp_gt_i32_e32 vcc_lo, 16, v58
	v_lshlrev_b32_e32 v56, 3, v56
	v_cndmask_b32_e32 v47, 7, v47, vcc_lo
	v_and_b32_e32 v56, 0xf8, v56
	v_or_b32_e32 v57, v58, v47
	v_and_b32_e32 v47, 7, v47
	v_cmp_ne_u32_e32 vcc_lo, 0, v57
	v_or3_b32 v13, v13, v56, v47
	v_lshlrev_b32_e32 v13, 8, v13
	v_cndmask_b32_e32 v13, 0, v13, vcc_lo
.LBB6_9578:                             ;   in Loop: Header=BB6_9580 Depth=2
	s_or_b32 exec_lo, exec_lo, s29
.LBB6_9579:                             ;   in Loop: Header=BB6_9580 Depth=2
	s_or_b32 exec_lo, exec_lo, s28
	v_or_b32_sdwa v99, v100, v99 dst_sel:WORD_1 dst_unused:UNUSED_PAD src0_sel:DWORD src1_sel:DWORD
	v_or_b32_sdwa v32, v33, v32 dst_sel:WORD_1 dst_unused:UNUSED_PAD src0_sel:DWORD src1_sel:DWORD
	;; [unrolled: 1-line block ×3, first 2 shown]
	s_waitcnt vmcnt(0)
	v_sub_nc_u32_e32 v96, v96, v59
	v_or3_b32 v98, v98, v97, v99
	v_or3_b32 v97, v9, v8, v32
	v_or_b32_sdwa v8, v112, v103 dst_sel:WORD_1 dst_unused:UNUSED_PAD src0_sel:DWORD src1_sel:DWORD
	v_or3_b32 v68, v48, v68, v4
	v_or_b32_sdwa v4, v66, v87 dst_sel:WORD_1 dst_unused:UNUSED_PAD src0_sel:DWORD src1_sel:DWORD
	;; [unrolled: 2-line block ×4, first 2 shown]
	v_or3_b32 v100, v114, v113, v8
	s_clause 0x1
	buffer_load_dword v8, off, s[0:3], s33 offset:324
	buffer_load_dword v9, off, s[0:3], s33 offset:328
	v_or3_b32 v69, v36, v5, v4
	v_or_b32_sdwa v4, v7, v6 dst_sel:WORD_1 dst_unused:UNUSED_PAD src0_sel:DWORD src1_sel:DWORD
	v_or_b32_sdwa v7, v35, v34 dst_sel:WORD_1 dst_unused:UNUSED_PAD src0_sel:DWORD src1_sel:DWORD
	;; [unrolled: 1-line block ×3, first 2 shown]
	v_or3_b32 v70, v84, v70, v4
	v_or_b32_sdwa v4, v71, v85 dst_sel:WORD_1 dst_unused:UNUSED_PAD src0_sel:DWORD src1_sel:DWORD
	v_or3_b32 v7, v1, v0, v7
	v_or_b32_sdwa v0, v120, v111 dst_sel:WORD_1 dst_unused:UNUSED_PAD src0_sel:DWORD src1_sel:DWORD
	v_or3_b32 v6, v51, v50, v6
	v_or3_b32 v5, v29, v28, v4
	v_or_b32_sdwa v4, v31, v25 dst_sel:WORD_1 dst_unused:UNUSED_PAD src0_sel:DWORD src1_sel:DWORD
	v_or3_b32 v26, v110, v109, v0
	v_or_b32_sdwa v0, v108, v107 dst_sel:WORD_1 dst_unused:UNUSED_PAD src0_sel:DWORD src1_sel:DWORD
	v_or3_b32 v4, v65, v30, v4
	v_or3_b32 v25, v106, v105, v0
	v_or_b32_sdwa v0, v124, v123 dst_sel:WORD_1 dst_unused:UNUSED_PAD src0_sel:DWORD src1_sel:DWORD
	v_or3_b32 v27, v122, v121, v0
	v_or_b32_sdwa v0, v3, v2 dst_sel:WORD_1 dst_unused:UNUSED_PAD src0_sel:DWORD src1_sel:DWORD
	v_or_b32_sdwa v2, v92, v91 dst_sel:WORD_1 dst_unused:UNUSED_PAD src0_sel:DWORD src1_sel:DWORD
	;; [unrolled: 1-line block ×3, first 2 shown]
	v_or3_b32 v28, v126, v125, v0
	v_or_b32_sdwa v0, v88, v79 dst_sel:WORD_1 dst_unused:UNUSED_PAD src0_sel:DWORD src1_sel:DWORD
	v_or3_b32 v2, v90, v89, v2
	v_or3_b32 v3, v94, v93, v3
	;; [unrolled: 1-line block ×3, first 2 shown]
	v_or_b32_sdwa v0, v76, v75 dst_sel:WORD_1 dst_unused:UNUSED_PAD src0_sel:DWORD src1_sel:DWORD
	v_or3_b32 v0, v74, v73, v0
	s_waitcnt vmcnt(0)
	v_or_b32_sdwa v8, v9, v8 dst_sel:WORD_1 dst_unused:UNUSED_PAD src0_sel:DWORD src1_sel:DWORD
	s_clause 0x1
	buffer_load_dword v9, off, s[0:3], s33 offset:316
	buffer_load_dword v29, off, s[0:3], s33 offset:320
	s_waitcnt vmcnt(0)
	v_or3_b32 v30, v29, v9, v8
	s_clause 0x1
	buffer_load_dword v8, off, s[0:3], s33 offset:252
	buffer_load_dword v9, off, s[0:3], s33 offset:312
	s_waitcnt vmcnt(0)
	v_or_b32_sdwa v8, v9, v8 dst_sel:WORD_1 dst_unused:UNUSED_PAD src0_sel:DWORD src1_sel:DWORD
	s_clause 0x1
	buffer_load_dword v9, off, s[0:3], s33 offset:248
	buffer_load_dword v29, off, s[0:3], s33 offset:308
	s_waitcnt vmcnt(0)
	v_or3_b32 v29, v29, v9, v8
	s_clause 0x2
	buffer_load_dword v8, off, s[0:3], s33 offset:260
	buffer_load_dword v9, off, s[0:3], s33 offset:256
	;; [unrolled: 1-line block ×3, first 2 shown]
	s_waitcnt vmcnt(2)
	v_or_b32_sdwa v8, v60, v8 dst_sel:WORD_1 dst_unused:UNUSED_PAD src0_sel:DWORD src1_sel:DWORD
	s_waitcnt vmcnt(0)
	v_or3_b32 v31, v31, v9, v8
	v_or_b32_sdwa v8, v72, v63 dst_sel:WORD_1 dst_unused:UNUSED_PAD src0_sel:DWORD src1_sel:DWORD
	v_or3_b32 v32, v62, v61, v8
	s_clause 0x1
	buffer_load_dword v8, off, s[0:3], s33 offset:284
	buffer_load_dword v9, off, s[0:3], s33 offset:288
	s_waitcnt vmcnt(0)
	v_or_b32_sdwa v8, v9, v8 dst_sel:WORD_1 dst_unused:UNUSED_PAD src0_sel:DWORD src1_sel:DWORD
	s_clause 0x1
	buffer_load_dword v9, off, s[0:3], s33 offset:276
	buffer_load_dword v33, off, s[0:3], s33 offset:280
	s_waitcnt vmcnt(0)
	v_or3_b32 v34, v33, v9, v8
	s_clause 0x1
	buffer_load_dword v8, off, s[0:3], s33 offset:228
	buffer_load_dword v9, off, s[0:3], s33 offset:272
	s_waitcnt vmcnt(0)
	v_or_b32_sdwa v8, v9, v8 dst_sel:WORD_1 dst_unused:UNUSED_PAD src0_sel:DWORD src1_sel:DWORD
	s_clause 0x1
	buffer_load_dword v9, off, s[0:3], s33 offset:224
	buffer_load_dword v33, off, s[0:3], s33 offset:268
	s_waitcnt vmcnt(0)
	;; [unrolled: 10-line block ×4, first 2 shown]
	v_or3_b32 v36, v36, v9, v8
	buffer_load_dword v8, off, s[0:3], s33 offset:264 ; 4-byte Folded Reload
	s_waitcnt vmcnt(0)
	v_add_co_u32 v48, vcc_lo, v8, v23
	v_add_co_ci_u32_e64 v49, null, 0, v24, vcc_lo
	v_or_b32_sdwa v8, v11, v40 dst_sel:WORD_1 dst_unused:UNUSED_PAD src0_sel:DWORD src1_sel:DWORD
	v_or_b32_sdwa v11, v13, v46 dst_sel:WORD_1 dst_unused:UNUSED_PAD src0_sel:DWORD src1_sel:DWORD
	global_store_dwordx4 v[48:49], v[33:36], off glc slc
	global_store_dwordx4 v[48:49], v[29:32], off offset:512 glc slc
	global_store_dwordx4 v[48:49], v[0:3], off offset:1024 glc slc
	global_store_dwordx4 v[48:49], v[25:28], off offset:1536 glc slc
	v_add_co_u32 v0, vcc_lo, 0x800, v48
	v_or3_b32 v9, v119, v118, v8
	v_or_b32_sdwa v8, v10, v117 dst_sel:WORD_1 dst_unused:UNUSED_PAD src0_sel:DWORD src1_sel:DWORD
	v_or_b32_sdwa v10, v12, v43 dst_sel:WORD_1 dst_unused:UNUSED_PAD src0_sel:DWORD src1_sel:DWORD
	v_add_co_ci_u32_e64 v1, null, 0, v49, vcc_lo
	v_or3_b32 v11, v45, v44, v11
	v_or3_b32 v8, v55, v54, v8
	;; [unrolled: 1-line block ×3, first 2 shown]
	global_store_dwordx4 v[0:1], v[4:7], off glc slc
	global_store_dwordx4 v[0:1], v[67:70], off offset:512 glc slc
	global_store_dwordx4 v[0:1], v[97:100], off offset:1024 glc slc
	;; [unrolled: 1-line block ×3, first 2 shown]
	buffer_load_dword v0, off, s[0:3], s33 offset:364 ; 4-byte Folded Reload
	s_waitcnt vmcnt(0)
	v_add_co_u32 v52, vcc_lo, v52, v0
	v_add_co_ci_u32_e64 v53, null, 0, v53, vcc_lo
	v_add_co_u32 v23, vcc_lo, v23, v0
	v_add_co_ci_u32_e64 v24, null, 0, v24, vcc_lo
	v_cmp_gt_i32_e32 vcc_lo, 1, v96
	s_or_b32 s24, vcc_lo, s24
	s_andn2_b32 exec_lo, exec_lo, s24
	s_cbranch_execz .LBB6_11634
.LBB6_9580:                             ;   Parent Loop BB6_9503 Depth=1
                                        ; =>  This Inner Loop Header: Depth=2
	s_cmpk_lt_i32 s25, 0x80
	s_cbranch_scc1 .LBB6_9584
; %bb.9581:                             ;   in Loop: Header=BB6_9580 Depth=2
	s_cmpk_eq_i32 s27, 0x80
	s_mov_b32 s13, -1
	s_cbranch_scc0 .LBB6_9583
; %bb.9582:                             ;   in Loop: Header=BB6_9580 Depth=2
	s_mov_b32 s13, 0
.LBB6_9583:                             ;   in Loop: Header=BB6_9580 Depth=2
	s_mov_b32 s28, 0x7f800001
	s_branch .LBB6_9586
.LBB6_9584:                             ;   in Loop: Header=BB6_9580 Depth=2
	s_mov_b32 s13, 0
	s_mov_b32 s28, 0x7f800001
	s_cbranch_execz .LBB6_9586
; %bb.9585:                             ;   in Loop: Header=BB6_9580 Depth=2
	s_cmp_lg_u32 s27, 0
	s_mov_b32 s28, 0
	s_cselect_b32 s13, -1, 0
.LBB6_9586:                             ;   in Loop: Header=BB6_9580 Depth=2
	s_andn2_b32 vcc_lo, exec_lo, s13
	s_cbranch_vccnz .LBB6_9588
; %bb.9587:                             ;   in Loop: Header=BB6_9580 Depth=2
	s_mov_b32 s28, s26
.LBB6_9588:                             ;   in Loop: Header=BB6_9580 Depth=2
	buffer_load_dword v0, off, s[0:3], s33 offset:264 ; 4-byte Folded Reload
	s_mov_b32 s13, 0
	s_waitcnt vmcnt(0)
	v_add_co_u32 v54, vcc_lo, v0, v52
	v_add_co_ci_u32_e64 v55, null, 0, v53, vcc_lo
	global_load_dwordx4 v[10:13], v[54:55], off slc
	s_waitcnt vmcnt(0)
	v_cmp_gt_i16_sdwa s29, v10, v80 src0_sel:BYTE_0 src1_sel:DWORD
	s_and_saveexec_b32 s40, s29
	s_xor_b32 s29, exec_lo, s40
	s_cbranch_execz .LBB6_11378
; %bb.9589:                             ;   in Loop: Header=BB6_9580 Depth=2
	v_cmp_eq_u16_sdwa s41, v10, v81 src0_sel:BYTE_0 src1_sel:DWORD
	s_mov_b32 s13, -1
	s_and_saveexec_b32 s40, s41
; %bb.9590:                             ;   in Loop: Header=BB6_9580 Depth=2
	s_xor_b32 s13, exec_lo, -1
; %bb.9591:                             ;   in Loop: Header=BB6_9580 Depth=2
	s_or_b32 exec_lo, exec_lo, s40
	s_and_b32 s13, s13, exec_lo
	s_or_saveexec_b32 s29, s29
	v_mov_b32_e32 v0, 0x7f800001
	s_xor_b32 exec_lo, exec_lo, s29
	s_cbranch_execnz .LBB6_11379
.LBB6_9592:                             ;   in Loop: Header=BB6_9580 Depth=2
	s_or_b32 exec_lo, exec_lo, s29
	s_and_saveexec_b32 s29, s13
	s_cbranch_execz .LBB6_9594
.LBB6_9593:                             ;   in Loop: Header=BB6_9580 Depth=2
	v_and_b32_e32 v0, 7, v10
	v_bfe_u32 v3, v10, 3, 4
	v_lshlrev_b32_e32 v4, 24, v10
	v_ffbh_u32_e32 v1, v0
	v_cmp_eq_u32_e32 vcc_lo, 0, v3
	v_min_u32_e32 v1, 32, v1
	v_subrev_nc_u32_e32 v2, 28, v1
	v_sub_nc_u32_e32 v1, 29, v1
	v_lshlrev_b32_e32 v2, v2, v10
	v_cndmask_b32_e32 v1, v3, v1, vcc_lo
	v_and_b32_e32 v2, 7, v2
	v_lshl_add_u32 v1, v1, 23, 0x3b800000
	v_cndmask_b32_e32 v0, v0, v2, vcc_lo
	v_and_b32_e32 v2, 0x80000000, v4
	v_lshlrev_b32_e32 v0, 20, v0
	v_or3_b32 v0, v2, v1, v0
.LBB6_9594:                             ;   in Loop: Header=BB6_9580 Depth=2
	s_or_b32 exec_lo, exec_lo, s29
	v_mul_f32_e32 v0, s28, v0
	v_and_b32_e32 v1, 0x7f800000, v0
	v_cmp_ne_u32_e32 vcc_lo, 0x7f800000, v1
	v_mov_b32_e32 v1, 0x80
	buffer_store_dword v1, off, s[0:3], s33 offset:224 ; 4-byte Folded Spill
	s_and_saveexec_b32 s29, vcc_lo
	s_cbranch_execz .LBB6_9602
; %bb.9595:                             ;   in Loop: Header=BB6_9580 Depth=2
	v_mov_b32_e32 v1, 0
	s_mov_b32 s40, exec_lo
	buffer_store_dword v1, off, s[0:3], s33 offset:224 ; 4-byte Folded Spill
	v_cmpx_ne_u32_e32 0, v0
	s_cbranch_execz .LBB6_9601
; %bb.9596:                             ;   in Loop: Header=BB6_9580 Depth=2
	v_bfe_u32 v1, v0, 23, 8
	v_and_b32_e32 v2, 0x7fffff, v0
	v_sub_nc_u32_e32 v3, 0x78, v1
	v_cmp_gt_u32_e32 vcc_lo, 0x79, v1
	v_or_b32_e32 v4, 0x800000, v2
	v_cndmask_b32_e32 v3, 0, v3, vcc_lo
	v_cmp_eq_u32_e32 vcc_lo, 0, v1
	v_add_nc_u32_e32 v1, 0xffffff89, v1
	v_cndmask_b32_e64 v3, v3, 0x77, vcc_lo
	v_cndmask_b32_e32 v2, v4, v2, vcc_lo
	v_cndmask_b32_e64 v1, v1, 0xffffff8a, vcc_lo
	v_lshl_add_u32 v4, 0x100000, v3, -1
	v_lshrrev_b32_e32 v5, v3, v2
	v_lshlrev_b32_e64 v7, v3, 0x80000
	v_add_nc_u32_e32 v3, v3, v1
	v_and_b32_e32 v2, v4, v2
	v_bfe_u32 v6, v5, 20, 1
	v_cmp_eq_u32_e64 s13, v2, v7
	v_add_nc_u32_e32 v4, -1, v6
	v_cndmask_b32_e64 v2, 0, v4, s13
	v_lshrrev_b32_e32 v4, 23, v5
	s_mov_b32 s13, exec_lo
	v_add_nc_u32_e32 v2, v2, v5
	v_xor_b32_e32 v4, 1, v4
	v_and_b32_e32 v1, 0xfffff, v2
	v_add_nc_u32_e32 v2, v1, v5
                                        ; implicit-def: $vgpr1
	v_cmpx_ne_u32_e64 v3, v4
	s_xor_b32 s13, exec_lo, s13
; %bb.9597:                             ;   in Loop: Header=BB6_9580 Depth=2
	v_cmp_lt_u32_e32 vcc_lo, 0xffffff, v2
	v_sub_nc_u32_e32 v1, v3, v4
	v_cndmask_b32_e64 v3, 0, 1, vcc_lo
	v_add_co_ci_u32_e64 v1, null, 0, v1, vcc_lo
	v_lshrrev_b32_e32 v2, v3, v2
; %bb.9598:                             ;   in Loop: Header=BB6_9580 Depth=2
	s_andn2_saveexec_b32 s13, s13
; %bb.9599:                             ;   in Loop: Header=BB6_9580 Depth=2
	v_bfe_u32 v1, v2, 23, 1
; %bb.9600:                             ;   in Loop: Header=BB6_9580 Depth=2
	s_or_b32 exec_lo, exec_lo, s13
	v_lshrrev_b32_e32 v2, 20, v2
	v_min_i32_e32 v3, 15, v1
	v_cmp_gt_i32_e32 vcc_lo, 16, v1
	v_and_b32_sdwa v0, v0, v81 dst_sel:DWORD dst_unused:UNUSED_PAD src0_sel:BYTE_3 src1_sel:DWORD
	v_lshlrev_b32_e32 v3, 3, v3
	v_cndmask_b32_e32 v2, 7, v2, vcc_lo
	v_and_b32_e32 v3, 0xf8, v3
	v_and_b32_e32 v4, 7, v2
	v_or_b32_e32 v1, v1, v2
	v_or3_b32 v0, v3, v0, v4
	v_cmp_ne_u32_e32 vcc_lo, 0, v1
	v_cndmask_b32_e32 v0, 0, v0, vcc_lo
	buffer_store_dword v0, off, s[0:3], s33 offset:224 ; 4-byte Folded Spill
.LBB6_9601:                             ;   in Loop: Header=BB6_9580 Depth=2
	s_or_b32 exec_lo, exec_lo, s40
.LBB6_9602:                             ;   in Loop: Header=BB6_9580 Depth=2
	s_or_b32 exec_lo, exec_lo, s29
	v_cmp_gt_i16_sdwa s29, v10, v80 src0_sel:BYTE_1 src1_sel:DWORD
	s_mov_b32 s13, 0
	s_and_saveexec_b32 s40, s29
	s_xor_b32 s29, exec_lo, s40
	s_cbranch_execz .LBB6_11380
; %bb.9603:                             ;   in Loop: Header=BB6_9580 Depth=2
	v_cmp_eq_u16_sdwa s41, v10, v81 src0_sel:BYTE_1 src1_sel:DWORD
	s_mov_b32 s13, -1
	s_and_saveexec_b32 s40, s41
; %bb.9604:                             ;   in Loop: Header=BB6_9580 Depth=2
	s_xor_b32 s13, exec_lo, -1
; %bb.9605:                             ;   in Loop: Header=BB6_9580 Depth=2
	s_or_b32 exec_lo, exec_lo, s40
	s_and_b32 s13, s13, exec_lo
	s_or_saveexec_b32 s29, s29
	v_mov_b32_e32 v0, 0x7f800001
	s_xor_b32 exec_lo, exec_lo, s29
	s_cbranch_execnz .LBB6_11381
.LBB6_9606:                             ;   in Loop: Header=BB6_9580 Depth=2
	s_or_b32 exec_lo, exec_lo, s29
	s_and_saveexec_b32 s29, s13
	s_cbranch_execz .LBB6_9608
.LBB6_9607:                             ;   in Loop: Header=BB6_9580 Depth=2
	v_and_b32_sdwa v0, v82, v10 dst_sel:DWORD dst_unused:UNUSED_PAD src0_sel:DWORD src1_sel:BYTE_1
	v_and_b32_e32 v1, 7, v0
	v_bfe_u32 v4, v0, 3, 4
	v_ffbh_u32_e32 v2, v1
	v_cmp_eq_u32_e32 vcc_lo, 0, v4
	v_min_u32_e32 v2, 32, v2
	v_subrev_nc_u32_e32 v3, 28, v2
	v_sub_nc_u32_e32 v2, 29, v2
	v_lshlrev_b32_e32 v0, v3, v0
	v_lshlrev_b32_sdwa v3, v83, v10 dst_sel:DWORD dst_unused:UNUSED_PAD src0_sel:DWORD src1_sel:BYTE_1
	v_cndmask_b32_e32 v2, v4, v2, vcc_lo
	v_and_b32_e32 v0, 7, v0
	v_lshl_add_u32 v2, v2, 23, 0x3b800000
	v_cndmask_b32_e32 v0, v1, v0, vcc_lo
	v_and_b32_e32 v1, 0x80000000, v3
	v_lshlrev_b32_e32 v0, 20, v0
	v_or3_b32 v0, v1, v2, v0
.LBB6_9608:                             ;   in Loop: Header=BB6_9580 Depth=2
	s_or_b32 exec_lo, exec_lo, s29
	v_mul_f32_e32 v0, s28, v0
	v_and_b32_e32 v1, 0x7f800000, v0
	v_cmp_ne_u32_e32 vcc_lo, 0x7f800000, v1
	v_mov_b32_e32 v1, 0x8000
	s_and_saveexec_b32 s29, vcc_lo
	s_cbranch_execz .LBB6_9616
; %bb.9609:                             ;   in Loop: Header=BB6_9580 Depth=2
	v_mov_b32_e32 v1, 0
	s_mov_b32 s40, exec_lo
	v_cmpx_ne_u32_e32 0, v0
	s_cbranch_execz .LBB6_9615
; %bb.9610:                             ;   in Loop: Header=BB6_9580 Depth=2
	v_bfe_u32 v1, v0, 23, 8
	v_and_b32_e32 v2, 0x7fffff, v0
	v_sub_nc_u32_e32 v3, 0x78, v1
	v_cmp_gt_u32_e32 vcc_lo, 0x79, v1
	v_or_b32_e32 v4, 0x800000, v2
	v_cndmask_b32_e32 v3, 0, v3, vcc_lo
	v_cmp_eq_u32_e32 vcc_lo, 0, v1
	v_add_nc_u32_e32 v1, 0xffffff89, v1
	v_cndmask_b32_e64 v3, v3, 0x77, vcc_lo
	v_cndmask_b32_e32 v2, v4, v2, vcc_lo
	v_cndmask_b32_e64 v1, v1, 0xffffff8a, vcc_lo
	v_lshl_add_u32 v4, 0x100000, v3, -1
	v_lshrrev_b32_e32 v5, v3, v2
	v_lshlrev_b32_e64 v7, v3, 0x80000
	v_add_nc_u32_e32 v3, v3, v1
	v_and_b32_e32 v2, v4, v2
	v_bfe_u32 v6, v5, 20, 1
	v_cmp_eq_u32_e64 s13, v2, v7
	v_add_nc_u32_e32 v4, -1, v6
	v_cndmask_b32_e64 v2, 0, v4, s13
	v_lshrrev_b32_e32 v4, 23, v5
	s_mov_b32 s13, exec_lo
	v_add_nc_u32_e32 v2, v2, v5
	v_xor_b32_e32 v4, 1, v4
	v_and_b32_e32 v1, 0xfffff, v2
	v_add_nc_u32_e32 v2, v1, v5
                                        ; implicit-def: $vgpr1
	v_cmpx_ne_u32_e64 v3, v4
	s_xor_b32 s13, exec_lo, s13
; %bb.9611:                             ;   in Loop: Header=BB6_9580 Depth=2
	v_cmp_lt_u32_e32 vcc_lo, 0xffffff, v2
	v_sub_nc_u32_e32 v1, v3, v4
	v_cndmask_b32_e64 v3, 0, 1, vcc_lo
	v_add_co_ci_u32_e64 v1, null, 0, v1, vcc_lo
	v_lshrrev_b32_e32 v2, v3, v2
; %bb.9612:                             ;   in Loop: Header=BB6_9580 Depth=2
	s_andn2_saveexec_b32 s13, s13
; %bb.9613:                             ;   in Loop: Header=BB6_9580 Depth=2
	v_bfe_u32 v1, v2, 23, 1
; %bb.9614:                             ;   in Loop: Header=BB6_9580 Depth=2
	s_or_b32 exec_lo, exec_lo, s13
	v_lshrrev_b32_e32 v2, 20, v2
	v_min_i32_e32 v3, 15, v1
	v_cmp_gt_i32_e32 vcc_lo, 16, v1
	v_and_b32_sdwa v0, v0, v81 dst_sel:DWORD dst_unused:UNUSED_PAD src0_sel:BYTE_3 src1_sel:DWORD
	v_lshlrev_b32_e32 v3, 3, v3
	v_cndmask_b32_e32 v2, 7, v2, vcc_lo
	v_and_b32_e32 v3, 0xf8, v3
	v_and_b32_e32 v4, 7, v2
	v_or_b32_e32 v1, v1, v2
	v_or3_b32 v0, v0, v3, v4
	v_cmp_ne_u32_e32 vcc_lo, 0, v1
	v_lshlrev_b32_e32 v0, 8, v0
	v_cndmask_b32_e32 v1, 0, v0, vcc_lo
.LBB6_9615:                             ;   in Loop: Header=BB6_9580 Depth=2
	s_or_b32 exec_lo, exec_lo, s40
.LBB6_9616:                             ;   in Loop: Header=BB6_9580 Depth=2
	s_or_b32 exec_lo, exec_lo, s29
	buffer_store_dword v1, off, s[0:3], s33 offset:268 ; 4-byte Folded Spill
	v_and_b32_sdwa v1, v10, v86 dst_sel:DWORD dst_unused:UNUSED_PAD src0_sel:WORD_1 src1_sel:DWORD
	s_mov_b32 s13, 0
	s_mov_b32 s29, exec_lo
	v_cmpx_lt_i16_e32 0x7f, v1
	s_xor_b32 s29, exec_lo, s29
	s_cbranch_execz .LBB6_11382
; %bb.9617:                             ;   in Loop: Header=BB6_9580 Depth=2
	s_mov_b32 s13, -1
	s_mov_b32 s40, exec_lo
	v_cmpx_eq_u16_e32 0x80, v1
; %bb.9618:                             ;   in Loop: Header=BB6_9580 Depth=2
	s_xor_b32 s13, exec_lo, -1
; %bb.9619:                             ;   in Loop: Header=BB6_9580 Depth=2
	s_or_b32 exec_lo, exec_lo, s40
	s_and_b32 s13, s13, exec_lo
                                        ; implicit-def: $vgpr1
	s_or_saveexec_b32 s29, s29
	v_mov_b32_e32 v0, 0x7f800001
	s_xor_b32 exec_lo, exec_lo, s29
	s_cbranch_execnz .LBB6_11383
.LBB6_9620:                             ;   in Loop: Header=BB6_9580 Depth=2
	s_or_b32 exec_lo, exec_lo, s29
	s_and_saveexec_b32 s29, s13
	s_cbranch_execz .LBB6_9622
.LBB6_9621:                             ;   in Loop: Header=BB6_9580 Depth=2
	v_bfe_u32 v0, v10, 16, 3
	v_bfe_u32 v3, v10, 19, 4
	v_lshlrev_b32_e32 v4, 8, v10
	v_ffbh_u32_e32 v1, v0
	v_cmp_eq_u32_e32 vcc_lo, 0, v3
	v_min_u32_e32 v1, 32, v1
	v_subrev_nc_u32_e32 v2, 28, v1
	v_sub_nc_u32_e32 v1, 29, v1
	v_lshlrev_b32_sdwa v2, v2, v10 dst_sel:DWORD dst_unused:UNUSED_PAD src0_sel:DWORD src1_sel:WORD_1
	v_cndmask_b32_e32 v1, v3, v1, vcc_lo
	v_and_b32_e32 v2, 7, v2
	v_lshl_add_u32 v1, v1, 23, 0x3b800000
	v_cndmask_b32_e32 v0, v0, v2, vcc_lo
	v_and_b32_e32 v2, 0x80000000, v4
	v_lshlrev_b32_e32 v0, 20, v0
	v_or3_b32 v0, v2, v1, v0
.LBB6_9622:                             ;   in Loop: Header=BB6_9580 Depth=2
	s_or_b32 exec_lo, exec_lo, s29
	v_mul_f32_e32 v0, s28, v0
	v_and_b32_e32 v1, 0x7f800000, v0
	v_cmp_ne_u32_e32 vcc_lo, 0x7f800000, v1
	v_mov_b32_e32 v1, 0x80
	buffer_store_dword v1, off, s[0:3], s33 offset:228 ; 4-byte Folded Spill
	s_and_saveexec_b32 s29, vcc_lo
	s_cbranch_execz .LBB6_9630
; %bb.9623:                             ;   in Loop: Header=BB6_9580 Depth=2
	v_mov_b32_e32 v1, 0
	s_mov_b32 s40, exec_lo
	buffer_store_dword v1, off, s[0:3], s33 offset:228 ; 4-byte Folded Spill
	v_cmpx_ne_u32_e32 0, v0
	s_cbranch_execz .LBB6_9629
; %bb.9624:                             ;   in Loop: Header=BB6_9580 Depth=2
	v_bfe_u32 v1, v0, 23, 8
	v_and_b32_e32 v2, 0x7fffff, v0
	v_sub_nc_u32_e32 v3, 0x78, v1
	v_cmp_gt_u32_e32 vcc_lo, 0x79, v1
	v_or_b32_e32 v4, 0x800000, v2
	v_cndmask_b32_e32 v3, 0, v3, vcc_lo
	v_cmp_eq_u32_e32 vcc_lo, 0, v1
	v_add_nc_u32_e32 v1, 0xffffff89, v1
	v_cndmask_b32_e64 v3, v3, 0x77, vcc_lo
	v_cndmask_b32_e32 v2, v4, v2, vcc_lo
	v_cndmask_b32_e64 v1, v1, 0xffffff8a, vcc_lo
	v_lshl_add_u32 v4, 0x100000, v3, -1
	v_lshrrev_b32_e32 v5, v3, v2
	v_lshlrev_b32_e64 v7, v3, 0x80000
	v_add_nc_u32_e32 v3, v3, v1
	v_and_b32_e32 v2, v4, v2
	v_bfe_u32 v6, v5, 20, 1
	v_cmp_eq_u32_e64 s13, v2, v7
	v_add_nc_u32_e32 v4, -1, v6
	v_cndmask_b32_e64 v2, 0, v4, s13
	v_lshrrev_b32_e32 v4, 23, v5
	s_mov_b32 s13, exec_lo
	v_add_nc_u32_e32 v2, v2, v5
	v_xor_b32_e32 v4, 1, v4
	v_and_b32_e32 v1, 0xfffff, v2
	v_add_nc_u32_e32 v2, v1, v5
                                        ; implicit-def: $vgpr1
	v_cmpx_ne_u32_e64 v3, v4
	s_xor_b32 s13, exec_lo, s13
; %bb.9625:                             ;   in Loop: Header=BB6_9580 Depth=2
	v_cmp_lt_u32_e32 vcc_lo, 0xffffff, v2
	v_sub_nc_u32_e32 v1, v3, v4
	v_cndmask_b32_e64 v3, 0, 1, vcc_lo
	v_add_co_ci_u32_e64 v1, null, 0, v1, vcc_lo
	v_lshrrev_b32_e32 v2, v3, v2
; %bb.9626:                             ;   in Loop: Header=BB6_9580 Depth=2
	s_andn2_saveexec_b32 s13, s13
; %bb.9627:                             ;   in Loop: Header=BB6_9580 Depth=2
	v_bfe_u32 v1, v2, 23, 1
; %bb.9628:                             ;   in Loop: Header=BB6_9580 Depth=2
	s_or_b32 exec_lo, exec_lo, s13
	v_lshrrev_b32_e32 v2, 20, v2
	v_min_i32_e32 v3, 15, v1
	v_cmp_gt_i32_e32 vcc_lo, 16, v1
	v_and_b32_sdwa v0, v0, v81 dst_sel:DWORD dst_unused:UNUSED_PAD src0_sel:BYTE_3 src1_sel:DWORD
	v_lshlrev_b32_e32 v3, 3, v3
	v_cndmask_b32_e32 v2, 7, v2, vcc_lo
	v_and_b32_e32 v3, 0xf8, v3
	v_and_b32_e32 v4, 7, v2
	v_or_b32_e32 v1, v1, v2
	v_or3_b32 v0, v3, v0, v4
	v_cmp_ne_u32_e32 vcc_lo, 0, v1
	v_cndmask_b32_e32 v0, 0, v0, vcc_lo
	buffer_store_dword v0, off, s[0:3], s33 offset:228 ; 4-byte Folded Spill
.LBB6_9629:                             ;   in Loop: Header=BB6_9580 Depth=2
	s_or_b32 exec_lo, exec_lo, s40
.LBB6_9630:                             ;   in Loop: Header=BB6_9580 Depth=2
	s_or_b32 exec_lo, exec_lo, s29
	v_cmp_gt_i16_sdwa s29, v10, v80 src0_sel:BYTE_3 src1_sel:DWORD
	s_mov_b32 s13, 0
	s_and_saveexec_b32 s40, s29
	s_xor_b32 s29, exec_lo, s40
	s_cbranch_execz .LBB6_11384
; %bb.9631:                             ;   in Loop: Header=BB6_9580 Depth=2
	v_cmp_eq_u16_sdwa s41, v10, v81 src0_sel:BYTE_3 src1_sel:DWORD
	s_mov_b32 s13, -1
	s_and_saveexec_b32 s40, s41
; %bb.9632:                             ;   in Loop: Header=BB6_9580 Depth=2
	s_xor_b32 s13, exec_lo, -1
; %bb.9633:                             ;   in Loop: Header=BB6_9580 Depth=2
	s_or_b32 exec_lo, exec_lo, s40
	s_and_b32 s13, s13, exec_lo
	s_or_saveexec_b32 s29, s29
	v_mov_b32_e32 v0, 0x7f800001
	s_xor_b32 exec_lo, exec_lo, s29
	s_cbranch_execnz .LBB6_11385
.LBB6_9634:                             ;   in Loop: Header=BB6_9580 Depth=2
	s_or_b32 exec_lo, exec_lo, s29
	s_and_saveexec_b32 s29, s13
	s_cbranch_execz .LBB6_9636
.LBB6_9635:                             ;   in Loop: Header=BB6_9580 Depth=2
	v_bfe_u32 v0, v10, 24, 3
	v_bfe_u32 v3, v10, 27, 4
	v_ffbh_u32_e32 v1, v0
	v_cmp_eq_u32_e32 vcc_lo, 0, v3
	v_min_u32_e32 v1, 32, v1
	v_subrev_nc_u32_e32 v2, 28, v1
	v_sub_nc_u32_e32 v1, 29, v1
	v_lshlrev_b32_sdwa v2, v2, v10 dst_sel:DWORD dst_unused:UNUSED_PAD src0_sel:DWORD src1_sel:BYTE_3
	v_cndmask_b32_e32 v1, v3, v1, vcc_lo
	v_and_b32_e32 v2, 7, v2
	v_lshl_add_u32 v1, v1, 23, 0x3b800000
	v_cndmask_b32_e32 v0, v0, v2, vcc_lo
	v_and_b32_e32 v2, 0x80000000, v10
	v_lshlrev_b32_e32 v0, 20, v0
	v_or3_b32 v0, v2, v1, v0
.LBB6_9636:                             ;   in Loop: Header=BB6_9580 Depth=2
	s_or_b32 exec_lo, exec_lo, s29
	v_mul_f32_e32 v0, s28, v0
	v_mov_b32_e32 v8, 0x8000
	s_mov_b32 s29, exec_lo
	v_and_b32_e32 v1, 0x7f800000, v0
	v_cmpx_ne_u32_e32 0x7f800000, v1
	s_cbranch_execz .LBB6_9644
; %bb.9637:                             ;   in Loop: Header=BB6_9580 Depth=2
	v_mov_b32_e32 v8, 0
	s_mov_b32 s40, exec_lo
	v_cmpx_ne_u32_e32 0, v0
	s_cbranch_execz .LBB6_9643
; %bb.9638:                             ;   in Loop: Header=BB6_9580 Depth=2
	v_bfe_u32 v1, v0, 23, 8
	v_and_b32_e32 v2, 0x7fffff, v0
	v_sub_nc_u32_e32 v3, 0x78, v1
	v_cmp_gt_u32_e32 vcc_lo, 0x79, v1
	v_or_b32_e32 v4, 0x800000, v2
	v_cndmask_b32_e32 v3, 0, v3, vcc_lo
	v_cmp_eq_u32_e32 vcc_lo, 0, v1
	v_add_nc_u32_e32 v1, 0xffffff89, v1
	v_cndmask_b32_e64 v3, v3, 0x77, vcc_lo
	v_cndmask_b32_e32 v2, v4, v2, vcc_lo
	v_cndmask_b32_e64 v1, v1, 0xffffff8a, vcc_lo
	v_lshl_add_u32 v4, 0x100000, v3, -1
	v_lshrrev_b32_e32 v5, v3, v2
	v_lshlrev_b32_e64 v7, v3, 0x80000
	v_add_nc_u32_e32 v3, v3, v1
	v_and_b32_e32 v2, v4, v2
	v_bfe_u32 v6, v5, 20, 1
	v_cmp_eq_u32_e64 s13, v2, v7
	v_add_nc_u32_e32 v4, -1, v6
	v_cndmask_b32_e64 v2, 0, v4, s13
	v_lshrrev_b32_e32 v4, 23, v5
	s_mov_b32 s13, exec_lo
	v_add_nc_u32_e32 v2, v2, v5
	v_xor_b32_e32 v4, 1, v4
	v_and_b32_e32 v1, 0xfffff, v2
	v_add_nc_u32_e32 v2, v1, v5
                                        ; implicit-def: $vgpr1
	v_cmpx_ne_u32_e64 v3, v4
	s_xor_b32 s13, exec_lo, s13
; %bb.9639:                             ;   in Loop: Header=BB6_9580 Depth=2
	v_cmp_lt_u32_e32 vcc_lo, 0xffffff, v2
	v_sub_nc_u32_e32 v1, v3, v4
	v_cndmask_b32_e64 v3, 0, 1, vcc_lo
	v_add_co_ci_u32_e64 v1, null, 0, v1, vcc_lo
	v_lshrrev_b32_e32 v2, v3, v2
; %bb.9640:                             ;   in Loop: Header=BB6_9580 Depth=2
	s_andn2_saveexec_b32 s13, s13
; %bb.9641:                             ;   in Loop: Header=BB6_9580 Depth=2
	v_bfe_u32 v1, v2, 23, 1
; %bb.9642:                             ;   in Loop: Header=BB6_9580 Depth=2
	s_or_b32 exec_lo, exec_lo, s13
	v_lshrrev_b32_e32 v2, 20, v2
	v_min_i32_e32 v3, 15, v1
	v_cmp_gt_i32_e32 vcc_lo, 16, v1
	v_and_b32_sdwa v0, v0, v81 dst_sel:DWORD dst_unused:UNUSED_PAD src0_sel:BYTE_3 src1_sel:DWORD
	v_lshlrev_b32_e32 v3, 3, v3
	v_cndmask_b32_e32 v2, 7, v2, vcc_lo
	v_and_b32_e32 v3, 0xf8, v3
	v_and_b32_e32 v4, 7, v2
	v_or_b32_e32 v1, v1, v2
	v_or3_b32 v0, v0, v3, v4
	v_cmp_ne_u32_e32 vcc_lo, 0, v1
	v_lshlrev_b32_e32 v0, 8, v0
	v_cndmask_b32_e32 v8, 0, v0, vcc_lo
.LBB6_9643:                             ;   in Loop: Header=BB6_9580 Depth=2
	s_or_b32 exec_lo, exec_lo, s40
.LBB6_9644:                             ;   in Loop: Header=BB6_9580 Depth=2
	s_or_b32 exec_lo, exec_lo, s29
	v_cmp_gt_i16_sdwa s29, v11, v80 src0_sel:BYTE_0 src1_sel:DWORD
	s_mov_b32 s13, 0
	s_and_saveexec_b32 s40, s29
	s_xor_b32 s29, exec_lo, s40
	s_cbranch_execz .LBB6_11386
; %bb.9645:                             ;   in Loop: Header=BB6_9580 Depth=2
	v_cmp_eq_u16_sdwa s41, v11, v81 src0_sel:BYTE_0 src1_sel:DWORD
	s_mov_b32 s13, -1
	s_and_saveexec_b32 s40, s41
; %bb.9646:                             ;   in Loop: Header=BB6_9580 Depth=2
	s_xor_b32 s13, exec_lo, -1
; %bb.9647:                             ;   in Loop: Header=BB6_9580 Depth=2
	s_or_b32 exec_lo, exec_lo, s40
	s_and_b32 s13, s13, exec_lo
	s_or_saveexec_b32 s29, s29
	v_mov_b32_e32 v0, 0x7f800001
	s_xor_b32 exec_lo, exec_lo, s29
	s_cbranch_execnz .LBB6_11387
.LBB6_9648:                             ;   in Loop: Header=BB6_9580 Depth=2
	s_or_b32 exec_lo, exec_lo, s29
	s_and_saveexec_b32 s29, s13
	s_cbranch_execz .LBB6_9650
.LBB6_9649:                             ;   in Loop: Header=BB6_9580 Depth=2
	v_and_b32_e32 v0, 7, v11
	v_bfe_u32 v3, v11, 3, 4
	v_lshlrev_b32_e32 v4, 24, v11
	v_ffbh_u32_e32 v1, v0
	v_cmp_eq_u32_e32 vcc_lo, 0, v3
	v_min_u32_e32 v1, 32, v1
	v_subrev_nc_u32_e32 v2, 28, v1
	v_sub_nc_u32_e32 v1, 29, v1
	v_lshlrev_b32_e32 v2, v2, v11
	v_cndmask_b32_e32 v1, v3, v1, vcc_lo
	v_and_b32_e32 v2, 7, v2
	v_lshl_add_u32 v1, v1, 23, 0x3b800000
	v_cndmask_b32_e32 v0, v0, v2, vcc_lo
	v_and_b32_e32 v2, 0x80000000, v4
	v_lshlrev_b32_e32 v0, 20, v0
	v_or3_b32 v0, v2, v1, v0
.LBB6_9650:                             ;   in Loop: Header=BB6_9580 Depth=2
	s_or_b32 exec_lo, exec_lo, s29
	v_mul_f32_e32 v0, s28, v0
	v_mov_b32_e32 v9, 0x80
	s_mov_b32 s29, exec_lo
	v_and_b32_e32 v1, 0x7f800000, v0
	v_cmpx_ne_u32_e32 0x7f800000, v1
	s_cbranch_execz .LBB6_9658
; %bb.9651:                             ;   in Loop: Header=BB6_9580 Depth=2
	v_mov_b32_e32 v9, 0
	s_mov_b32 s40, exec_lo
	v_cmpx_ne_u32_e32 0, v0
	s_cbranch_execz .LBB6_9657
; %bb.9652:                             ;   in Loop: Header=BB6_9580 Depth=2
	v_bfe_u32 v1, v0, 23, 8
	v_and_b32_e32 v2, 0x7fffff, v0
	v_sub_nc_u32_e32 v3, 0x78, v1
	v_cmp_gt_u32_e32 vcc_lo, 0x79, v1
	v_or_b32_e32 v4, 0x800000, v2
	v_cndmask_b32_e32 v3, 0, v3, vcc_lo
	v_cmp_eq_u32_e32 vcc_lo, 0, v1
	v_add_nc_u32_e32 v1, 0xffffff89, v1
	v_cndmask_b32_e64 v3, v3, 0x77, vcc_lo
	v_cndmask_b32_e32 v2, v4, v2, vcc_lo
	v_cndmask_b32_e64 v1, v1, 0xffffff8a, vcc_lo
	v_lshl_add_u32 v4, 0x100000, v3, -1
	v_lshrrev_b32_e32 v5, v3, v2
	v_lshlrev_b32_e64 v7, v3, 0x80000
	v_add_nc_u32_e32 v3, v3, v1
	v_and_b32_e32 v2, v4, v2
	v_bfe_u32 v6, v5, 20, 1
	v_cmp_eq_u32_e64 s13, v2, v7
	v_add_nc_u32_e32 v4, -1, v6
	v_cndmask_b32_e64 v2, 0, v4, s13
	v_lshrrev_b32_e32 v4, 23, v5
	s_mov_b32 s13, exec_lo
	v_add_nc_u32_e32 v2, v2, v5
	v_xor_b32_e32 v4, 1, v4
	v_and_b32_e32 v1, 0xfffff, v2
	v_add_nc_u32_e32 v2, v1, v5
                                        ; implicit-def: $vgpr1
	v_cmpx_ne_u32_e64 v3, v4
	s_xor_b32 s13, exec_lo, s13
; %bb.9653:                             ;   in Loop: Header=BB6_9580 Depth=2
	v_cmp_lt_u32_e32 vcc_lo, 0xffffff, v2
	v_sub_nc_u32_e32 v1, v3, v4
	v_cndmask_b32_e64 v3, 0, 1, vcc_lo
	v_add_co_ci_u32_e64 v1, null, 0, v1, vcc_lo
	v_lshrrev_b32_e32 v2, v3, v2
; %bb.9654:                             ;   in Loop: Header=BB6_9580 Depth=2
	s_andn2_saveexec_b32 s13, s13
; %bb.9655:                             ;   in Loop: Header=BB6_9580 Depth=2
	v_bfe_u32 v1, v2, 23, 1
; %bb.9656:                             ;   in Loop: Header=BB6_9580 Depth=2
	s_or_b32 exec_lo, exec_lo, s13
	v_lshrrev_b32_e32 v2, 20, v2
	v_min_i32_e32 v3, 15, v1
	v_cmp_gt_i32_e32 vcc_lo, 16, v1
	v_and_b32_sdwa v0, v0, v81 dst_sel:DWORD dst_unused:UNUSED_PAD src0_sel:BYTE_3 src1_sel:DWORD
	v_lshlrev_b32_e32 v3, 3, v3
	v_cndmask_b32_e32 v2, 7, v2, vcc_lo
	v_and_b32_e32 v3, 0xf8, v3
	v_and_b32_e32 v4, 7, v2
	v_or_b32_e32 v1, v1, v2
	v_or3_b32 v0, v3, v0, v4
	v_cmp_ne_u32_e32 vcc_lo, 0, v1
	v_cndmask_b32_e32 v9, 0, v0, vcc_lo
.LBB6_9657:                             ;   in Loop: Header=BB6_9580 Depth=2
	s_or_b32 exec_lo, exec_lo, s40
.LBB6_9658:                             ;   in Loop: Header=BB6_9580 Depth=2
	s_or_b32 exec_lo, exec_lo, s29
	v_cmp_gt_i16_sdwa s29, v11, v80 src0_sel:BYTE_1 src1_sel:DWORD
	s_mov_b32 s13, 0
	s_and_saveexec_b32 s40, s29
	s_xor_b32 s29, exec_lo, s40
	s_cbranch_execz .LBB6_11388
; %bb.9659:                             ;   in Loop: Header=BB6_9580 Depth=2
	v_cmp_eq_u16_sdwa s41, v11, v81 src0_sel:BYTE_1 src1_sel:DWORD
	s_mov_b32 s13, -1
	s_and_saveexec_b32 s40, s41
; %bb.9660:                             ;   in Loop: Header=BB6_9580 Depth=2
	s_xor_b32 s13, exec_lo, -1
; %bb.9661:                             ;   in Loop: Header=BB6_9580 Depth=2
	s_or_b32 exec_lo, exec_lo, s40
	s_and_b32 s13, s13, exec_lo
	s_or_saveexec_b32 s29, s29
	v_mov_b32_e32 v0, 0x7f800001
	s_xor_b32 exec_lo, exec_lo, s29
	s_cbranch_execnz .LBB6_11389
.LBB6_9662:                             ;   in Loop: Header=BB6_9580 Depth=2
	s_or_b32 exec_lo, exec_lo, s29
	s_and_saveexec_b32 s29, s13
	s_cbranch_execz .LBB6_9664
.LBB6_9663:                             ;   in Loop: Header=BB6_9580 Depth=2
	v_and_b32_sdwa v0, v82, v11 dst_sel:DWORD dst_unused:UNUSED_PAD src0_sel:DWORD src1_sel:BYTE_1
	v_and_b32_e32 v1, 7, v0
	v_bfe_u32 v4, v0, 3, 4
	v_ffbh_u32_e32 v2, v1
	v_cmp_eq_u32_e32 vcc_lo, 0, v4
	v_min_u32_e32 v2, 32, v2
	v_subrev_nc_u32_e32 v3, 28, v2
	v_sub_nc_u32_e32 v2, 29, v2
	v_lshlrev_b32_e32 v0, v3, v0
	v_lshlrev_b32_sdwa v3, v83, v11 dst_sel:DWORD dst_unused:UNUSED_PAD src0_sel:DWORD src1_sel:BYTE_1
	v_cndmask_b32_e32 v2, v4, v2, vcc_lo
	v_and_b32_e32 v0, 7, v0
	v_lshl_add_u32 v2, v2, 23, 0x3b800000
	v_cndmask_b32_e32 v0, v1, v0, vcc_lo
	v_and_b32_e32 v1, 0x80000000, v3
	v_lshlrev_b32_e32 v0, 20, v0
	v_or3_b32 v0, v1, v2, v0
.LBB6_9664:                             ;   in Loop: Header=BB6_9580 Depth=2
	s_or_b32 exec_lo, exec_lo, s29
	v_mul_f32_e32 v0, s28, v0
	v_and_b32_e32 v1, 0x7f800000, v0
	v_cmp_ne_u32_e32 vcc_lo, 0x7f800000, v1
	v_mov_b32_e32 v1, 0x8000
	s_and_saveexec_b32 s29, vcc_lo
	s_cbranch_execz .LBB6_9672
; %bb.9665:                             ;   in Loop: Header=BB6_9580 Depth=2
	v_mov_b32_e32 v1, 0
	s_mov_b32 s40, exec_lo
	v_cmpx_ne_u32_e32 0, v0
	s_cbranch_execz .LBB6_9671
; %bb.9666:                             ;   in Loop: Header=BB6_9580 Depth=2
	v_bfe_u32 v1, v0, 23, 8
	v_and_b32_e32 v2, 0x7fffff, v0
	v_sub_nc_u32_e32 v3, 0x78, v1
	v_cmp_gt_u32_e32 vcc_lo, 0x79, v1
	v_or_b32_e32 v4, 0x800000, v2
	v_cndmask_b32_e32 v3, 0, v3, vcc_lo
	v_cmp_eq_u32_e32 vcc_lo, 0, v1
	v_add_nc_u32_e32 v1, 0xffffff89, v1
	v_cndmask_b32_e64 v3, v3, 0x77, vcc_lo
	v_cndmask_b32_e32 v2, v4, v2, vcc_lo
	v_cndmask_b32_e64 v1, v1, 0xffffff8a, vcc_lo
	v_lshl_add_u32 v4, 0x100000, v3, -1
	v_lshrrev_b32_e32 v5, v3, v2
	v_lshlrev_b32_e64 v7, v3, 0x80000
	v_add_nc_u32_e32 v3, v3, v1
	v_and_b32_e32 v2, v4, v2
	v_bfe_u32 v6, v5, 20, 1
	v_cmp_eq_u32_e64 s13, v2, v7
	v_add_nc_u32_e32 v4, -1, v6
	v_cndmask_b32_e64 v2, 0, v4, s13
	v_lshrrev_b32_e32 v4, 23, v5
	s_mov_b32 s13, exec_lo
	v_add_nc_u32_e32 v2, v2, v5
	v_xor_b32_e32 v4, 1, v4
	v_and_b32_e32 v1, 0xfffff, v2
	v_add_nc_u32_e32 v2, v1, v5
                                        ; implicit-def: $vgpr1
	v_cmpx_ne_u32_e64 v3, v4
	s_xor_b32 s13, exec_lo, s13
; %bb.9667:                             ;   in Loop: Header=BB6_9580 Depth=2
	v_cmp_lt_u32_e32 vcc_lo, 0xffffff, v2
	v_sub_nc_u32_e32 v1, v3, v4
	v_cndmask_b32_e64 v3, 0, 1, vcc_lo
	v_add_co_ci_u32_e64 v1, null, 0, v1, vcc_lo
	v_lshrrev_b32_e32 v2, v3, v2
; %bb.9668:                             ;   in Loop: Header=BB6_9580 Depth=2
	s_andn2_saveexec_b32 s13, s13
; %bb.9669:                             ;   in Loop: Header=BB6_9580 Depth=2
	v_bfe_u32 v1, v2, 23, 1
; %bb.9670:                             ;   in Loop: Header=BB6_9580 Depth=2
	s_or_b32 exec_lo, exec_lo, s13
	v_lshrrev_b32_e32 v2, 20, v2
	v_min_i32_e32 v3, 15, v1
	v_cmp_gt_i32_e32 vcc_lo, 16, v1
	v_and_b32_sdwa v0, v0, v81 dst_sel:DWORD dst_unused:UNUSED_PAD src0_sel:BYTE_3 src1_sel:DWORD
	v_lshlrev_b32_e32 v3, 3, v3
	v_cndmask_b32_e32 v2, 7, v2, vcc_lo
	v_and_b32_e32 v3, 0xf8, v3
	v_and_b32_e32 v4, 7, v2
	v_or_b32_e32 v1, v1, v2
	v_or3_b32 v0, v0, v3, v4
	v_cmp_ne_u32_e32 vcc_lo, 0, v1
	v_lshlrev_b32_e32 v0, 8, v0
	v_cndmask_b32_e32 v1, 0, v0, vcc_lo
.LBB6_9671:                             ;   in Loop: Header=BB6_9580 Depth=2
	s_or_b32 exec_lo, exec_lo, s40
.LBB6_9672:                             ;   in Loop: Header=BB6_9580 Depth=2
	s_or_b32 exec_lo, exec_lo, s29
	buffer_store_dword v1, off, s[0:3], s33 offset:280 ; 4-byte Folded Spill
	v_and_b32_sdwa v1, v11, v86 dst_sel:DWORD dst_unused:UNUSED_PAD src0_sel:WORD_1 src1_sel:DWORD
	s_mov_b32 s13, 0
	s_mov_b32 s29, exec_lo
	v_cmpx_lt_i16_e32 0x7f, v1
	s_xor_b32 s29, exec_lo, s29
	s_cbranch_execz .LBB6_11390
; %bb.9673:                             ;   in Loop: Header=BB6_9580 Depth=2
	s_mov_b32 s13, -1
	s_mov_b32 s40, exec_lo
	v_cmpx_eq_u16_e32 0x80, v1
; %bb.9674:                             ;   in Loop: Header=BB6_9580 Depth=2
	s_xor_b32 s13, exec_lo, -1
; %bb.9675:                             ;   in Loop: Header=BB6_9580 Depth=2
	s_or_b32 exec_lo, exec_lo, s40
	s_and_b32 s13, s13, exec_lo
                                        ; implicit-def: $vgpr1
	s_or_saveexec_b32 s29, s29
	v_mov_b32_e32 v0, 0x7f800001
	s_xor_b32 exec_lo, exec_lo, s29
	s_cbranch_execnz .LBB6_11391
.LBB6_9676:                             ;   in Loop: Header=BB6_9580 Depth=2
	s_or_b32 exec_lo, exec_lo, s29
	s_and_saveexec_b32 s29, s13
	s_cbranch_execz .LBB6_9678
.LBB6_9677:                             ;   in Loop: Header=BB6_9580 Depth=2
	v_bfe_u32 v0, v11, 16, 3
	v_bfe_u32 v3, v11, 19, 4
	v_lshlrev_b32_e32 v4, 8, v11
	v_ffbh_u32_e32 v1, v0
	v_cmp_eq_u32_e32 vcc_lo, 0, v3
	v_min_u32_e32 v1, 32, v1
	v_subrev_nc_u32_e32 v2, 28, v1
	v_sub_nc_u32_e32 v1, 29, v1
	v_lshlrev_b32_sdwa v2, v2, v11 dst_sel:DWORD dst_unused:UNUSED_PAD src0_sel:DWORD src1_sel:WORD_1
	v_cndmask_b32_e32 v1, v3, v1, vcc_lo
	v_and_b32_e32 v2, 7, v2
	v_lshl_add_u32 v1, v1, 23, 0x3b800000
	v_cndmask_b32_e32 v0, v0, v2, vcc_lo
	v_and_b32_e32 v2, 0x80000000, v4
	v_lshlrev_b32_e32 v0, 20, v0
	v_or3_b32 v0, v2, v1, v0
.LBB6_9678:                             ;   in Loop: Header=BB6_9580 Depth=2
	s_or_b32 exec_lo, exec_lo, s29
	v_mul_f32_e32 v0, s28, v0
	v_mov_b32_e32 v10, 0x80
	s_mov_b32 s29, exec_lo
	v_and_b32_e32 v1, 0x7f800000, v0
	v_cmpx_ne_u32_e32 0x7f800000, v1
	s_cbranch_execz .LBB6_9686
; %bb.9679:                             ;   in Loop: Header=BB6_9580 Depth=2
	v_mov_b32_e32 v10, 0
	s_mov_b32 s40, exec_lo
	v_cmpx_ne_u32_e32 0, v0
	s_cbranch_execz .LBB6_9685
; %bb.9680:                             ;   in Loop: Header=BB6_9580 Depth=2
	v_bfe_u32 v1, v0, 23, 8
	v_and_b32_e32 v2, 0x7fffff, v0
	v_sub_nc_u32_e32 v3, 0x78, v1
	v_cmp_gt_u32_e32 vcc_lo, 0x79, v1
	v_or_b32_e32 v4, 0x800000, v2
	v_cndmask_b32_e32 v3, 0, v3, vcc_lo
	v_cmp_eq_u32_e32 vcc_lo, 0, v1
	v_add_nc_u32_e32 v1, 0xffffff89, v1
	v_cndmask_b32_e64 v3, v3, 0x77, vcc_lo
	v_cndmask_b32_e32 v2, v4, v2, vcc_lo
	v_cndmask_b32_e64 v1, v1, 0xffffff8a, vcc_lo
	v_lshl_add_u32 v4, 0x100000, v3, -1
	v_lshrrev_b32_e32 v5, v3, v2
	v_lshlrev_b32_e64 v7, v3, 0x80000
	v_add_nc_u32_e32 v3, v3, v1
	v_and_b32_e32 v2, v4, v2
	v_bfe_u32 v6, v5, 20, 1
	v_cmp_eq_u32_e64 s13, v2, v7
	v_add_nc_u32_e32 v4, -1, v6
	v_cndmask_b32_e64 v2, 0, v4, s13
	v_lshrrev_b32_e32 v4, 23, v5
	s_mov_b32 s13, exec_lo
	v_add_nc_u32_e32 v2, v2, v5
	v_xor_b32_e32 v4, 1, v4
	v_and_b32_e32 v1, 0xfffff, v2
	v_add_nc_u32_e32 v2, v1, v5
                                        ; implicit-def: $vgpr1
	v_cmpx_ne_u32_e64 v3, v4
	s_xor_b32 s13, exec_lo, s13
; %bb.9681:                             ;   in Loop: Header=BB6_9580 Depth=2
	v_cmp_lt_u32_e32 vcc_lo, 0xffffff, v2
	v_sub_nc_u32_e32 v1, v3, v4
	v_cndmask_b32_e64 v3, 0, 1, vcc_lo
	v_add_co_ci_u32_e64 v1, null, 0, v1, vcc_lo
	v_lshrrev_b32_e32 v2, v3, v2
; %bb.9682:                             ;   in Loop: Header=BB6_9580 Depth=2
	s_andn2_saveexec_b32 s13, s13
; %bb.9683:                             ;   in Loop: Header=BB6_9580 Depth=2
	v_bfe_u32 v1, v2, 23, 1
; %bb.9684:                             ;   in Loop: Header=BB6_9580 Depth=2
	s_or_b32 exec_lo, exec_lo, s13
	v_lshrrev_b32_e32 v2, 20, v2
	v_min_i32_e32 v3, 15, v1
	v_cmp_gt_i32_e32 vcc_lo, 16, v1
	v_and_b32_sdwa v0, v0, v81 dst_sel:DWORD dst_unused:UNUSED_PAD src0_sel:BYTE_3 src1_sel:DWORD
	v_lshlrev_b32_e32 v3, 3, v3
	v_cndmask_b32_e32 v2, 7, v2, vcc_lo
	v_and_b32_e32 v3, 0xf8, v3
	v_and_b32_e32 v4, 7, v2
	v_or_b32_e32 v1, v1, v2
	v_or3_b32 v0, v3, v0, v4
	v_cmp_ne_u32_e32 vcc_lo, 0, v1
	v_cndmask_b32_e32 v10, 0, v0, vcc_lo
.LBB6_9685:                             ;   in Loop: Header=BB6_9580 Depth=2
	s_or_b32 exec_lo, exec_lo, s40
.LBB6_9686:                             ;   in Loop: Header=BB6_9580 Depth=2
	s_or_b32 exec_lo, exec_lo, s29
	v_cmp_gt_i16_sdwa s29, v11, v80 src0_sel:BYTE_3 src1_sel:DWORD
	s_mov_b32 s13, 0
	s_and_saveexec_b32 s40, s29
	s_xor_b32 s29, exec_lo, s40
	s_cbranch_execz .LBB6_11392
; %bb.9687:                             ;   in Loop: Header=BB6_9580 Depth=2
	v_cmp_eq_u16_sdwa s41, v11, v81 src0_sel:BYTE_3 src1_sel:DWORD
	s_mov_b32 s13, -1
	s_and_saveexec_b32 s40, s41
; %bb.9688:                             ;   in Loop: Header=BB6_9580 Depth=2
	s_xor_b32 s13, exec_lo, -1
; %bb.9689:                             ;   in Loop: Header=BB6_9580 Depth=2
	s_or_b32 exec_lo, exec_lo, s40
	s_and_b32 s13, s13, exec_lo
	s_or_saveexec_b32 s29, s29
	v_mov_b32_e32 v0, 0x7f800001
	s_xor_b32 exec_lo, exec_lo, s29
	s_cbranch_execnz .LBB6_11393
.LBB6_9690:                             ;   in Loop: Header=BB6_9580 Depth=2
	s_or_b32 exec_lo, exec_lo, s29
	s_and_saveexec_b32 s29, s13
	s_cbranch_execz .LBB6_9692
.LBB6_9691:                             ;   in Loop: Header=BB6_9580 Depth=2
	v_bfe_u32 v0, v11, 24, 3
	v_bfe_u32 v3, v11, 27, 4
	v_ffbh_u32_e32 v1, v0
	v_cmp_eq_u32_e32 vcc_lo, 0, v3
	v_min_u32_e32 v1, 32, v1
	v_subrev_nc_u32_e32 v2, 28, v1
	v_sub_nc_u32_e32 v1, 29, v1
	v_lshlrev_b32_sdwa v2, v2, v11 dst_sel:DWORD dst_unused:UNUSED_PAD src0_sel:DWORD src1_sel:BYTE_3
	v_cndmask_b32_e32 v1, v3, v1, vcc_lo
	v_and_b32_e32 v2, 7, v2
	v_lshl_add_u32 v1, v1, 23, 0x3b800000
	v_cndmask_b32_e32 v0, v0, v2, vcc_lo
	v_and_b32_e32 v2, 0x80000000, v11
	v_lshlrev_b32_e32 v0, 20, v0
	v_or3_b32 v0, v2, v1, v0
.LBB6_9692:                             ;   in Loop: Header=BB6_9580 Depth=2
	s_or_b32 exec_lo, exec_lo, s29
	v_mul_f32_e32 v0, s28, v0
	v_mov_b32_e32 v11, 0x8000
	s_mov_b32 s29, exec_lo
	v_and_b32_e32 v1, 0x7f800000, v0
	v_cmpx_ne_u32_e32 0x7f800000, v1
	s_cbranch_execz .LBB6_9700
; %bb.9693:                             ;   in Loop: Header=BB6_9580 Depth=2
	v_mov_b32_e32 v11, 0
	s_mov_b32 s40, exec_lo
	v_cmpx_ne_u32_e32 0, v0
	s_cbranch_execz .LBB6_9699
; %bb.9694:                             ;   in Loop: Header=BB6_9580 Depth=2
	v_bfe_u32 v1, v0, 23, 8
	v_and_b32_e32 v2, 0x7fffff, v0
	v_sub_nc_u32_e32 v3, 0x78, v1
	v_cmp_gt_u32_e32 vcc_lo, 0x79, v1
	v_or_b32_e32 v4, 0x800000, v2
	v_cndmask_b32_e32 v3, 0, v3, vcc_lo
	v_cmp_eq_u32_e32 vcc_lo, 0, v1
	v_add_nc_u32_e32 v1, 0xffffff89, v1
	v_cndmask_b32_e64 v3, v3, 0x77, vcc_lo
	v_cndmask_b32_e32 v2, v4, v2, vcc_lo
	v_cndmask_b32_e64 v1, v1, 0xffffff8a, vcc_lo
	v_lshl_add_u32 v4, 0x100000, v3, -1
	v_lshrrev_b32_e32 v5, v3, v2
	v_lshlrev_b32_e64 v7, v3, 0x80000
	v_add_nc_u32_e32 v3, v3, v1
	v_and_b32_e32 v2, v4, v2
	v_bfe_u32 v6, v5, 20, 1
	v_cmp_eq_u32_e64 s13, v2, v7
	v_add_nc_u32_e32 v4, -1, v6
	v_cndmask_b32_e64 v2, 0, v4, s13
	v_lshrrev_b32_e32 v4, 23, v5
	s_mov_b32 s13, exec_lo
	v_add_nc_u32_e32 v2, v2, v5
	v_xor_b32_e32 v4, 1, v4
	v_and_b32_e32 v1, 0xfffff, v2
	v_add_nc_u32_e32 v2, v1, v5
                                        ; implicit-def: $vgpr1
	v_cmpx_ne_u32_e64 v3, v4
	s_xor_b32 s13, exec_lo, s13
; %bb.9695:                             ;   in Loop: Header=BB6_9580 Depth=2
	v_cmp_lt_u32_e32 vcc_lo, 0xffffff, v2
	v_sub_nc_u32_e32 v1, v3, v4
	v_cndmask_b32_e64 v3, 0, 1, vcc_lo
	v_add_co_ci_u32_e64 v1, null, 0, v1, vcc_lo
	v_lshrrev_b32_e32 v2, v3, v2
; %bb.9696:                             ;   in Loop: Header=BB6_9580 Depth=2
	s_andn2_saveexec_b32 s13, s13
; %bb.9697:                             ;   in Loop: Header=BB6_9580 Depth=2
	v_bfe_u32 v1, v2, 23, 1
; %bb.9698:                             ;   in Loop: Header=BB6_9580 Depth=2
	s_or_b32 exec_lo, exec_lo, s13
	v_lshrrev_b32_e32 v2, 20, v2
	v_min_i32_e32 v3, 15, v1
	v_cmp_gt_i32_e32 vcc_lo, 16, v1
	v_and_b32_sdwa v0, v0, v81 dst_sel:DWORD dst_unused:UNUSED_PAD src0_sel:BYTE_3 src1_sel:DWORD
	v_lshlrev_b32_e32 v3, 3, v3
	v_cndmask_b32_e32 v2, 7, v2, vcc_lo
	v_and_b32_e32 v3, 0xf8, v3
	v_and_b32_e32 v4, 7, v2
	v_or_b32_e32 v1, v1, v2
	v_or3_b32 v0, v0, v3, v4
	v_cmp_ne_u32_e32 vcc_lo, 0, v1
	v_lshlrev_b32_e32 v0, 8, v0
	v_cndmask_b32_e32 v11, 0, v0, vcc_lo
.LBB6_9699:                             ;   in Loop: Header=BB6_9580 Depth=2
	s_or_b32 exec_lo, exec_lo, s40
.LBB6_9700:                             ;   in Loop: Header=BB6_9580 Depth=2
	s_or_b32 exec_lo, exec_lo, s29
	v_cmp_gt_i16_sdwa s29, v12, v80 src0_sel:BYTE_0 src1_sel:DWORD
	s_mov_b32 s13, 0
	s_and_saveexec_b32 s40, s29
	s_xor_b32 s29, exec_lo, s40
	s_cbranch_execz .LBB6_11394
; %bb.9701:                             ;   in Loop: Header=BB6_9580 Depth=2
	v_cmp_eq_u16_sdwa s41, v12, v81 src0_sel:BYTE_0 src1_sel:DWORD
	s_mov_b32 s13, -1
	s_and_saveexec_b32 s40, s41
; %bb.9702:                             ;   in Loop: Header=BB6_9580 Depth=2
	s_xor_b32 s13, exec_lo, -1
; %bb.9703:                             ;   in Loop: Header=BB6_9580 Depth=2
	s_or_b32 exec_lo, exec_lo, s40
	s_and_b32 s13, s13, exec_lo
	s_or_saveexec_b32 s29, s29
	v_mov_b32_e32 v0, 0x7f800001
	s_xor_b32 exec_lo, exec_lo, s29
	s_cbranch_execnz .LBB6_11395
.LBB6_9704:                             ;   in Loop: Header=BB6_9580 Depth=2
	s_or_b32 exec_lo, exec_lo, s29
	s_and_saveexec_b32 s29, s13
	s_cbranch_execz .LBB6_9706
.LBB6_9705:                             ;   in Loop: Header=BB6_9580 Depth=2
	v_and_b32_e32 v0, 7, v12
	v_bfe_u32 v3, v12, 3, 4
	v_lshlrev_b32_e32 v4, 24, v12
	v_ffbh_u32_e32 v1, v0
	v_cmp_eq_u32_e32 vcc_lo, 0, v3
	v_min_u32_e32 v1, 32, v1
	v_subrev_nc_u32_e32 v2, 28, v1
	v_sub_nc_u32_e32 v1, 29, v1
	v_lshlrev_b32_e32 v2, v2, v12
	v_cndmask_b32_e32 v1, v3, v1, vcc_lo
	v_and_b32_e32 v2, 7, v2
	v_lshl_add_u32 v1, v1, 23, 0x3b800000
	v_cndmask_b32_e32 v0, v0, v2, vcc_lo
	v_and_b32_e32 v2, 0x80000000, v4
	v_lshlrev_b32_e32 v0, 20, v0
	v_or3_b32 v0, v2, v1, v0
.LBB6_9706:                             ;   in Loop: Header=BB6_9580 Depth=2
	s_or_b32 exec_lo, exec_lo, s29
	v_mul_f32_e32 v0, s28, v0
	v_and_b32_e32 v1, 0x7f800000, v0
	v_cmp_ne_u32_e32 vcc_lo, 0x7f800000, v1
	v_mov_b32_e32 v1, 0x80
	buffer_store_dword v1, off, s[0:3], s33 offset:232 ; 4-byte Folded Spill
	s_and_saveexec_b32 s29, vcc_lo
	s_cbranch_execz .LBB6_9714
; %bb.9707:                             ;   in Loop: Header=BB6_9580 Depth=2
	v_mov_b32_e32 v1, 0
	s_mov_b32 s40, exec_lo
	buffer_store_dword v1, off, s[0:3], s33 offset:232 ; 4-byte Folded Spill
	v_cmpx_ne_u32_e32 0, v0
	s_cbranch_execz .LBB6_9713
; %bb.9708:                             ;   in Loop: Header=BB6_9580 Depth=2
	v_bfe_u32 v1, v0, 23, 8
	v_and_b32_e32 v2, 0x7fffff, v0
	v_sub_nc_u32_e32 v3, 0x78, v1
	v_cmp_gt_u32_e32 vcc_lo, 0x79, v1
	v_or_b32_e32 v4, 0x800000, v2
	v_cndmask_b32_e32 v3, 0, v3, vcc_lo
	v_cmp_eq_u32_e32 vcc_lo, 0, v1
	v_add_nc_u32_e32 v1, 0xffffff89, v1
	v_cndmask_b32_e64 v3, v3, 0x77, vcc_lo
	v_cndmask_b32_e32 v2, v4, v2, vcc_lo
	v_cndmask_b32_e64 v1, v1, 0xffffff8a, vcc_lo
	v_lshl_add_u32 v4, 0x100000, v3, -1
	v_lshrrev_b32_e32 v5, v3, v2
	v_lshlrev_b32_e64 v7, v3, 0x80000
	v_add_nc_u32_e32 v3, v3, v1
	v_and_b32_e32 v2, v4, v2
	v_bfe_u32 v6, v5, 20, 1
	v_cmp_eq_u32_e64 s13, v2, v7
	v_add_nc_u32_e32 v4, -1, v6
	v_cndmask_b32_e64 v2, 0, v4, s13
	v_lshrrev_b32_e32 v4, 23, v5
	s_mov_b32 s13, exec_lo
	v_add_nc_u32_e32 v2, v2, v5
	v_xor_b32_e32 v4, 1, v4
	v_and_b32_e32 v1, 0xfffff, v2
	v_add_nc_u32_e32 v2, v1, v5
                                        ; implicit-def: $vgpr1
	v_cmpx_ne_u32_e64 v3, v4
	s_xor_b32 s13, exec_lo, s13
; %bb.9709:                             ;   in Loop: Header=BB6_9580 Depth=2
	v_cmp_lt_u32_e32 vcc_lo, 0xffffff, v2
	v_sub_nc_u32_e32 v1, v3, v4
	v_cndmask_b32_e64 v3, 0, 1, vcc_lo
	v_add_co_ci_u32_e64 v1, null, 0, v1, vcc_lo
	v_lshrrev_b32_e32 v2, v3, v2
; %bb.9710:                             ;   in Loop: Header=BB6_9580 Depth=2
	s_andn2_saveexec_b32 s13, s13
; %bb.9711:                             ;   in Loop: Header=BB6_9580 Depth=2
	v_bfe_u32 v1, v2, 23, 1
; %bb.9712:                             ;   in Loop: Header=BB6_9580 Depth=2
	s_or_b32 exec_lo, exec_lo, s13
	v_lshrrev_b32_e32 v2, 20, v2
	v_min_i32_e32 v3, 15, v1
	v_cmp_gt_i32_e32 vcc_lo, 16, v1
	v_and_b32_sdwa v0, v0, v81 dst_sel:DWORD dst_unused:UNUSED_PAD src0_sel:BYTE_3 src1_sel:DWORD
	v_lshlrev_b32_e32 v3, 3, v3
	v_cndmask_b32_e32 v2, 7, v2, vcc_lo
	v_and_b32_e32 v3, 0xf8, v3
	v_and_b32_e32 v4, 7, v2
	v_or_b32_e32 v1, v1, v2
	v_or3_b32 v0, v3, v0, v4
	v_cmp_ne_u32_e32 vcc_lo, 0, v1
	v_cndmask_b32_e32 v0, 0, v0, vcc_lo
	buffer_store_dword v0, off, s[0:3], s33 offset:232 ; 4-byte Folded Spill
.LBB6_9713:                             ;   in Loop: Header=BB6_9580 Depth=2
	s_or_b32 exec_lo, exec_lo, s40
.LBB6_9714:                             ;   in Loop: Header=BB6_9580 Depth=2
	s_or_b32 exec_lo, exec_lo, s29
	v_cmp_gt_i16_sdwa s29, v12, v80 src0_sel:BYTE_1 src1_sel:DWORD
	s_mov_b32 s13, 0
	s_and_saveexec_b32 s40, s29
	s_xor_b32 s29, exec_lo, s40
	s_cbranch_execz .LBB6_11396
; %bb.9715:                             ;   in Loop: Header=BB6_9580 Depth=2
	v_cmp_eq_u16_sdwa s41, v12, v81 src0_sel:BYTE_1 src1_sel:DWORD
	s_mov_b32 s13, -1
	s_and_saveexec_b32 s40, s41
; %bb.9716:                             ;   in Loop: Header=BB6_9580 Depth=2
	s_xor_b32 s13, exec_lo, -1
; %bb.9717:                             ;   in Loop: Header=BB6_9580 Depth=2
	s_or_b32 exec_lo, exec_lo, s40
	s_and_b32 s13, s13, exec_lo
	s_or_saveexec_b32 s29, s29
	v_mov_b32_e32 v0, 0x7f800001
	s_xor_b32 exec_lo, exec_lo, s29
	s_cbranch_execnz .LBB6_11397
.LBB6_9718:                             ;   in Loop: Header=BB6_9580 Depth=2
	s_or_b32 exec_lo, exec_lo, s29
	s_and_saveexec_b32 s29, s13
	s_cbranch_execz .LBB6_9720
.LBB6_9719:                             ;   in Loop: Header=BB6_9580 Depth=2
	v_and_b32_sdwa v0, v82, v12 dst_sel:DWORD dst_unused:UNUSED_PAD src0_sel:DWORD src1_sel:BYTE_1
	v_and_b32_e32 v1, 7, v0
	v_bfe_u32 v4, v0, 3, 4
	v_ffbh_u32_e32 v2, v1
	v_cmp_eq_u32_e32 vcc_lo, 0, v4
	v_min_u32_e32 v2, 32, v2
	v_subrev_nc_u32_e32 v3, 28, v2
	v_sub_nc_u32_e32 v2, 29, v2
	v_lshlrev_b32_e32 v0, v3, v0
	v_lshlrev_b32_sdwa v3, v83, v12 dst_sel:DWORD dst_unused:UNUSED_PAD src0_sel:DWORD src1_sel:BYTE_1
	v_cndmask_b32_e32 v2, v4, v2, vcc_lo
	v_and_b32_e32 v0, 7, v0
	v_lshl_add_u32 v2, v2, 23, 0x3b800000
	v_cndmask_b32_e32 v0, v1, v0, vcc_lo
	v_and_b32_e32 v1, 0x80000000, v3
	v_lshlrev_b32_e32 v0, 20, v0
	v_or3_b32 v0, v1, v2, v0
.LBB6_9720:                             ;   in Loop: Header=BB6_9580 Depth=2
	s_or_b32 exec_lo, exec_lo, s29
	v_mul_f32_e32 v0, s28, v0
	v_and_b32_e32 v1, 0x7f800000, v0
	v_cmp_ne_u32_e32 vcc_lo, 0x7f800000, v1
	v_mov_b32_e32 v1, 0x8000
	s_and_saveexec_b32 s29, vcc_lo
	s_cbranch_execz .LBB6_9728
; %bb.9721:                             ;   in Loop: Header=BB6_9580 Depth=2
	v_mov_b32_e32 v1, 0
	s_mov_b32 s40, exec_lo
	v_cmpx_ne_u32_e32 0, v0
	s_cbranch_execz .LBB6_9727
; %bb.9722:                             ;   in Loop: Header=BB6_9580 Depth=2
	v_bfe_u32 v1, v0, 23, 8
	v_and_b32_e32 v2, 0x7fffff, v0
	v_sub_nc_u32_e32 v3, 0x78, v1
	v_cmp_gt_u32_e32 vcc_lo, 0x79, v1
	v_or_b32_e32 v4, 0x800000, v2
	v_cndmask_b32_e32 v3, 0, v3, vcc_lo
	v_cmp_eq_u32_e32 vcc_lo, 0, v1
	v_add_nc_u32_e32 v1, 0xffffff89, v1
	v_cndmask_b32_e64 v3, v3, 0x77, vcc_lo
	v_cndmask_b32_e32 v2, v4, v2, vcc_lo
	v_cndmask_b32_e64 v1, v1, 0xffffff8a, vcc_lo
	v_lshl_add_u32 v4, 0x100000, v3, -1
	v_lshrrev_b32_e32 v5, v3, v2
	v_lshlrev_b32_e64 v7, v3, 0x80000
	v_add_nc_u32_e32 v3, v3, v1
	v_and_b32_e32 v2, v4, v2
	v_bfe_u32 v6, v5, 20, 1
	v_cmp_eq_u32_e64 s13, v2, v7
	v_add_nc_u32_e32 v4, -1, v6
	v_cndmask_b32_e64 v2, 0, v4, s13
	v_lshrrev_b32_e32 v4, 23, v5
	s_mov_b32 s13, exec_lo
	v_add_nc_u32_e32 v2, v2, v5
	v_xor_b32_e32 v4, 1, v4
	v_and_b32_e32 v1, 0xfffff, v2
	v_add_nc_u32_e32 v2, v1, v5
                                        ; implicit-def: $vgpr1
	v_cmpx_ne_u32_e64 v3, v4
	s_xor_b32 s13, exec_lo, s13
; %bb.9723:                             ;   in Loop: Header=BB6_9580 Depth=2
	v_cmp_lt_u32_e32 vcc_lo, 0xffffff, v2
	v_sub_nc_u32_e32 v1, v3, v4
	v_cndmask_b32_e64 v3, 0, 1, vcc_lo
	v_add_co_ci_u32_e64 v1, null, 0, v1, vcc_lo
	v_lshrrev_b32_e32 v2, v3, v2
; %bb.9724:                             ;   in Loop: Header=BB6_9580 Depth=2
	s_andn2_saveexec_b32 s13, s13
; %bb.9725:                             ;   in Loop: Header=BB6_9580 Depth=2
	v_bfe_u32 v1, v2, 23, 1
; %bb.9726:                             ;   in Loop: Header=BB6_9580 Depth=2
	s_or_b32 exec_lo, exec_lo, s13
	v_lshrrev_b32_e32 v2, 20, v2
	v_min_i32_e32 v3, 15, v1
	v_cmp_gt_i32_e32 vcc_lo, 16, v1
	v_and_b32_sdwa v0, v0, v81 dst_sel:DWORD dst_unused:UNUSED_PAD src0_sel:BYTE_3 src1_sel:DWORD
	v_lshlrev_b32_e32 v3, 3, v3
	v_cndmask_b32_e32 v2, 7, v2, vcc_lo
	v_and_b32_e32 v3, 0xf8, v3
	v_and_b32_e32 v4, 7, v2
	v_or_b32_e32 v1, v1, v2
	v_or3_b32 v0, v0, v3, v4
	v_cmp_ne_u32_e32 vcc_lo, 0, v1
	v_lshlrev_b32_e32 v0, 8, v0
	v_cndmask_b32_e32 v1, 0, v0, vcc_lo
.LBB6_9727:                             ;   in Loop: Header=BB6_9580 Depth=2
	s_or_b32 exec_lo, exec_lo, s40
.LBB6_9728:                             ;   in Loop: Header=BB6_9580 Depth=2
	s_or_b32 exec_lo, exec_lo, s29
	buffer_store_dword v1, off, s[0:3], s33 offset:292 ; 4-byte Folded Spill
	v_and_b32_sdwa v1, v12, v86 dst_sel:DWORD dst_unused:UNUSED_PAD src0_sel:WORD_1 src1_sel:DWORD
	s_mov_b32 s13, 0
	s_mov_b32 s29, exec_lo
	v_cmpx_lt_i16_e32 0x7f, v1
	s_xor_b32 s29, exec_lo, s29
	s_cbranch_execz .LBB6_11398
; %bb.9729:                             ;   in Loop: Header=BB6_9580 Depth=2
	s_mov_b32 s13, -1
	s_mov_b32 s40, exec_lo
	v_cmpx_eq_u16_e32 0x80, v1
; %bb.9730:                             ;   in Loop: Header=BB6_9580 Depth=2
	s_xor_b32 s13, exec_lo, -1
; %bb.9731:                             ;   in Loop: Header=BB6_9580 Depth=2
	s_or_b32 exec_lo, exec_lo, s40
	s_and_b32 s13, s13, exec_lo
                                        ; implicit-def: $vgpr1
	s_or_saveexec_b32 s29, s29
	v_mov_b32_e32 v0, 0x7f800001
	s_xor_b32 exec_lo, exec_lo, s29
	s_cbranch_execnz .LBB6_11399
.LBB6_9732:                             ;   in Loop: Header=BB6_9580 Depth=2
	s_or_b32 exec_lo, exec_lo, s29
	s_and_saveexec_b32 s29, s13
	s_cbranch_execz .LBB6_9734
.LBB6_9733:                             ;   in Loop: Header=BB6_9580 Depth=2
	v_bfe_u32 v0, v12, 16, 3
	v_bfe_u32 v3, v12, 19, 4
	v_lshlrev_b32_e32 v4, 8, v12
	v_ffbh_u32_e32 v1, v0
	v_cmp_eq_u32_e32 vcc_lo, 0, v3
	v_min_u32_e32 v1, 32, v1
	v_subrev_nc_u32_e32 v2, 28, v1
	v_sub_nc_u32_e32 v1, 29, v1
	v_lshlrev_b32_sdwa v2, v2, v12 dst_sel:DWORD dst_unused:UNUSED_PAD src0_sel:DWORD src1_sel:WORD_1
	v_cndmask_b32_e32 v1, v3, v1, vcc_lo
	v_and_b32_e32 v2, 7, v2
	v_lshl_add_u32 v1, v1, 23, 0x3b800000
	v_cndmask_b32_e32 v0, v0, v2, vcc_lo
	v_and_b32_e32 v2, 0x80000000, v4
	v_lshlrev_b32_e32 v0, 20, v0
	v_or3_b32 v0, v2, v1, v0
.LBB6_9734:                             ;   in Loop: Header=BB6_9580 Depth=2
	s_or_b32 exec_lo, exec_lo, s29
	v_mul_f32_e32 v0, s28, v0
	v_and_b32_e32 v1, 0x7f800000, v0
	v_cmp_ne_u32_e32 vcc_lo, 0x7f800000, v1
	v_mov_b32_e32 v1, 0x80
	buffer_store_dword v1, off, s[0:3], s33 offset:236 ; 4-byte Folded Spill
	s_and_saveexec_b32 s29, vcc_lo
	s_cbranch_execz .LBB6_9742
; %bb.9735:                             ;   in Loop: Header=BB6_9580 Depth=2
	v_mov_b32_e32 v1, 0
	s_mov_b32 s40, exec_lo
	buffer_store_dword v1, off, s[0:3], s33 offset:236 ; 4-byte Folded Spill
	v_cmpx_ne_u32_e32 0, v0
	s_cbranch_execz .LBB6_9741
; %bb.9736:                             ;   in Loop: Header=BB6_9580 Depth=2
	v_bfe_u32 v1, v0, 23, 8
	v_and_b32_e32 v2, 0x7fffff, v0
	v_sub_nc_u32_e32 v3, 0x78, v1
	v_cmp_gt_u32_e32 vcc_lo, 0x79, v1
	v_or_b32_e32 v4, 0x800000, v2
	v_cndmask_b32_e32 v3, 0, v3, vcc_lo
	v_cmp_eq_u32_e32 vcc_lo, 0, v1
	v_add_nc_u32_e32 v1, 0xffffff89, v1
	v_cndmask_b32_e64 v3, v3, 0x77, vcc_lo
	v_cndmask_b32_e32 v2, v4, v2, vcc_lo
	v_cndmask_b32_e64 v1, v1, 0xffffff8a, vcc_lo
	v_lshl_add_u32 v4, 0x100000, v3, -1
	v_lshrrev_b32_e32 v5, v3, v2
	v_lshlrev_b32_e64 v7, v3, 0x80000
	v_add_nc_u32_e32 v3, v3, v1
	v_and_b32_e32 v2, v4, v2
	v_bfe_u32 v6, v5, 20, 1
	v_cmp_eq_u32_e64 s13, v2, v7
	v_add_nc_u32_e32 v4, -1, v6
	v_cndmask_b32_e64 v2, 0, v4, s13
	v_lshrrev_b32_e32 v4, 23, v5
	s_mov_b32 s13, exec_lo
	v_add_nc_u32_e32 v2, v2, v5
	v_xor_b32_e32 v4, 1, v4
	v_and_b32_e32 v1, 0xfffff, v2
	v_add_nc_u32_e32 v2, v1, v5
                                        ; implicit-def: $vgpr1
	v_cmpx_ne_u32_e64 v3, v4
	s_xor_b32 s13, exec_lo, s13
; %bb.9737:                             ;   in Loop: Header=BB6_9580 Depth=2
	v_cmp_lt_u32_e32 vcc_lo, 0xffffff, v2
	v_sub_nc_u32_e32 v1, v3, v4
	v_cndmask_b32_e64 v3, 0, 1, vcc_lo
	v_add_co_ci_u32_e64 v1, null, 0, v1, vcc_lo
	v_lshrrev_b32_e32 v2, v3, v2
; %bb.9738:                             ;   in Loop: Header=BB6_9580 Depth=2
	s_andn2_saveexec_b32 s13, s13
; %bb.9739:                             ;   in Loop: Header=BB6_9580 Depth=2
	v_bfe_u32 v1, v2, 23, 1
; %bb.9740:                             ;   in Loop: Header=BB6_9580 Depth=2
	s_or_b32 exec_lo, exec_lo, s13
	v_lshrrev_b32_e32 v2, 20, v2
	v_min_i32_e32 v3, 15, v1
	v_cmp_gt_i32_e32 vcc_lo, 16, v1
	v_and_b32_sdwa v0, v0, v81 dst_sel:DWORD dst_unused:UNUSED_PAD src0_sel:BYTE_3 src1_sel:DWORD
	v_lshlrev_b32_e32 v3, 3, v3
	v_cndmask_b32_e32 v2, 7, v2, vcc_lo
	v_and_b32_e32 v3, 0xf8, v3
	v_and_b32_e32 v4, 7, v2
	v_or_b32_e32 v1, v1, v2
	v_or3_b32 v0, v3, v0, v4
	v_cmp_ne_u32_e32 vcc_lo, 0, v1
	v_cndmask_b32_e32 v0, 0, v0, vcc_lo
	buffer_store_dword v0, off, s[0:3], s33 offset:236 ; 4-byte Folded Spill
.LBB6_9741:                             ;   in Loop: Header=BB6_9580 Depth=2
	s_or_b32 exec_lo, exec_lo, s40
.LBB6_9742:                             ;   in Loop: Header=BB6_9580 Depth=2
	s_or_b32 exec_lo, exec_lo, s29
	v_cmp_gt_i16_sdwa s29, v12, v80 src0_sel:BYTE_3 src1_sel:DWORD
	s_mov_b32 s13, 0
	s_and_saveexec_b32 s40, s29
	s_xor_b32 s29, exec_lo, s40
	s_cbranch_execz .LBB6_11400
; %bb.9743:                             ;   in Loop: Header=BB6_9580 Depth=2
	v_cmp_eq_u16_sdwa s41, v12, v81 src0_sel:BYTE_3 src1_sel:DWORD
	s_mov_b32 s13, -1
	s_and_saveexec_b32 s40, s41
; %bb.9744:                             ;   in Loop: Header=BB6_9580 Depth=2
	s_xor_b32 s13, exec_lo, -1
; %bb.9745:                             ;   in Loop: Header=BB6_9580 Depth=2
	s_or_b32 exec_lo, exec_lo, s40
	s_and_b32 s13, s13, exec_lo
	s_or_saveexec_b32 s29, s29
	v_mov_b32_e32 v0, 0x7f800001
	s_xor_b32 exec_lo, exec_lo, s29
	s_cbranch_execnz .LBB6_11401
.LBB6_9746:                             ;   in Loop: Header=BB6_9580 Depth=2
	s_or_b32 exec_lo, exec_lo, s29
	s_and_saveexec_b32 s29, s13
	s_cbranch_execz .LBB6_9748
.LBB6_9747:                             ;   in Loop: Header=BB6_9580 Depth=2
	v_bfe_u32 v0, v12, 24, 3
	v_bfe_u32 v3, v12, 27, 4
	v_ffbh_u32_e32 v1, v0
	v_cmp_eq_u32_e32 vcc_lo, 0, v3
	v_min_u32_e32 v1, 32, v1
	v_subrev_nc_u32_e32 v2, 28, v1
	v_sub_nc_u32_e32 v1, 29, v1
	v_lshlrev_b32_sdwa v2, v2, v12 dst_sel:DWORD dst_unused:UNUSED_PAD src0_sel:DWORD src1_sel:BYTE_3
	v_cndmask_b32_e32 v1, v3, v1, vcc_lo
	v_and_b32_e32 v2, 7, v2
	v_lshl_add_u32 v1, v1, 23, 0x3b800000
	v_cndmask_b32_e32 v0, v0, v2, vcc_lo
	v_and_b32_e32 v2, 0x80000000, v12
	v_lshlrev_b32_e32 v0, 20, v0
	v_or3_b32 v0, v2, v1, v0
.LBB6_9748:                             ;   in Loop: Header=BB6_9580 Depth=2
	s_or_b32 exec_lo, exec_lo, s29
	v_mul_f32_e32 v0, s28, v0
	v_mov_b32_e32 v12, 0x8000
	s_mov_b32 s29, exec_lo
	v_and_b32_e32 v1, 0x7f800000, v0
	v_cmpx_ne_u32_e32 0x7f800000, v1
	s_cbranch_execz .LBB6_9756
; %bb.9749:                             ;   in Loop: Header=BB6_9580 Depth=2
	v_mov_b32_e32 v12, 0
	s_mov_b32 s40, exec_lo
	v_cmpx_ne_u32_e32 0, v0
	s_cbranch_execz .LBB6_9755
; %bb.9750:                             ;   in Loop: Header=BB6_9580 Depth=2
	v_bfe_u32 v1, v0, 23, 8
	v_and_b32_e32 v2, 0x7fffff, v0
	v_sub_nc_u32_e32 v3, 0x78, v1
	v_cmp_gt_u32_e32 vcc_lo, 0x79, v1
	v_or_b32_e32 v4, 0x800000, v2
	v_cndmask_b32_e32 v3, 0, v3, vcc_lo
	v_cmp_eq_u32_e32 vcc_lo, 0, v1
	v_add_nc_u32_e32 v1, 0xffffff89, v1
	v_cndmask_b32_e64 v3, v3, 0x77, vcc_lo
	v_cndmask_b32_e32 v2, v4, v2, vcc_lo
	v_cndmask_b32_e64 v1, v1, 0xffffff8a, vcc_lo
	v_lshl_add_u32 v4, 0x100000, v3, -1
	v_lshrrev_b32_e32 v5, v3, v2
	v_lshlrev_b32_e64 v7, v3, 0x80000
	v_add_nc_u32_e32 v3, v3, v1
	v_and_b32_e32 v2, v4, v2
	v_bfe_u32 v6, v5, 20, 1
	v_cmp_eq_u32_e64 s13, v2, v7
	v_add_nc_u32_e32 v4, -1, v6
	v_cndmask_b32_e64 v2, 0, v4, s13
	v_lshrrev_b32_e32 v4, 23, v5
	s_mov_b32 s13, exec_lo
	v_add_nc_u32_e32 v2, v2, v5
	v_xor_b32_e32 v4, 1, v4
	v_and_b32_e32 v1, 0xfffff, v2
	v_add_nc_u32_e32 v2, v1, v5
                                        ; implicit-def: $vgpr1
	v_cmpx_ne_u32_e64 v3, v4
	s_xor_b32 s13, exec_lo, s13
; %bb.9751:                             ;   in Loop: Header=BB6_9580 Depth=2
	v_cmp_lt_u32_e32 vcc_lo, 0xffffff, v2
	v_sub_nc_u32_e32 v1, v3, v4
	v_cndmask_b32_e64 v3, 0, 1, vcc_lo
	v_add_co_ci_u32_e64 v1, null, 0, v1, vcc_lo
	v_lshrrev_b32_e32 v2, v3, v2
; %bb.9752:                             ;   in Loop: Header=BB6_9580 Depth=2
	s_andn2_saveexec_b32 s13, s13
; %bb.9753:                             ;   in Loop: Header=BB6_9580 Depth=2
	v_bfe_u32 v1, v2, 23, 1
; %bb.9754:                             ;   in Loop: Header=BB6_9580 Depth=2
	s_or_b32 exec_lo, exec_lo, s13
	v_lshrrev_b32_e32 v2, 20, v2
	v_min_i32_e32 v3, 15, v1
	v_cmp_gt_i32_e32 vcc_lo, 16, v1
	v_and_b32_sdwa v0, v0, v81 dst_sel:DWORD dst_unused:UNUSED_PAD src0_sel:BYTE_3 src1_sel:DWORD
	v_lshlrev_b32_e32 v3, 3, v3
	v_cndmask_b32_e32 v2, 7, v2, vcc_lo
	v_and_b32_e32 v3, 0xf8, v3
	v_and_b32_e32 v4, 7, v2
	v_or_b32_e32 v1, v1, v2
	v_or3_b32 v0, v0, v3, v4
	v_cmp_ne_u32_e32 vcc_lo, 0, v1
	v_lshlrev_b32_e32 v0, 8, v0
	v_cndmask_b32_e32 v12, 0, v0, vcc_lo
.LBB6_9755:                             ;   in Loop: Header=BB6_9580 Depth=2
	s_or_b32 exec_lo, exec_lo, s40
.LBB6_9756:                             ;   in Loop: Header=BB6_9580 Depth=2
	s_or_b32 exec_lo, exec_lo, s29
	v_cmp_gt_i16_sdwa s29, v13, v80 src0_sel:BYTE_0 src1_sel:DWORD
	s_mov_b32 s13, 0
	s_and_saveexec_b32 s40, s29
	s_xor_b32 s29, exec_lo, s40
	s_cbranch_execz .LBB6_11402
; %bb.9757:                             ;   in Loop: Header=BB6_9580 Depth=2
	v_cmp_eq_u16_sdwa s41, v13, v81 src0_sel:BYTE_0 src1_sel:DWORD
	s_mov_b32 s13, -1
	s_and_saveexec_b32 s40, s41
; %bb.9758:                             ;   in Loop: Header=BB6_9580 Depth=2
	s_xor_b32 s13, exec_lo, -1
; %bb.9759:                             ;   in Loop: Header=BB6_9580 Depth=2
	s_or_b32 exec_lo, exec_lo, s40
	s_and_b32 s13, s13, exec_lo
	s_or_saveexec_b32 s29, s29
	v_mov_b32_e32 v0, 0x7f800001
	s_xor_b32 exec_lo, exec_lo, s29
	s_cbranch_execnz .LBB6_11403
.LBB6_9760:                             ;   in Loop: Header=BB6_9580 Depth=2
	s_or_b32 exec_lo, exec_lo, s29
	s_and_saveexec_b32 s29, s13
	s_cbranch_execz .LBB6_9762
.LBB6_9761:                             ;   in Loop: Header=BB6_9580 Depth=2
	v_and_b32_e32 v0, 7, v13
	v_bfe_u32 v3, v13, 3, 4
	v_lshlrev_b32_e32 v4, 24, v13
	v_ffbh_u32_e32 v1, v0
	v_cmp_eq_u32_e32 vcc_lo, 0, v3
	v_min_u32_e32 v1, 32, v1
	v_subrev_nc_u32_e32 v2, 28, v1
	v_sub_nc_u32_e32 v1, 29, v1
	v_lshlrev_b32_e32 v2, v2, v13
	v_cndmask_b32_e32 v1, v3, v1, vcc_lo
	v_and_b32_e32 v2, 7, v2
	v_lshl_add_u32 v1, v1, 23, 0x3b800000
	v_cndmask_b32_e32 v0, v0, v2, vcc_lo
	v_and_b32_e32 v2, 0x80000000, v4
	v_lshlrev_b32_e32 v0, 20, v0
	v_or3_b32 v0, v2, v1, v0
.LBB6_9762:                             ;   in Loop: Header=BB6_9580 Depth=2
	s_or_b32 exec_lo, exec_lo, s29
	v_mul_f32_e32 v0, s28, v0
	v_and_b32_e32 v1, 0x7f800000, v0
	v_cmp_ne_u32_e32 vcc_lo, 0x7f800000, v1
	v_mov_b32_e32 v1, 0x80
	buffer_store_dword v1, off, s[0:3], s33 offset:240 ; 4-byte Folded Spill
	s_and_saveexec_b32 s29, vcc_lo
	s_cbranch_execz .LBB6_9770
; %bb.9763:                             ;   in Loop: Header=BB6_9580 Depth=2
	v_mov_b32_e32 v1, 0
	s_mov_b32 s40, exec_lo
	buffer_store_dword v1, off, s[0:3], s33 offset:240 ; 4-byte Folded Spill
	v_cmpx_ne_u32_e32 0, v0
	s_cbranch_execz .LBB6_9769
; %bb.9764:                             ;   in Loop: Header=BB6_9580 Depth=2
	v_bfe_u32 v1, v0, 23, 8
	v_and_b32_e32 v2, 0x7fffff, v0
	v_sub_nc_u32_e32 v3, 0x78, v1
	v_cmp_gt_u32_e32 vcc_lo, 0x79, v1
	v_or_b32_e32 v4, 0x800000, v2
	v_cndmask_b32_e32 v3, 0, v3, vcc_lo
	v_cmp_eq_u32_e32 vcc_lo, 0, v1
	v_add_nc_u32_e32 v1, 0xffffff89, v1
	v_cndmask_b32_e64 v3, v3, 0x77, vcc_lo
	v_cndmask_b32_e32 v2, v4, v2, vcc_lo
	v_cndmask_b32_e64 v1, v1, 0xffffff8a, vcc_lo
	v_lshl_add_u32 v4, 0x100000, v3, -1
	v_lshrrev_b32_e32 v5, v3, v2
	v_lshlrev_b32_e64 v7, v3, 0x80000
	v_add_nc_u32_e32 v3, v3, v1
	v_and_b32_e32 v2, v4, v2
	v_bfe_u32 v6, v5, 20, 1
	v_cmp_eq_u32_e64 s13, v2, v7
	v_add_nc_u32_e32 v4, -1, v6
	v_cndmask_b32_e64 v2, 0, v4, s13
	v_lshrrev_b32_e32 v4, 23, v5
	s_mov_b32 s13, exec_lo
	v_add_nc_u32_e32 v2, v2, v5
	v_xor_b32_e32 v4, 1, v4
	v_and_b32_e32 v1, 0xfffff, v2
	v_add_nc_u32_e32 v2, v1, v5
                                        ; implicit-def: $vgpr1
	v_cmpx_ne_u32_e64 v3, v4
	s_xor_b32 s13, exec_lo, s13
; %bb.9765:                             ;   in Loop: Header=BB6_9580 Depth=2
	v_cmp_lt_u32_e32 vcc_lo, 0xffffff, v2
	v_sub_nc_u32_e32 v1, v3, v4
	v_cndmask_b32_e64 v3, 0, 1, vcc_lo
	v_add_co_ci_u32_e64 v1, null, 0, v1, vcc_lo
	v_lshrrev_b32_e32 v2, v3, v2
; %bb.9766:                             ;   in Loop: Header=BB6_9580 Depth=2
	s_andn2_saveexec_b32 s13, s13
; %bb.9767:                             ;   in Loop: Header=BB6_9580 Depth=2
	v_bfe_u32 v1, v2, 23, 1
; %bb.9768:                             ;   in Loop: Header=BB6_9580 Depth=2
	s_or_b32 exec_lo, exec_lo, s13
	v_lshrrev_b32_e32 v2, 20, v2
	v_min_i32_e32 v3, 15, v1
	v_cmp_gt_i32_e32 vcc_lo, 16, v1
	v_and_b32_sdwa v0, v0, v81 dst_sel:DWORD dst_unused:UNUSED_PAD src0_sel:BYTE_3 src1_sel:DWORD
	v_lshlrev_b32_e32 v3, 3, v3
	v_cndmask_b32_e32 v2, 7, v2, vcc_lo
	v_and_b32_e32 v3, 0xf8, v3
	v_and_b32_e32 v4, 7, v2
	v_or_b32_e32 v1, v1, v2
	v_or3_b32 v0, v3, v0, v4
	v_cmp_ne_u32_e32 vcc_lo, 0, v1
	v_cndmask_b32_e32 v0, 0, v0, vcc_lo
	buffer_store_dword v0, off, s[0:3], s33 offset:240 ; 4-byte Folded Spill
.LBB6_9769:                             ;   in Loop: Header=BB6_9580 Depth=2
	s_or_b32 exec_lo, exec_lo, s40
.LBB6_9770:                             ;   in Loop: Header=BB6_9580 Depth=2
	s_or_b32 exec_lo, exec_lo, s29
	v_cmp_gt_i16_sdwa s29, v13, v80 src0_sel:BYTE_1 src1_sel:DWORD
	s_mov_b32 s13, 0
	s_and_saveexec_b32 s40, s29
	s_xor_b32 s29, exec_lo, s40
	s_cbranch_execz .LBB6_11404
; %bb.9771:                             ;   in Loop: Header=BB6_9580 Depth=2
	v_cmp_eq_u16_sdwa s41, v13, v81 src0_sel:BYTE_1 src1_sel:DWORD
	s_mov_b32 s13, -1
	s_and_saveexec_b32 s40, s41
; %bb.9772:                             ;   in Loop: Header=BB6_9580 Depth=2
	s_xor_b32 s13, exec_lo, -1
; %bb.9773:                             ;   in Loop: Header=BB6_9580 Depth=2
	s_or_b32 exec_lo, exec_lo, s40
	s_and_b32 s13, s13, exec_lo
	s_or_saveexec_b32 s29, s29
	v_mov_b32_e32 v0, 0x7f800001
	s_xor_b32 exec_lo, exec_lo, s29
	s_cbranch_execnz .LBB6_11405
.LBB6_9774:                             ;   in Loop: Header=BB6_9580 Depth=2
	s_or_b32 exec_lo, exec_lo, s29
	s_and_saveexec_b32 s29, s13
	s_cbranch_execz .LBB6_9776
.LBB6_9775:                             ;   in Loop: Header=BB6_9580 Depth=2
	v_and_b32_sdwa v0, v82, v13 dst_sel:DWORD dst_unused:UNUSED_PAD src0_sel:DWORD src1_sel:BYTE_1
	v_and_b32_e32 v1, 7, v0
	v_bfe_u32 v4, v0, 3, 4
	v_ffbh_u32_e32 v2, v1
	v_cmp_eq_u32_e32 vcc_lo, 0, v4
	v_min_u32_e32 v2, 32, v2
	v_subrev_nc_u32_e32 v3, 28, v2
	v_sub_nc_u32_e32 v2, 29, v2
	v_lshlrev_b32_e32 v0, v3, v0
	v_lshlrev_b32_sdwa v3, v83, v13 dst_sel:DWORD dst_unused:UNUSED_PAD src0_sel:DWORD src1_sel:BYTE_1
	v_cndmask_b32_e32 v2, v4, v2, vcc_lo
	v_and_b32_e32 v0, 7, v0
	v_lshl_add_u32 v2, v2, 23, 0x3b800000
	v_cndmask_b32_e32 v0, v1, v0, vcc_lo
	v_and_b32_e32 v1, 0x80000000, v3
	v_lshlrev_b32_e32 v0, 20, v0
	v_or3_b32 v0, v1, v2, v0
.LBB6_9776:                             ;   in Loop: Header=BB6_9580 Depth=2
	s_or_b32 exec_lo, exec_lo, s29
	v_mul_f32_e32 v0, s28, v0
	v_and_b32_e32 v1, 0x7f800000, v0
	v_cmp_ne_u32_e32 vcc_lo, 0x7f800000, v1
	v_mov_b32_e32 v1, 0x8000
	s_and_saveexec_b32 s29, vcc_lo
	s_cbranch_execz .LBB6_9784
; %bb.9777:                             ;   in Loop: Header=BB6_9580 Depth=2
	v_mov_b32_e32 v1, 0
	s_mov_b32 s40, exec_lo
	v_cmpx_ne_u32_e32 0, v0
	s_cbranch_execz .LBB6_9783
; %bb.9778:                             ;   in Loop: Header=BB6_9580 Depth=2
	v_bfe_u32 v1, v0, 23, 8
	v_and_b32_e32 v2, 0x7fffff, v0
	v_sub_nc_u32_e32 v3, 0x78, v1
	v_cmp_gt_u32_e32 vcc_lo, 0x79, v1
	v_or_b32_e32 v4, 0x800000, v2
	v_cndmask_b32_e32 v3, 0, v3, vcc_lo
	v_cmp_eq_u32_e32 vcc_lo, 0, v1
	v_add_nc_u32_e32 v1, 0xffffff89, v1
	v_cndmask_b32_e64 v3, v3, 0x77, vcc_lo
	v_cndmask_b32_e32 v2, v4, v2, vcc_lo
	v_cndmask_b32_e64 v1, v1, 0xffffff8a, vcc_lo
	v_lshl_add_u32 v4, 0x100000, v3, -1
	v_lshrrev_b32_e32 v5, v3, v2
	v_lshlrev_b32_e64 v7, v3, 0x80000
	v_add_nc_u32_e32 v3, v3, v1
	v_and_b32_e32 v2, v4, v2
	v_bfe_u32 v6, v5, 20, 1
	v_cmp_eq_u32_e64 s13, v2, v7
	v_add_nc_u32_e32 v4, -1, v6
	v_cndmask_b32_e64 v2, 0, v4, s13
	v_lshrrev_b32_e32 v4, 23, v5
	s_mov_b32 s13, exec_lo
	v_add_nc_u32_e32 v2, v2, v5
	v_xor_b32_e32 v4, 1, v4
	v_and_b32_e32 v1, 0xfffff, v2
	v_add_nc_u32_e32 v2, v1, v5
                                        ; implicit-def: $vgpr1
	v_cmpx_ne_u32_e64 v3, v4
	s_xor_b32 s13, exec_lo, s13
; %bb.9779:                             ;   in Loop: Header=BB6_9580 Depth=2
	v_cmp_lt_u32_e32 vcc_lo, 0xffffff, v2
	v_sub_nc_u32_e32 v1, v3, v4
	v_cndmask_b32_e64 v3, 0, 1, vcc_lo
	v_add_co_ci_u32_e64 v1, null, 0, v1, vcc_lo
	v_lshrrev_b32_e32 v2, v3, v2
; %bb.9780:                             ;   in Loop: Header=BB6_9580 Depth=2
	s_andn2_saveexec_b32 s13, s13
; %bb.9781:                             ;   in Loop: Header=BB6_9580 Depth=2
	v_bfe_u32 v1, v2, 23, 1
; %bb.9782:                             ;   in Loop: Header=BB6_9580 Depth=2
	s_or_b32 exec_lo, exec_lo, s13
	v_lshrrev_b32_e32 v2, 20, v2
	v_min_i32_e32 v3, 15, v1
	v_cmp_gt_i32_e32 vcc_lo, 16, v1
	v_and_b32_sdwa v0, v0, v81 dst_sel:DWORD dst_unused:UNUSED_PAD src0_sel:BYTE_3 src1_sel:DWORD
	v_lshlrev_b32_e32 v3, 3, v3
	v_cndmask_b32_e32 v2, 7, v2, vcc_lo
	v_and_b32_e32 v3, 0xf8, v3
	v_and_b32_e32 v4, 7, v2
	v_or_b32_e32 v1, v1, v2
	v_or3_b32 v0, v0, v3, v4
	v_cmp_ne_u32_e32 vcc_lo, 0, v1
	v_lshlrev_b32_e32 v0, 8, v0
	v_cndmask_b32_e32 v1, 0, v0, vcc_lo
.LBB6_9783:                             ;   in Loop: Header=BB6_9580 Depth=2
	s_or_b32 exec_lo, exec_lo, s40
.LBB6_9784:                             ;   in Loop: Header=BB6_9580 Depth=2
	s_or_b32 exec_lo, exec_lo, s29
	buffer_store_dword v1, off, s[0:3], s33 offset:300 ; 4-byte Folded Spill
	v_and_b32_sdwa v1, v13, v86 dst_sel:DWORD dst_unused:UNUSED_PAD src0_sel:WORD_1 src1_sel:DWORD
	s_mov_b32 s13, 0
	s_mov_b32 s29, exec_lo
	v_cmpx_lt_i16_e32 0x7f, v1
	s_xor_b32 s29, exec_lo, s29
	s_cbranch_execz .LBB6_11406
; %bb.9785:                             ;   in Loop: Header=BB6_9580 Depth=2
	s_mov_b32 s13, -1
	s_mov_b32 s40, exec_lo
	v_cmpx_eq_u16_e32 0x80, v1
; %bb.9786:                             ;   in Loop: Header=BB6_9580 Depth=2
	s_xor_b32 s13, exec_lo, -1
; %bb.9787:                             ;   in Loop: Header=BB6_9580 Depth=2
	s_or_b32 exec_lo, exec_lo, s40
	s_and_b32 s13, s13, exec_lo
                                        ; implicit-def: $vgpr1
	s_or_saveexec_b32 s29, s29
	v_mov_b32_e32 v0, 0x7f800001
	s_xor_b32 exec_lo, exec_lo, s29
	s_cbranch_execnz .LBB6_11407
.LBB6_9788:                             ;   in Loop: Header=BB6_9580 Depth=2
	s_or_b32 exec_lo, exec_lo, s29
	s_and_saveexec_b32 s29, s13
	s_cbranch_execz .LBB6_9790
.LBB6_9789:                             ;   in Loop: Header=BB6_9580 Depth=2
	v_bfe_u32 v0, v13, 16, 3
	v_bfe_u32 v3, v13, 19, 4
	v_lshlrev_b32_e32 v4, 8, v13
	v_ffbh_u32_e32 v1, v0
	v_cmp_eq_u32_e32 vcc_lo, 0, v3
	v_min_u32_e32 v1, 32, v1
	v_subrev_nc_u32_e32 v2, 28, v1
	v_sub_nc_u32_e32 v1, 29, v1
	v_lshlrev_b32_sdwa v2, v2, v13 dst_sel:DWORD dst_unused:UNUSED_PAD src0_sel:DWORD src1_sel:WORD_1
	v_cndmask_b32_e32 v1, v3, v1, vcc_lo
	v_and_b32_e32 v2, 7, v2
	v_lshl_add_u32 v1, v1, 23, 0x3b800000
	v_cndmask_b32_e32 v0, v0, v2, vcc_lo
	v_and_b32_e32 v2, 0x80000000, v4
	v_lshlrev_b32_e32 v0, 20, v0
	v_or3_b32 v0, v2, v1, v0
.LBB6_9790:                             ;   in Loop: Header=BB6_9580 Depth=2
	s_or_b32 exec_lo, exec_lo, s29
	v_mul_f32_e32 v0, s28, v0
	v_and_b32_e32 v1, 0x7f800000, v0
	v_cmp_ne_u32_e32 vcc_lo, 0x7f800000, v1
	v_mov_b32_e32 v1, 0x80
	buffer_store_dword v1, off, s[0:3], s33 offset:244 ; 4-byte Folded Spill
	s_and_saveexec_b32 s29, vcc_lo
	s_cbranch_execz .LBB6_9798
; %bb.9791:                             ;   in Loop: Header=BB6_9580 Depth=2
	v_mov_b32_e32 v1, 0
	s_mov_b32 s40, exec_lo
	buffer_store_dword v1, off, s[0:3], s33 offset:244 ; 4-byte Folded Spill
	v_cmpx_ne_u32_e32 0, v0
	s_cbranch_execz .LBB6_9797
; %bb.9792:                             ;   in Loop: Header=BB6_9580 Depth=2
	v_bfe_u32 v1, v0, 23, 8
	v_and_b32_e32 v2, 0x7fffff, v0
	v_sub_nc_u32_e32 v3, 0x78, v1
	v_cmp_gt_u32_e32 vcc_lo, 0x79, v1
	v_or_b32_e32 v4, 0x800000, v2
	v_cndmask_b32_e32 v3, 0, v3, vcc_lo
	v_cmp_eq_u32_e32 vcc_lo, 0, v1
	v_add_nc_u32_e32 v1, 0xffffff89, v1
	v_cndmask_b32_e64 v3, v3, 0x77, vcc_lo
	v_cndmask_b32_e32 v2, v4, v2, vcc_lo
	v_cndmask_b32_e64 v1, v1, 0xffffff8a, vcc_lo
	v_lshl_add_u32 v4, 0x100000, v3, -1
	v_lshrrev_b32_e32 v5, v3, v2
	v_lshlrev_b32_e64 v7, v3, 0x80000
	v_add_nc_u32_e32 v3, v3, v1
	v_and_b32_e32 v2, v4, v2
	v_bfe_u32 v6, v5, 20, 1
	v_cmp_eq_u32_e64 s13, v2, v7
	v_add_nc_u32_e32 v4, -1, v6
	v_cndmask_b32_e64 v2, 0, v4, s13
	v_lshrrev_b32_e32 v4, 23, v5
	s_mov_b32 s13, exec_lo
	v_add_nc_u32_e32 v2, v2, v5
	v_xor_b32_e32 v4, 1, v4
	v_and_b32_e32 v1, 0xfffff, v2
	v_add_nc_u32_e32 v2, v1, v5
                                        ; implicit-def: $vgpr1
	v_cmpx_ne_u32_e64 v3, v4
	s_xor_b32 s13, exec_lo, s13
; %bb.9793:                             ;   in Loop: Header=BB6_9580 Depth=2
	v_cmp_lt_u32_e32 vcc_lo, 0xffffff, v2
	v_sub_nc_u32_e32 v1, v3, v4
	v_cndmask_b32_e64 v3, 0, 1, vcc_lo
	v_add_co_ci_u32_e64 v1, null, 0, v1, vcc_lo
	v_lshrrev_b32_e32 v2, v3, v2
; %bb.9794:                             ;   in Loop: Header=BB6_9580 Depth=2
	s_andn2_saveexec_b32 s13, s13
; %bb.9795:                             ;   in Loop: Header=BB6_9580 Depth=2
	v_bfe_u32 v1, v2, 23, 1
; %bb.9796:                             ;   in Loop: Header=BB6_9580 Depth=2
	s_or_b32 exec_lo, exec_lo, s13
	v_lshrrev_b32_e32 v2, 20, v2
	v_min_i32_e32 v3, 15, v1
	v_cmp_gt_i32_e32 vcc_lo, 16, v1
	v_and_b32_sdwa v0, v0, v81 dst_sel:DWORD dst_unused:UNUSED_PAD src0_sel:BYTE_3 src1_sel:DWORD
	v_lshlrev_b32_e32 v3, 3, v3
	v_cndmask_b32_e32 v2, 7, v2, vcc_lo
	v_and_b32_e32 v3, 0xf8, v3
	v_and_b32_e32 v4, 7, v2
	v_or_b32_e32 v1, v1, v2
	v_or3_b32 v0, v3, v0, v4
	v_cmp_ne_u32_e32 vcc_lo, 0, v1
	v_cndmask_b32_e32 v0, 0, v0, vcc_lo
	buffer_store_dword v0, off, s[0:3], s33 offset:244 ; 4-byte Folded Spill
.LBB6_9797:                             ;   in Loop: Header=BB6_9580 Depth=2
	s_or_b32 exec_lo, exec_lo, s40
.LBB6_9798:                             ;   in Loop: Header=BB6_9580 Depth=2
	s_or_b32 exec_lo, exec_lo, s29
	v_cmp_gt_i16_sdwa s29, v13, v80 src0_sel:BYTE_3 src1_sel:DWORD
	s_mov_b32 s13, 0
	s_and_saveexec_b32 s40, s29
	s_xor_b32 s29, exec_lo, s40
	s_cbranch_execz .LBB6_11408
; %bb.9799:                             ;   in Loop: Header=BB6_9580 Depth=2
	v_cmp_eq_u16_sdwa s41, v13, v81 src0_sel:BYTE_3 src1_sel:DWORD
	s_mov_b32 s13, -1
	s_and_saveexec_b32 s40, s41
; %bb.9800:                             ;   in Loop: Header=BB6_9580 Depth=2
	s_xor_b32 s13, exec_lo, -1
; %bb.9801:                             ;   in Loop: Header=BB6_9580 Depth=2
	s_or_b32 exec_lo, exec_lo, s40
	s_and_b32 s13, s13, exec_lo
	s_or_saveexec_b32 s29, s29
	v_mov_b32_e32 v0, 0x7f800001
	s_xor_b32 exec_lo, exec_lo, s29
	s_cbranch_execnz .LBB6_11409
.LBB6_9802:                             ;   in Loop: Header=BB6_9580 Depth=2
	s_or_b32 exec_lo, exec_lo, s29
	s_and_saveexec_b32 s29, s13
	s_cbranch_execz .LBB6_9804
.LBB6_9803:                             ;   in Loop: Header=BB6_9580 Depth=2
	v_bfe_u32 v0, v13, 24, 3
	v_bfe_u32 v3, v13, 27, 4
	v_ffbh_u32_e32 v1, v0
	v_cmp_eq_u32_e32 vcc_lo, 0, v3
	v_min_u32_e32 v1, 32, v1
	v_subrev_nc_u32_e32 v2, 28, v1
	v_sub_nc_u32_e32 v1, 29, v1
	v_lshlrev_b32_sdwa v2, v2, v13 dst_sel:DWORD dst_unused:UNUSED_PAD src0_sel:DWORD src1_sel:BYTE_3
	v_cndmask_b32_e32 v1, v3, v1, vcc_lo
	v_and_b32_e32 v2, 7, v2
	v_lshl_add_u32 v1, v1, 23, 0x3b800000
	v_cndmask_b32_e32 v0, v0, v2, vcc_lo
	v_and_b32_e32 v2, 0x80000000, v13
	v_lshlrev_b32_e32 v0, 20, v0
	v_or3_b32 v0, v2, v1, v0
.LBB6_9804:                             ;   in Loop: Header=BB6_9580 Depth=2
	s_or_b32 exec_lo, exec_lo, s29
	v_mul_f32_e32 v0, s28, v0
	v_and_b32_e32 v1, 0x7f800000, v0
	v_cmp_ne_u32_e32 vcc_lo, 0x7f800000, v1
	v_mov_b32_e32 v1, 0x8000
	s_and_saveexec_b32 s29, vcc_lo
	s_cbranch_execz .LBB6_9812
; %bb.9805:                             ;   in Loop: Header=BB6_9580 Depth=2
	v_mov_b32_e32 v1, 0
	s_mov_b32 s40, exec_lo
	v_cmpx_ne_u32_e32 0, v0
	s_cbranch_execz .LBB6_9811
; %bb.9806:                             ;   in Loop: Header=BB6_9580 Depth=2
	v_bfe_u32 v1, v0, 23, 8
	v_and_b32_e32 v2, 0x7fffff, v0
	v_sub_nc_u32_e32 v3, 0x78, v1
	v_cmp_gt_u32_e32 vcc_lo, 0x79, v1
	v_or_b32_e32 v4, 0x800000, v2
	v_cndmask_b32_e32 v3, 0, v3, vcc_lo
	v_cmp_eq_u32_e32 vcc_lo, 0, v1
	v_add_nc_u32_e32 v1, 0xffffff89, v1
	v_cndmask_b32_e64 v3, v3, 0x77, vcc_lo
	v_cndmask_b32_e32 v2, v4, v2, vcc_lo
	v_cndmask_b32_e64 v1, v1, 0xffffff8a, vcc_lo
	v_lshl_add_u32 v4, 0x100000, v3, -1
	v_lshrrev_b32_e32 v5, v3, v2
	v_lshlrev_b32_e64 v7, v3, 0x80000
	v_add_nc_u32_e32 v3, v3, v1
	v_and_b32_e32 v2, v4, v2
	v_bfe_u32 v6, v5, 20, 1
	v_cmp_eq_u32_e64 s13, v2, v7
	v_add_nc_u32_e32 v4, -1, v6
	v_cndmask_b32_e64 v2, 0, v4, s13
	v_lshrrev_b32_e32 v4, 23, v5
	s_mov_b32 s13, exec_lo
	v_add_nc_u32_e32 v2, v2, v5
	v_xor_b32_e32 v4, 1, v4
	v_and_b32_e32 v1, 0xfffff, v2
	v_add_nc_u32_e32 v2, v1, v5
                                        ; implicit-def: $vgpr1
	v_cmpx_ne_u32_e64 v3, v4
	s_xor_b32 s13, exec_lo, s13
; %bb.9807:                             ;   in Loop: Header=BB6_9580 Depth=2
	v_cmp_lt_u32_e32 vcc_lo, 0xffffff, v2
	v_sub_nc_u32_e32 v1, v3, v4
	v_cndmask_b32_e64 v3, 0, 1, vcc_lo
	v_add_co_ci_u32_e64 v1, null, 0, v1, vcc_lo
	v_lshrrev_b32_e32 v2, v3, v2
; %bb.9808:                             ;   in Loop: Header=BB6_9580 Depth=2
	s_andn2_saveexec_b32 s13, s13
; %bb.9809:                             ;   in Loop: Header=BB6_9580 Depth=2
	v_bfe_u32 v1, v2, 23, 1
; %bb.9810:                             ;   in Loop: Header=BB6_9580 Depth=2
	s_or_b32 exec_lo, exec_lo, s13
	v_lshrrev_b32_e32 v2, 20, v2
	v_min_i32_e32 v3, 15, v1
	v_cmp_gt_i32_e32 vcc_lo, 16, v1
	v_and_b32_sdwa v0, v0, v81 dst_sel:DWORD dst_unused:UNUSED_PAD src0_sel:BYTE_3 src1_sel:DWORD
	v_lshlrev_b32_e32 v3, 3, v3
	v_cndmask_b32_e32 v2, 7, v2, vcc_lo
	v_and_b32_e32 v3, 0xf8, v3
	v_and_b32_e32 v4, 7, v2
	v_or_b32_e32 v1, v1, v2
	v_or3_b32 v0, v0, v3, v4
	v_cmp_ne_u32_e32 vcc_lo, 0, v1
	v_lshlrev_b32_e32 v0, 8, v0
	v_cndmask_b32_e32 v1, 0, v0, vcc_lo
.LBB6_9811:                             ;   in Loop: Header=BB6_9580 Depth=2
	s_or_b32 exec_lo, exec_lo, s40
.LBB6_9812:                             ;   in Loop: Header=BB6_9580 Depth=2
	s_or_b32 exec_lo, exec_lo, s29
	buffer_store_dword v1, off, s[0:3], s33 offset:304 ; 4-byte Folded Spill
	buffer_store_dword v12, off, s[0:3], s33 offset:296 ; 4-byte Folded Spill
	;; [unrolled: 1-line block ×6, first 2 shown]
	global_load_dwordx4 v[10:13], v[54:55], off offset:512 slc
	s_mov_b32 s13, 0
	s_waitcnt vmcnt(0)
	v_cmp_gt_i16_sdwa s29, v10, v80 src0_sel:BYTE_0 src1_sel:DWORD
	s_and_saveexec_b32 s40, s29
	s_xor_b32 s29, exec_lo, s40
	s_cbranch_execz .LBB6_11410
; %bb.9813:                             ;   in Loop: Header=BB6_9580 Depth=2
	v_cmp_eq_u16_sdwa s41, v10, v81 src0_sel:BYTE_0 src1_sel:DWORD
	s_mov_b32 s13, -1
	s_and_saveexec_b32 s40, s41
; %bb.9814:                             ;   in Loop: Header=BB6_9580 Depth=2
	s_xor_b32 s13, exec_lo, -1
; %bb.9815:                             ;   in Loop: Header=BB6_9580 Depth=2
	s_or_b32 exec_lo, exec_lo, s40
	s_and_b32 s13, s13, exec_lo
	s_or_saveexec_b32 s29, s29
	v_mov_b32_e32 v0, 0x7f800001
	s_xor_b32 exec_lo, exec_lo, s29
	s_cbranch_execnz .LBB6_11411
.LBB6_9816:                             ;   in Loop: Header=BB6_9580 Depth=2
	s_or_b32 exec_lo, exec_lo, s29
	s_and_saveexec_b32 s29, s13
	s_cbranch_execz .LBB6_9818
.LBB6_9817:                             ;   in Loop: Header=BB6_9580 Depth=2
	v_and_b32_e32 v0, 7, v10
	v_bfe_u32 v3, v10, 3, 4
	v_lshlrev_b32_e32 v4, 24, v10
	v_ffbh_u32_e32 v1, v0
	v_cmp_eq_u32_e32 vcc_lo, 0, v3
	v_min_u32_e32 v1, 32, v1
	v_subrev_nc_u32_e32 v2, 28, v1
	v_sub_nc_u32_e32 v1, 29, v1
	v_lshlrev_b32_e32 v2, v2, v10
	v_cndmask_b32_e32 v1, v3, v1, vcc_lo
	v_and_b32_e32 v2, 7, v2
	v_lshl_add_u32 v1, v1, 23, 0x3b800000
	v_cndmask_b32_e32 v0, v0, v2, vcc_lo
	v_and_b32_e32 v2, 0x80000000, v4
	v_lshlrev_b32_e32 v0, 20, v0
	v_or3_b32 v0, v2, v1, v0
.LBB6_9818:                             ;   in Loop: Header=BB6_9580 Depth=2
	s_or_b32 exec_lo, exec_lo, s29
	v_mul_f32_e32 v0, s28, v0
	v_and_b32_e32 v1, 0x7f800000, v0
	v_cmp_ne_u32_e32 vcc_lo, 0x7f800000, v1
	v_mov_b32_e32 v1, 0x80
	buffer_store_dword v1, off, s[0:3], s33 offset:248 ; 4-byte Folded Spill
	s_and_saveexec_b32 s29, vcc_lo
	s_cbranch_execz .LBB6_9826
; %bb.9819:                             ;   in Loop: Header=BB6_9580 Depth=2
	v_mov_b32_e32 v1, 0
	s_mov_b32 s40, exec_lo
	buffer_store_dword v1, off, s[0:3], s33 offset:248 ; 4-byte Folded Spill
	v_cmpx_ne_u32_e32 0, v0
	s_cbranch_execz .LBB6_9825
; %bb.9820:                             ;   in Loop: Header=BB6_9580 Depth=2
	v_bfe_u32 v1, v0, 23, 8
	v_and_b32_e32 v2, 0x7fffff, v0
	v_sub_nc_u32_e32 v3, 0x78, v1
	v_cmp_gt_u32_e32 vcc_lo, 0x79, v1
	v_or_b32_e32 v4, 0x800000, v2
	v_cndmask_b32_e32 v3, 0, v3, vcc_lo
	v_cmp_eq_u32_e32 vcc_lo, 0, v1
	v_add_nc_u32_e32 v1, 0xffffff89, v1
	v_cndmask_b32_e64 v3, v3, 0x77, vcc_lo
	v_cndmask_b32_e32 v2, v4, v2, vcc_lo
	v_cndmask_b32_e64 v1, v1, 0xffffff8a, vcc_lo
	v_lshl_add_u32 v4, 0x100000, v3, -1
	v_lshrrev_b32_e32 v5, v3, v2
	v_lshlrev_b32_e64 v7, v3, 0x80000
	v_add_nc_u32_e32 v3, v3, v1
	v_and_b32_e32 v2, v4, v2
	v_bfe_u32 v6, v5, 20, 1
	v_cmp_eq_u32_e64 s13, v2, v7
	v_add_nc_u32_e32 v4, -1, v6
	v_cndmask_b32_e64 v2, 0, v4, s13
	v_lshrrev_b32_e32 v4, 23, v5
	s_mov_b32 s13, exec_lo
	v_add_nc_u32_e32 v2, v2, v5
	v_xor_b32_e32 v4, 1, v4
	v_and_b32_e32 v1, 0xfffff, v2
	v_add_nc_u32_e32 v2, v1, v5
                                        ; implicit-def: $vgpr1
	v_cmpx_ne_u32_e64 v3, v4
	s_xor_b32 s13, exec_lo, s13
; %bb.9821:                             ;   in Loop: Header=BB6_9580 Depth=2
	v_cmp_lt_u32_e32 vcc_lo, 0xffffff, v2
	v_sub_nc_u32_e32 v1, v3, v4
	v_cndmask_b32_e64 v3, 0, 1, vcc_lo
	v_add_co_ci_u32_e64 v1, null, 0, v1, vcc_lo
	v_lshrrev_b32_e32 v2, v3, v2
; %bb.9822:                             ;   in Loop: Header=BB6_9580 Depth=2
	s_andn2_saveexec_b32 s13, s13
; %bb.9823:                             ;   in Loop: Header=BB6_9580 Depth=2
	v_bfe_u32 v1, v2, 23, 1
; %bb.9824:                             ;   in Loop: Header=BB6_9580 Depth=2
	s_or_b32 exec_lo, exec_lo, s13
	v_lshrrev_b32_e32 v2, 20, v2
	v_min_i32_e32 v3, 15, v1
	v_cmp_gt_i32_e32 vcc_lo, 16, v1
	v_and_b32_sdwa v0, v0, v81 dst_sel:DWORD dst_unused:UNUSED_PAD src0_sel:BYTE_3 src1_sel:DWORD
	v_lshlrev_b32_e32 v3, 3, v3
	v_cndmask_b32_e32 v2, 7, v2, vcc_lo
	v_and_b32_e32 v3, 0xf8, v3
	v_and_b32_e32 v4, 7, v2
	v_or_b32_e32 v1, v1, v2
	v_or3_b32 v0, v3, v0, v4
	v_cmp_ne_u32_e32 vcc_lo, 0, v1
	v_cndmask_b32_e32 v0, 0, v0, vcc_lo
	buffer_store_dword v0, off, s[0:3], s33 offset:248 ; 4-byte Folded Spill
.LBB6_9825:                             ;   in Loop: Header=BB6_9580 Depth=2
	s_or_b32 exec_lo, exec_lo, s40
.LBB6_9826:                             ;   in Loop: Header=BB6_9580 Depth=2
	s_or_b32 exec_lo, exec_lo, s29
	v_cmp_gt_i16_sdwa s29, v10, v80 src0_sel:BYTE_1 src1_sel:DWORD
	s_mov_b32 s13, 0
	s_and_saveexec_b32 s40, s29
	s_xor_b32 s29, exec_lo, s40
	s_cbranch_execz .LBB6_11412
; %bb.9827:                             ;   in Loop: Header=BB6_9580 Depth=2
	v_cmp_eq_u16_sdwa s41, v10, v81 src0_sel:BYTE_1 src1_sel:DWORD
	s_mov_b32 s13, -1
	s_and_saveexec_b32 s40, s41
; %bb.9828:                             ;   in Loop: Header=BB6_9580 Depth=2
	s_xor_b32 s13, exec_lo, -1
; %bb.9829:                             ;   in Loop: Header=BB6_9580 Depth=2
	s_or_b32 exec_lo, exec_lo, s40
	s_and_b32 s13, s13, exec_lo
	s_or_saveexec_b32 s29, s29
	v_mov_b32_e32 v0, 0x7f800001
	s_xor_b32 exec_lo, exec_lo, s29
	s_cbranch_execnz .LBB6_11413
.LBB6_9830:                             ;   in Loop: Header=BB6_9580 Depth=2
	s_or_b32 exec_lo, exec_lo, s29
	s_and_saveexec_b32 s29, s13
	s_cbranch_execz .LBB6_9832
.LBB6_9831:                             ;   in Loop: Header=BB6_9580 Depth=2
	v_and_b32_sdwa v0, v82, v10 dst_sel:DWORD dst_unused:UNUSED_PAD src0_sel:DWORD src1_sel:BYTE_1
	v_and_b32_e32 v1, 7, v0
	v_bfe_u32 v4, v0, 3, 4
	v_ffbh_u32_e32 v2, v1
	v_cmp_eq_u32_e32 vcc_lo, 0, v4
	v_min_u32_e32 v2, 32, v2
	v_subrev_nc_u32_e32 v3, 28, v2
	v_sub_nc_u32_e32 v2, 29, v2
	v_lshlrev_b32_e32 v0, v3, v0
	v_lshlrev_b32_sdwa v3, v83, v10 dst_sel:DWORD dst_unused:UNUSED_PAD src0_sel:DWORD src1_sel:BYTE_1
	v_cndmask_b32_e32 v2, v4, v2, vcc_lo
	v_and_b32_e32 v0, 7, v0
	v_lshl_add_u32 v2, v2, 23, 0x3b800000
	v_cndmask_b32_e32 v0, v1, v0, vcc_lo
	v_and_b32_e32 v1, 0x80000000, v3
	v_lshlrev_b32_e32 v0, 20, v0
	v_or3_b32 v0, v1, v2, v0
.LBB6_9832:                             ;   in Loop: Header=BB6_9580 Depth=2
	s_or_b32 exec_lo, exec_lo, s29
	v_mul_f32_e32 v0, s28, v0
	v_and_b32_e32 v1, 0x7f800000, v0
	v_cmp_ne_u32_e32 vcc_lo, 0x7f800000, v1
	v_mov_b32_e32 v1, 0x8000
	s_and_saveexec_b32 s29, vcc_lo
	s_cbranch_execz .LBB6_9840
; %bb.9833:                             ;   in Loop: Header=BB6_9580 Depth=2
	v_mov_b32_e32 v1, 0
	s_mov_b32 s40, exec_lo
	v_cmpx_ne_u32_e32 0, v0
	s_cbranch_execz .LBB6_9839
; %bb.9834:                             ;   in Loop: Header=BB6_9580 Depth=2
	v_bfe_u32 v1, v0, 23, 8
	v_and_b32_e32 v2, 0x7fffff, v0
	v_sub_nc_u32_e32 v3, 0x78, v1
	v_cmp_gt_u32_e32 vcc_lo, 0x79, v1
	v_or_b32_e32 v4, 0x800000, v2
	v_cndmask_b32_e32 v3, 0, v3, vcc_lo
	v_cmp_eq_u32_e32 vcc_lo, 0, v1
	v_add_nc_u32_e32 v1, 0xffffff89, v1
	v_cndmask_b32_e64 v3, v3, 0x77, vcc_lo
	v_cndmask_b32_e32 v2, v4, v2, vcc_lo
	v_cndmask_b32_e64 v1, v1, 0xffffff8a, vcc_lo
	v_lshl_add_u32 v4, 0x100000, v3, -1
	v_lshrrev_b32_e32 v5, v3, v2
	v_lshlrev_b32_e64 v7, v3, 0x80000
	v_add_nc_u32_e32 v3, v3, v1
	v_and_b32_e32 v2, v4, v2
	v_bfe_u32 v6, v5, 20, 1
	v_cmp_eq_u32_e64 s13, v2, v7
	v_add_nc_u32_e32 v4, -1, v6
	v_cndmask_b32_e64 v2, 0, v4, s13
	v_lshrrev_b32_e32 v4, 23, v5
	s_mov_b32 s13, exec_lo
	v_add_nc_u32_e32 v2, v2, v5
	v_xor_b32_e32 v4, 1, v4
	v_and_b32_e32 v1, 0xfffff, v2
	v_add_nc_u32_e32 v2, v1, v5
                                        ; implicit-def: $vgpr1
	v_cmpx_ne_u32_e64 v3, v4
	s_xor_b32 s13, exec_lo, s13
; %bb.9835:                             ;   in Loop: Header=BB6_9580 Depth=2
	v_cmp_lt_u32_e32 vcc_lo, 0xffffff, v2
	v_sub_nc_u32_e32 v1, v3, v4
	v_cndmask_b32_e64 v3, 0, 1, vcc_lo
	v_add_co_ci_u32_e64 v1, null, 0, v1, vcc_lo
	v_lshrrev_b32_e32 v2, v3, v2
; %bb.9836:                             ;   in Loop: Header=BB6_9580 Depth=2
	s_andn2_saveexec_b32 s13, s13
; %bb.9837:                             ;   in Loop: Header=BB6_9580 Depth=2
	v_bfe_u32 v1, v2, 23, 1
; %bb.9838:                             ;   in Loop: Header=BB6_9580 Depth=2
	s_or_b32 exec_lo, exec_lo, s13
	v_lshrrev_b32_e32 v2, 20, v2
	v_min_i32_e32 v3, 15, v1
	v_cmp_gt_i32_e32 vcc_lo, 16, v1
	v_and_b32_sdwa v0, v0, v81 dst_sel:DWORD dst_unused:UNUSED_PAD src0_sel:BYTE_3 src1_sel:DWORD
	v_lshlrev_b32_e32 v3, 3, v3
	v_cndmask_b32_e32 v2, 7, v2, vcc_lo
	v_and_b32_e32 v3, 0xf8, v3
	v_and_b32_e32 v4, 7, v2
	v_or_b32_e32 v1, v1, v2
	v_or3_b32 v0, v0, v3, v4
	v_cmp_ne_u32_e32 vcc_lo, 0, v1
	v_lshlrev_b32_e32 v0, 8, v0
	v_cndmask_b32_e32 v1, 0, v0, vcc_lo
.LBB6_9839:                             ;   in Loop: Header=BB6_9580 Depth=2
	s_or_b32 exec_lo, exec_lo, s40
.LBB6_9840:                             ;   in Loop: Header=BB6_9580 Depth=2
	s_or_b32 exec_lo, exec_lo, s29
	buffer_store_dword v1, off, s[0:3], s33 offset:308 ; 4-byte Folded Spill
	v_and_b32_sdwa v1, v10, v86 dst_sel:DWORD dst_unused:UNUSED_PAD src0_sel:WORD_1 src1_sel:DWORD
	s_mov_b32 s13, 0
	s_mov_b32 s29, exec_lo
	v_cmpx_lt_i16_e32 0x7f, v1
	s_xor_b32 s29, exec_lo, s29
	s_cbranch_execz .LBB6_11414
; %bb.9841:                             ;   in Loop: Header=BB6_9580 Depth=2
	s_mov_b32 s13, -1
	s_mov_b32 s40, exec_lo
	v_cmpx_eq_u16_e32 0x80, v1
; %bb.9842:                             ;   in Loop: Header=BB6_9580 Depth=2
	s_xor_b32 s13, exec_lo, -1
; %bb.9843:                             ;   in Loop: Header=BB6_9580 Depth=2
	s_or_b32 exec_lo, exec_lo, s40
	s_and_b32 s13, s13, exec_lo
                                        ; implicit-def: $vgpr1
	s_or_saveexec_b32 s29, s29
	v_mov_b32_e32 v0, 0x7f800001
	s_xor_b32 exec_lo, exec_lo, s29
	s_cbranch_execnz .LBB6_11415
.LBB6_9844:                             ;   in Loop: Header=BB6_9580 Depth=2
	s_or_b32 exec_lo, exec_lo, s29
	s_and_saveexec_b32 s29, s13
	s_cbranch_execz .LBB6_9846
.LBB6_9845:                             ;   in Loop: Header=BB6_9580 Depth=2
	v_bfe_u32 v0, v10, 16, 3
	v_bfe_u32 v3, v10, 19, 4
	v_lshlrev_b32_e32 v4, 8, v10
	v_ffbh_u32_e32 v1, v0
	v_cmp_eq_u32_e32 vcc_lo, 0, v3
	v_min_u32_e32 v1, 32, v1
	v_subrev_nc_u32_e32 v2, 28, v1
	v_sub_nc_u32_e32 v1, 29, v1
	v_lshlrev_b32_sdwa v2, v2, v10 dst_sel:DWORD dst_unused:UNUSED_PAD src0_sel:DWORD src1_sel:WORD_1
	v_cndmask_b32_e32 v1, v3, v1, vcc_lo
	v_and_b32_e32 v2, 7, v2
	v_lshl_add_u32 v1, v1, 23, 0x3b800000
	v_cndmask_b32_e32 v0, v0, v2, vcc_lo
	v_and_b32_e32 v2, 0x80000000, v4
	v_lshlrev_b32_e32 v0, 20, v0
	v_or3_b32 v0, v2, v1, v0
.LBB6_9846:                             ;   in Loop: Header=BB6_9580 Depth=2
	s_or_b32 exec_lo, exec_lo, s29
	v_mul_f32_e32 v0, s28, v0
	v_and_b32_e32 v1, 0x7f800000, v0
	v_cmp_ne_u32_e32 vcc_lo, 0x7f800000, v1
	v_mov_b32_e32 v1, 0x80
	buffer_store_dword v1, off, s[0:3], s33 offset:252 ; 4-byte Folded Spill
	s_and_saveexec_b32 s29, vcc_lo
	s_cbranch_execz .LBB6_9854
; %bb.9847:                             ;   in Loop: Header=BB6_9580 Depth=2
	v_mov_b32_e32 v1, 0
	s_mov_b32 s40, exec_lo
	buffer_store_dword v1, off, s[0:3], s33 offset:252 ; 4-byte Folded Spill
	v_cmpx_ne_u32_e32 0, v0
	s_cbranch_execz .LBB6_9853
; %bb.9848:                             ;   in Loop: Header=BB6_9580 Depth=2
	v_bfe_u32 v1, v0, 23, 8
	v_and_b32_e32 v2, 0x7fffff, v0
	v_sub_nc_u32_e32 v3, 0x78, v1
	v_cmp_gt_u32_e32 vcc_lo, 0x79, v1
	v_or_b32_e32 v4, 0x800000, v2
	v_cndmask_b32_e32 v3, 0, v3, vcc_lo
	v_cmp_eq_u32_e32 vcc_lo, 0, v1
	v_add_nc_u32_e32 v1, 0xffffff89, v1
	v_cndmask_b32_e64 v3, v3, 0x77, vcc_lo
	v_cndmask_b32_e32 v2, v4, v2, vcc_lo
	v_cndmask_b32_e64 v1, v1, 0xffffff8a, vcc_lo
	v_lshl_add_u32 v4, 0x100000, v3, -1
	v_lshrrev_b32_e32 v5, v3, v2
	v_lshlrev_b32_e64 v7, v3, 0x80000
	v_add_nc_u32_e32 v3, v3, v1
	v_and_b32_e32 v2, v4, v2
	v_bfe_u32 v6, v5, 20, 1
	v_cmp_eq_u32_e64 s13, v2, v7
	v_add_nc_u32_e32 v4, -1, v6
	v_cndmask_b32_e64 v2, 0, v4, s13
	v_lshrrev_b32_e32 v4, 23, v5
	s_mov_b32 s13, exec_lo
	v_add_nc_u32_e32 v2, v2, v5
	v_xor_b32_e32 v4, 1, v4
	v_and_b32_e32 v1, 0xfffff, v2
	v_add_nc_u32_e32 v2, v1, v5
                                        ; implicit-def: $vgpr1
	v_cmpx_ne_u32_e64 v3, v4
	s_xor_b32 s13, exec_lo, s13
; %bb.9849:                             ;   in Loop: Header=BB6_9580 Depth=2
	v_cmp_lt_u32_e32 vcc_lo, 0xffffff, v2
	v_sub_nc_u32_e32 v1, v3, v4
	v_cndmask_b32_e64 v3, 0, 1, vcc_lo
	v_add_co_ci_u32_e64 v1, null, 0, v1, vcc_lo
	v_lshrrev_b32_e32 v2, v3, v2
; %bb.9850:                             ;   in Loop: Header=BB6_9580 Depth=2
	s_andn2_saveexec_b32 s13, s13
; %bb.9851:                             ;   in Loop: Header=BB6_9580 Depth=2
	v_bfe_u32 v1, v2, 23, 1
; %bb.9852:                             ;   in Loop: Header=BB6_9580 Depth=2
	s_or_b32 exec_lo, exec_lo, s13
	v_lshrrev_b32_e32 v2, 20, v2
	v_min_i32_e32 v3, 15, v1
	v_cmp_gt_i32_e32 vcc_lo, 16, v1
	v_and_b32_sdwa v0, v0, v81 dst_sel:DWORD dst_unused:UNUSED_PAD src0_sel:BYTE_3 src1_sel:DWORD
	v_lshlrev_b32_e32 v3, 3, v3
	v_cndmask_b32_e32 v2, 7, v2, vcc_lo
	v_and_b32_e32 v3, 0xf8, v3
	v_and_b32_e32 v4, 7, v2
	v_or_b32_e32 v1, v1, v2
	v_or3_b32 v0, v3, v0, v4
	v_cmp_ne_u32_e32 vcc_lo, 0, v1
	v_cndmask_b32_e32 v0, 0, v0, vcc_lo
	buffer_store_dword v0, off, s[0:3], s33 offset:252 ; 4-byte Folded Spill
.LBB6_9853:                             ;   in Loop: Header=BB6_9580 Depth=2
	s_or_b32 exec_lo, exec_lo, s40
.LBB6_9854:                             ;   in Loop: Header=BB6_9580 Depth=2
	s_or_b32 exec_lo, exec_lo, s29
	v_cmp_gt_i16_sdwa s29, v10, v80 src0_sel:BYTE_3 src1_sel:DWORD
	s_mov_b32 s13, 0
	s_and_saveexec_b32 s40, s29
	s_xor_b32 s29, exec_lo, s40
	s_cbranch_execz .LBB6_11416
; %bb.9855:                             ;   in Loop: Header=BB6_9580 Depth=2
	v_cmp_eq_u16_sdwa s41, v10, v81 src0_sel:BYTE_3 src1_sel:DWORD
	s_mov_b32 s13, -1
	s_and_saveexec_b32 s40, s41
; %bb.9856:                             ;   in Loop: Header=BB6_9580 Depth=2
	s_xor_b32 s13, exec_lo, -1
; %bb.9857:                             ;   in Loop: Header=BB6_9580 Depth=2
	s_or_b32 exec_lo, exec_lo, s40
	s_and_b32 s13, s13, exec_lo
	s_or_saveexec_b32 s29, s29
	v_mov_b32_e32 v0, 0x7f800001
	s_xor_b32 exec_lo, exec_lo, s29
	s_cbranch_execnz .LBB6_11417
.LBB6_9858:                             ;   in Loop: Header=BB6_9580 Depth=2
	s_or_b32 exec_lo, exec_lo, s29
	s_and_saveexec_b32 s29, s13
	s_cbranch_execz .LBB6_9860
.LBB6_9859:                             ;   in Loop: Header=BB6_9580 Depth=2
	v_bfe_u32 v0, v10, 24, 3
	v_bfe_u32 v3, v10, 27, 4
	v_ffbh_u32_e32 v1, v0
	v_cmp_eq_u32_e32 vcc_lo, 0, v3
	v_min_u32_e32 v1, 32, v1
	v_subrev_nc_u32_e32 v2, 28, v1
	v_sub_nc_u32_e32 v1, 29, v1
	v_lshlrev_b32_sdwa v2, v2, v10 dst_sel:DWORD dst_unused:UNUSED_PAD src0_sel:DWORD src1_sel:BYTE_3
	v_cndmask_b32_e32 v1, v3, v1, vcc_lo
	v_and_b32_e32 v2, 7, v2
	v_lshl_add_u32 v1, v1, 23, 0x3b800000
	v_cndmask_b32_e32 v0, v0, v2, vcc_lo
	v_and_b32_e32 v2, 0x80000000, v10
	v_lshlrev_b32_e32 v0, 20, v0
	v_or3_b32 v0, v2, v1, v0
.LBB6_9860:                             ;   in Loop: Header=BB6_9580 Depth=2
	s_or_b32 exec_lo, exec_lo, s29
	v_mul_f32_e32 v0, s28, v0
	v_mov_b32_e32 v8, 0x8000
	s_mov_b32 s29, exec_lo
	v_and_b32_e32 v1, 0x7f800000, v0
	v_cmpx_ne_u32_e32 0x7f800000, v1
	s_cbranch_execz .LBB6_9868
; %bb.9861:                             ;   in Loop: Header=BB6_9580 Depth=2
	v_mov_b32_e32 v8, 0
	s_mov_b32 s40, exec_lo
	v_cmpx_ne_u32_e32 0, v0
	s_cbranch_execz .LBB6_9867
; %bb.9862:                             ;   in Loop: Header=BB6_9580 Depth=2
	v_bfe_u32 v1, v0, 23, 8
	v_and_b32_e32 v2, 0x7fffff, v0
	v_sub_nc_u32_e32 v3, 0x78, v1
	v_cmp_gt_u32_e32 vcc_lo, 0x79, v1
	v_or_b32_e32 v4, 0x800000, v2
	v_cndmask_b32_e32 v3, 0, v3, vcc_lo
	v_cmp_eq_u32_e32 vcc_lo, 0, v1
	v_add_nc_u32_e32 v1, 0xffffff89, v1
	v_cndmask_b32_e64 v3, v3, 0x77, vcc_lo
	v_cndmask_b32_e32 v2, v4, v2, vcc_lo
	v_cndmask_b32_e64 v1, v1, 0xffffff8a, vcc_lo
	v_lshl_add_u32 v4, 0x100000, v3, -1
	v_lshrrev_b32_e32 v5, v3, v2
	v_lshlrev_b32_e64 v7, v3, 0x80000
	v_add_nc_u32_e32 v3, v3, v1
	v_and_b32_e32 v2, v4, v2
	v_bfe_u32 v6, v5, 20, 1
	v_cmp_eq_u32_e64 s13, v2, v7
	v_add_nc_u32_e32 v4, -1, v6
	v_cndmask_b32_e64 v2, 0, v4, s13
	v_lshrrev_b32_e32 v4, 23, v5
	s_mov_b32 s13, exec_lo
	v_add_nc_u32_e32 v2, v2, v5
	v_xor_b32_e32 v4, 1, v4
	v_and_b32_e32 v1, 0xfffff, v2
	v_add_nc_u32_e32 v2, v1, v5
                                        ; implicit-def: $vgpr1
	v_cmpx_ne_u32_e64 v3, v4
	s_xor_b32 s13, exec_lo, s13
; %bb.9863:                             ;   in Loop: Header=BB6_9580 Depth=2
	v_cmp_lt_u32_e32 vcc_lo, 0xffffff, v2
	v_sub_nc_u32_e32 v1, v3, v4
	v_cndmask_b32_e64 v3, 0, 1, vcc_lo
	v_add_co_ci_u32_e64 v1, null, 0, v1, vcc_lo
	v_lshrrev_b32_e32 v2, v3, v2
; %bb.9864:                             ;   in Loop: Header=BB6_9580 Depth=2
	s_andn2_saveexec_b32 s13, s13
; %bb.9865:                             ;   in Loop: Header=BB6_9580 Depth=2
	v_bfe_u32 v1, v2, 23, 1
; %bb.9866:                             ;   in Loop: Header=BB6_9580 Depth=2
	s_or_b32 exec_lo, exec_lo, s13
	v_lshrrev_b32_e32 v2, 20, v2
	v_min_i32_e32 v3, 15, v1
	v_cmp_gt_i32_e32 vcc_lo, 16, v1
	v_and_b32_sdwa v0, v0, v81 dst_sel:DWORD dst_unused:UNUSED_PAD src0_sel:BYTE_3 src1_sel:DWORD
	v_lshlrev_b32_e32 v3, 3, v3
	v_cndmask_b32_e32 v2, 7, v2, vcc_lo
	v_and_b32_e32 v3, 0xf8, v3
	v_and_b32_e32 v4, 7, v2
	v_or_b32_e32 v1, v1, v2
	v_or3_b32 v0, v0, v3, v4
	v_cmp_ne_u32_e32 vcc_lo, 0, v1
	v_lshlrev_b32_e32 v0, 8, v0
	v_cndmask_b32_e32 v8, 0, v0, vcc_lo
.LBB6_9867:                             ;   in Loop: Header=BB6_9580 Depth=2
	s_or_b32 exec_lo, exec_lo, s40
.LBB6_9868:                             ;   in Loop: Header=BB6_9580 Depth=2
	s_or_b32 exec_lo, exec_lo, s29
	v_cmp_gt_i16_sdwa s29, v11, v80 src0_sel:BYTE_0 src1_sel:DWORD
	s_mov_b32 s13, 0
	s_and_saveexec_b32 s40, s29
	s_xor_b32 s29, exec_lo, s40
	s_cbranch_execz .LBB6_11418
; %bb.9869:                             ;   in Loop: Header=BB6_9580 Depth=2
	v_cmp_eq_u16_sdwa s41, v11, v81 src0_sel:BYTE_0 src1_sel:DWORD
	s_mov_b32 s13, -1
	s_and_saveexec_b32 s40, s41
; %bb.9870:                             ;   in Loop: Header=BB6_9580 Depth=2
	s_xor_b32 s13, exec_lo, -1
; %bb.9871:                             ;   in Loop: Header=BB6_9580 Depth=2
	s_or_b32 exec_lo, exec_lo, s40
	s_and_b32 s13, s13, exec_lo
	s_or_saveexec_b32 s29, s29
	v_mov_b32_e32 v0, 0x7f800001
	s_xor_b32 exec_lo, exec_lo, s29
	s_cbranch_execnz .LBB6_11419
.LBB6_9872:                             ;   in Loop: Header=BB6_9580 Depth=2
	s_or_b32 exec_lo, exec_lo, s29
	s_and_saveexec_b32 s29, s13
	s_cbranch_execz .LBB6_9874
.LBB6_9873:                             ;   in Loop: Header=BB6_9580 Depth=2
	v_and_b32_e32 v0, 7, v11
	v_bfe_u32 v3, v11, 3, 4
	v_lshlrev_b32_e32 v4, 24, v11
	v_ffbh_u32_e32 v1, v0
	v_cmp_eq_u32_e32 vcc_lo, 0, v3
	v_min_u32_e32 v1, 32, v1
	v_subrev_nc_u32_e32 v2, 28, v1
	v_sub_nc_u32_e32 v1, 29, v1
	v_lshlrev_b32_e32 v2, v2, v11
	v_cndmask_b32_e32 v1, v3, v1, vcc_lo
	v_and_b32_e32 v2, 7, v2
	v_lshl_add_u32 v1, v1, 23, 0x3b800000
	v_cndmask_b32_e32 v0, v0, v2, vcc_lo
	v_and_b32_e32 v2, 0x80000000, v4
	v_lshlrev_b32_e32 v0, 20, v0
	v_or3_b32 v0, v2, v1, v0
.LBB6_9874:                             ;   in Loop: Header=BB6_9580 Depth=2
	s_or_b32 exec_lo, exec_lo, s29
	v_mul_f32_e32 v0, s28, v0
	v_mov_b32_e32 v9, 0x80
	s_mov_b32 s29, exec_lo
	v_and_b32_e32 v1, 0x7f800000, v0
	v_cmpx_ne_u32_e32 0x7f800000, v1
	s_cbranch_execz .LBB6_9882
; %bb.9875:                             ;   in Loop: Header=BB6_9580 Depth=2
	v_mov_b32_e32 v9, 0
	s_mov_b32 s40, exec_lo
	v_cmpx_ne_u32_e32 0, v0
	s_cbranch_execz .LBB6_9881
; %bb.9876:                             ;   in Loop: Header=BB6_9580 Depth=2
	v_bfe_u32 v1, v0, 23, 8
	v_and_b32_e32 v2, 0x7fffff, v0
	v_sub_nc_u32_e32 v3, 0x78, v1
	v_cmp_gt_u32_e32 vcc_lo, 0x79, v1
	v_or_b32_e32 v4, 0x800000, v2
	v_cndmask_b32_e32 v3, 0, v3, vcc_lo
	v_cmp_eq_u32_e32 vcc_lo, 0, v1
	v_add_nc_u32_e32 v1, 0xffffff89, v1
	v_cndmask_b32_e64 v3, v3, 0x77, vcc_lo
	v_cndmask_b32_e32 v2, v4, v2, vcc_lo
	v_cndmask_b32_e64 v1, v1, 0xffffff8a, vcc_lo
	v_lshl_add_u32 v4, 0x100000, v3, -1
	v_lshrrev_b32_e32 v5, v3, v2
	v_lshlrev_b32_e64 v7, v3, 0x80000
	v_add_nc_u32_e32 v3, v3, v1
	v_and_b32_e32 v2, v4, v2
	v_bfe_u32 v6, v5, 20, 1
	v_cmp_eq_u32_e64 s13, v2, v7
	v_add_nc_u32_e32 v4, -1, v6
	v_cndmask_b32_e64 v2, 0, v4, s13
	v_lshrrev_b32_e32 v4, 23, v5
	s_mov_b32 s13, exec_lo
	v_add_nc_u32_e32 v2, v2, v5
	v_xor_b32_e32 v4, 1, v4
	v_and_b32_e32 v1, 0xfffff, v2
	v_add_nc_u32_e32 v2, v1, v5
                                        ; implicit-def: $vgpr1
	v_cmpx_ne_u32_e64 v3, v4
	s_xor_b32 s13, exec_lo, s13
; %bb.9877:                             ;   in Loop: Header=BB6_9580 Depth=2
	v_cmp_lt_u32_e32 vcc_lo, 0xffffff, v2
	v_sub_nc_u32_e32 v1, v3, v4
	v_cndmask_b32_e64 v3, 0, 1, vcc_lo
	v_add_co_ci_u32_e64 v1, null, 0, v1, vcc_lo
	v_lshrrev_b32_e32 v2, v3, v2
; %bb.9878:                             ;   in Loop: Header=BB6_9580 Depth=2
	s_andn2_saveexec_b32 s13, s13
; %bb.9879:                             ;   in Loop: Header=BB6_9580 Depth=2
	v_bfe_u32 v1, v2, 23, 1
; %bb.9880:                             ;   in Loop: Header=BB6_9580 Depth=2
	s_or_b32 exec_lo, exec_lo, s13
	v_lshrrev_b32_e32 v2, 20, v2
	v_min_i32_e32 v3, 15, v1
	v_cmp_gt_i32_e32 vcc_lo, 16, v1
	v_and_b32_sdwa v0, v0, v81 dst_sel:DWORD dst_unused:UNUSED_PAD src0_sel:BYTE_3 src1_sel:DWORD
	v_lshlrev_b32_e32 v3, 3, v3
	v_cndmask_b32_e32 v2, 7, v2, vcc_lo
	v_and_b32_e32 v3, 0xf8, v3
	v_and_b32_e32 v4, 7, v2
	v_or_b32_e32 v1, v1, v2
	v_or3_b32 v0, v3, v0, v4
	v_cmp_ne_u32_e32 vcc_lo, 0, v1
	v_cndmask_b32_e32 v9, 0, v0, vcc_lo
.LBB6_9881:                             ;   in Loop: Header=BB6_9580 Depth=2
	s_or_b32 exec_lo, exec_lo, s40
.LBB6_9882:                             ;   in Loop: Header=BB6_9580 Depth=2
	s_or_b32 exec_lo, exec_lo, s29
	v_cmp_gt_i16_sdwa s29, v11, v80 src0_sel:BYTE_1 src1_sel:DWORD
	s_mov_b32 s13, 0
	s_and_saveexec_b32 s40, s29
	s_xor_b32 s29, exec_lo, s40
	s_cbranch_execz .LBB6_11420
; %bb.9883:                             ;   in Loop: Header=BB6_9580 Depth=2
	v_cmp_eq_u16_sdwa s41, v11, v81 src0_sel:BYTE_1 src1_sel:DWORD
	s_mov_b32 s13, -1
	s_and_saveexec_b32 s40, s41
; %bb.9884:                             ;   in Loop: Header=BB6_9580 Depth=2
	s_xor_b32 s13, exec_lo, -1
; %bb.9885:                             ;   in Loop: Header=BB6_9580 Depth=2
	s_or_b32 exec_lo, exec_lo, s40
	s_and_b32 s13, s13, exec_lo
	s_or_saveexec_b32 s29, s29
	v_mov_b32_e32 v0, 0x7f800001
	s_xor_b32 exec_lo, exec_lo, s29
	s_cbranch_execnz .LBB6_11421
.LBB6_9886:                             ;   in Loop: Header=BB6_9580 Depth=2
	s_or_b32 exec_lo, exec_lo, s29
	s_and_saveexec_b32 s29, s13
	s_cbranch_execz .LBB6_9888
.LBB6_9887:                             ;   in Loop: Header=BB6_9580 Depth=2
	v_and_b32_sdwa v0, v82, v11 dst_sel:DWORD dst_unused:UNUSED_PAD src0_sel:DWORD src1_sel:BYTE_1
	v_and_b32_e32 v1, 7, v0
	v_bfe_u32 v4, v0, 3, 4
	v_ffbh_u32_e32 v2, v1
	v_cmp_eq_u32_e32 vcc_lo, 0, v4
	v_min_u32_e32 v2, 32, v2
	v_subrev_nc_u32_e32 v3, 28, v2
	v_sub_nc_u32_e32 v2, 29, v2
	v_lshlrev_b32_e32 v0, v3, v0
	v_lshlrev_b32_sdwa v3, v83, v11 dst_sel:DWORD dst_unused:UNUSED_PAD src0_sel:DWORD src1_sel:BYTE_1
	v_cndmask_b32_e32 v2, v4, v2, vcc_lo
	v_and_b32_e32 v0, 7, v0
	v_lshl_add_u32 v2, v2, 23, 0x3b800000
	v_cndmask_b32_e32 v0, v1, v0, vcc_lo
	v_and_b32_e32 v1, 0x80000000, v3
	v_lshlrev_b32_e32 v0, 20, v0
	v_or3_b32 v0, v1, v2, v0
.LBB6_9888:                             ;   in Loop: Header=BB6_9580 Depth=2
	s_or_b32 exec_lo, exec_lo, s29
	v_mul_f32_e32 v0, s28, v0
	v_and_b32_e32 v1, 0x7f800000, v0
	v_cmp_ne_u32_e32 vcc_lo, 0x7f800000, v1
	v_mov_b32_e32 v1, 0x8000
	s_and_saveexec_b32 s29, vcc_lo
	s_cbranch_execz .LBB6_9896
; %bb.9889:                             ;   in Loop: Header=BB6_9580 Depth=2
	v_mov_b32_e32 v1, 0
	s_mov_b32 s40, exec_lo
	v_cmpx_ne_u32_e32 0, v0
	s_cbranch_execz .LBB6_9895
; %bb.9890:                             ;   in Loop: Header=BB6_9580 Depth=2
	v_bfe_u32 v1, v0, 23, 8
	v_and_b32_e32 v2, 0x7fffff, v0
	v_sub_nc_u32_e32 v3, 0x78, v1
	v_cmp_gt_u32_e32 vcc_lo, 0x79, v1
	v_or_b32_e32 v4, 0x800000, v2
	v_cndmask_b32_e32 v3, 0, v3, vcc_lo
	v_cmp_eq_u32_e32 vcc_lo, 0, v1
	v_add_nc_u32_e32 v1, 0xffffff89, v1
	v_cndmask_b32_e64 v3, v3, 0x77, vcc_lo
	v_cndmask_b32_e32 v2, v4, v2, vcc_lo
	v_cndmask_b32_e64 v1, v1, 0xffffff8a, vcc_lo
	v_lshl_add_u32 v4, 0x100000, v3, -1
	v_lshrrev_b32_e32 v5, v3, v2
	v_lshlrev_b32_e64 v7, v3, 0x80000
	v_add_nc_u32_e32 v3, v3, v1
	v_and_b32_e32 v2, v4, v2
	v_bfe_u32 v6, v5, 20, 1
	v_cmp_eq_u32_e64 s13, v2, v7
	v_add_nc_u32_e32 v4, -1, v6
	v_cndmask_b32_e64 v2, 0, v4, s13
	v_lshrrev_b32_e32 v4, 23, v5
	s_mov_b32 s13, exec_lo
	v_add_nc_u32_e32 v2, v2, v5
	v_xor_b32_e32 v4, 1, v4
	v_and_b32_e32 v1, 0xfffff, v2
	v_add_nc_u32_e32 v2, v1, v5
                                        ; implicit-def: $vgpr1
	v_cmpx_ne_u32_e64 v3, v4
	s_xor_b32 s13, exec_lo, s13
; %bb.9891:                             ;   in Loop: Header=BB6_9580 Depth=2
	v_cmp_lt_u32_e32 vcc_lo, 0xffffff, v2
	v_sub_nc_u32_e32 v1, v3, v4
	v_cndmask_b32_e64 v3, 0, 1, vcc_lo
	v_add_co_ci_u32_e64 v1, null, 0, v1, vcc_lo
	v_lshrrev_b32_e32 v2, v3, v2
; %bb.9892:                             ;   in Loop: Header=BB6_9580 Depth=2
	s_andn2_saveexec_b32 s13, s13
; %bb.9893:                             ;   in Loop: Header=BB6_9580 Depth=2
	v_bfe_u32 v1, v2, 23, 1
; %bb.9894:                             ;   in Loop: Header=BB6_9580 Depth=2
	s_or_b32 exec_lo, exec_lo, s13
	v_lshrrev_b32_e32 v2, 20, v2
	v_min_i32_e32 v3, 15, v1
	v_cmp_gt_i32_e32 vcc_lo, 16, v1
	v_and_b32_sdwa v0, v0, v81 dst_sel:DWORD dst_unused:UNUSED_PAD src0_sel:BYTE_3 src1_sel:DWORD
	v_lshlrev_b32_e32 v3, 3, v3
	v_cndmask_b32_e32 v2, 7, v2, vcc_lo
	v_and_b32_e32 v3, 0xf8, v3
	v_and_b32_e32 v4, 7, v2
	v_or_b32_e32 v1, v1, v2
	v_or3_b32 v0, v0, v3, v4
	v_cmp_ne_u32_e32 vcc_lo, 0, v1
	v_lshlrev_b32_e32 v0, 8, v0
	v_cndmask_b32_e32 v1, 0, v0, vcc_lo
.LBB6_9895:                             ;   in Loop: Header=BB6_9580 Depth=2
	s_or_b32 exec_lo, exec_lo, s40
.LBB6_9896:                             ;   in Loop: Header=BB6_9580 Depth=2
	s_or_b32 exec_lo, exec_lo, s29
	buffer_store_dword v1, off, s[0:3], s33 offset:320 ; 4-byte Folded Spill
	v_and_b32_sdwa v1, v11, v86 dst_sel:DWORD dst_unused:UNUSED_PAD src0_sel:WORD_1 src1_sel:DWORD
	s_mov_b32 s13, 0
	s_mov_b32 s29, exec_lo
	v_cmpx_lt_i16_e32 0x7f, v1
	s_xor_b32 s29, exec_lo, s29
	s_cbranch_execz .LBB6_11422
; %bb.9897:                             ;   in Loop: Header=BB6_9580 Depth=2
	s_mov_b32 s13, -1
	s_mov_b32 s40, exec_lo
	v_cmpx_eq_u16_e32 0x80, v1
; %bb.9898:                             ;   in Loop: Header=BB6_9580 Depth=2
	s_xor_b32 s13, exec_lo, -1
; %bb.9899:                             ;   in Loop: Header=BB6_9580 Depth=2
	s_or_b32 exec_lo, exec_lo, s40
	s_and_b32 s13, s13, exec_lo
                                        ; implicit-def: $vgpr1
	s_or_saveexec_b32 s29, s29
	v_mov_b32_e32 v0, 0x7f800001
	s_xor_b32 exec_lo, exec_lo, s29
	s_cbranch_execnz .LBB6_11423
.LBB6_9900:                             ;   in Loop: Header=BB6_9580 Depth=2
	s_or_b32 exec_lo, exec_lo, s29
	s_and_saveexec_b32 s29, s13
	s_cbranch_execz .LBB6_9902
.LBB6_9901:                             ;   in Loop: Header=BB6_9580 Depth=2
	v_bfe_u32 v0, v11, 16, 3
	v_bfe_u32 v3, v11, 19, 4
	v_lshlrev_b32_e32 v4, 8, v11
	v_ffbh_u32_e32 v1, v0
	v_cmp_eq_u32_e32 vcc_lo, 0, v3
	v_min_u32_e32 v1, 32, v1
	v_subrev_nc_u32_e32 v2, 28, v1
	v_sub_nc_u32_e32 v1, 29, v1
	v_lshlrev_b32_sdwa v2, v2, v11 dst_sel:DWORD dst_unused:UNUSED_PAD src0_sel:DWORD src1_sel:WORD_1
	v_cndmask_b32_e32 v1, v3, v1, vcc_lo
	v_and_b32_e32 v2, 7, v2
	v_lshl_add_u32 v1, v1, 23, 0x3b800000
	v_cndmask_b32_e32 v0, v0, v2, vcc_lo
	v_and_b32_e32 v2, 0x80000000, v4
	v_lshlrev_b32_e32 v0, 20, v0
	v_or3_b32 v0, v2, v1, v0
.LBB6_9902:                             ;   in Loop: Header=BB6_9580 Depth=2
	s_or_b32 exec_lo, exec_lo, s29
	v_mul_f32_e32 v0, s28, v0
	v_mov_b32_e32 v10, 0x80
	s_mov_b32 s29, exec_lo
	v_and_b32_e32 v1, 0x7f800000, v0
	v_cmpx_ne_u32_e32 0x7f800000, v1
	s_cbranch_execz .LBB6_9910
; %bb.9903:                             ;   in Loop: Header=BB6_9580 Depth=2
	v_mov_b32_e32 v10, 0
	s_mov_b32 s40, exec_lo
	v_cmpx_ne_u32_e32 0, v0
	s_cbranch_execz .LBB6_9909
; %bb.9904:                             ;   in Loop: Header=BB6_9580 Depth=2
	v_bfe_u32 v1, v0, 23, 8
	v_and_b32_e32 v2, 0x7fffff, v0
	v_sub_nc_u32_e32 v3, 0x78, v1
	v_cmp_gt_u32_e32 vcc_lo, 0x79, v1
	v_or_b32_e32 v4, 0x800000, v2
	v_cndmask_b32_e32 v3, 0, v3, vcc_lo
	v_cmp_eq_u32_e32 vcc_lo, 0, v1
	v_add_nc_u32_e32 v1, 0xffffff89, v1
	v_cndmask_b32_e64 v3, v3, 0x77, vcc_lo
	v_cndmask_b32_e32 v2, v4, v2, vcc_lo
	v_cndmask_b32_e64 v1, v1, 0xffffff8a, vcc_lo
	v_lshl_add_u32 v4, 0x100000, v3, -1
	v_lshrrev_b32_e32 v5, v3, v2
	v_lshlrev_b32_e64 v7, v3, 0x80000
	v_add_nc_u32_e32 v3, v3, v1
	v_and_b32_e32 v2, v4, v2
	v_bfe_u32 v6, v5, 20, 1
	v_cmp_eq_u32_e64 s13, v2, v7
	v_add_nc_u32_e32 v4, -1, v6
	v_cndmask_b32_e64 v2, 0, v4, s13
	v_lshrrev_b32_e32 v4, 23, v5
	s_mov_b32 s13, exec_lo
	v_add_nc_u32_e32 v2, v2, v5
	v_xor_b32_e32 v4, 1, v4
	v_and_b32_e32 v1, 0xfffff, v2
	v_add_nc_u32_e32 v2, v1, v5
                                        ; implicit-def: $vgpr1
	v_cmpx_ne_u32_e64 v3, v4
	s_xor_b32 s13, exec_lo, s13
; %bb.9905:                             ;   in Loop: Header=BB6_9580 Depth=2
	v_cmp_lt_u32_e32 vcc_lo, 0xffffff, v2
	v_sub_nc_u32_e32 v1, v3, v4
	v_cndmask_b32_e64 v3, 0, 1, vcc_lo
	v_add_co_ci_u32_e64 v1, null, 0, v1, vcc_lo
	v_lshrrev_b32_e32 v2, v3, v2
; %bb.9906:                             ;   in Loop: Header=BB6_9580 Depth=2
	s_andn2_saveexec_b32 s13, s13
; %bb.9907:                             ;   in Loop: Header=BB6_9580 Depth=2
	v_bfe_u32 v1, v2, 23, 1
; %bb.9908:                             ;   in Loop: Header=BB6_9580 Depth=2
	s_or_b32 exec_lo, exec_lo, s13
	v_lshrrev_b32_e32 v2, 20, v2
	v_min_i32_e32 v3, 15, v1
	v_cmp_gt_i32_e32 vcc_lo, 16, v1
	v_and_b32_sdwa v0, v0, v81 dst_sel:DWORD dst_unused:UNUSED_PAD src0_sel:BYTE_3 src1_sel:DWORD
	v_lshlrev_b32_e32 v3, 3, v3
	v_cndmask_b32_e32 v2, 7, v2, vcc_lo
	v_and_b32_e32 v3, 0xf8, v3
	v_and_b32_e32 v4, 7, v2
	v_or_b32_e32 v1, v1, v2
	v_or3_b32 v0, v3, v0, v4
	v_cmp_ne_u32_e32 vcc_lo, 0, v1
	v_cndmask_b32_e32 v10, 0, v0, vcc_lo
.LBB6_9909:                             ;   in Loop: Header=BB6_9580 Depth=2
	s_or_b32 exec_lo, exec_lo, s40
.LBB6_9910:                             ;   in Loop: Header=BB6_9580 Depth=2
	s_or_b32 exec_lo, exec_lo, s29
	v_cmp_gt_i16_sdwa s29, v11, v80 src0_sel:BYTE_3 src1_sel:DWORD
	s_mov_b32 s13, 0
	s_and_saveexec_b32 s40, s29
	s_xor_b32 s29, exec_lo, s40
	s_cbranch_execz .LBB6_11424
; %bb.9911:                             ;   in Loop: Header=BB6_9580 Depth=2
	v_cmp_eq_u16_sdwa s41, v11, v81 src0_sel:BYTE_3 src1_sel:DWORD
	s_mov_b32 s13, -1
	s_and_saveexec_b32 s40, s41
; %bb.9912:                             ;   in Loop: Header=BB6_9580 Depth=2
	s_xor_b32 s13, exec_lo, -1
; %bb.9913:                             ;   in Loop: Header=BB6_9580 Depth=2
	s_or_b32 exec_lo, exec_lo, s40
	s_and_b32 s13, s13, exec_lo
	s_or_saveexec_b32 s29, s29
	v_mov_b32_e32 v0, 0x7f800001
	s_xor_b32 exec_lo, exec_lo, s29
	s_cbranch_execnz .LBB6_11425
.LBB6_9914:                             ;   in Loop: Header=BB6_9580 Depth=2
	s_or_b32 exec_lo, exec_lo, s29
	s_and_saveexec_b32 s29, s13
	s_cbranch_execz .LBB6_9916
.LBB6_9915:                             ;   in Loop: Header=BB6_9580 Depth=2
	v_bfe_u32 v0, v11, 24, 3
	v_bfe_u32 v3, v11, 27, 4
	v_ffbh_u32_e32 v1, v0
	v_cmp_eq_u32_e32 vcc_lo, 0, v3
	v_min_u32_e32 v1, 32, v1
	v_subrev_nc_u32_e32 v2, 28, v1
	v_sub_nc_u32_e32 v1, 29, v1
	v_lshlrev_b32_sdwa v2, v2, v11 dst_sel:DWORD dst_unused:UNUSED_PAD src0_sel:DWORD src1_sel:BYTE_3
	v_cndmask_b32_e32 v1, v3, v1, vcc_lo
	v_and_b32_e32 v2, 7, v2
	v_lshl_add_u32 v1, v1, 23, 0x3b800000
	v_cndmask_b32_e32 v0, v0, v2, vcc_lo
	v_and_b32_e32 v2, 0x80000000, v11
	v_lshlrev_b32_e32 v0, 20, v0
	v_or3_b32 v0, v2, v1, v0
.LBB6_9916:                             ;   in Loop: Header=BB6_9580 Depth=2
	s_or_b32 exec_lo, exec_lo, s29
	v_mul_f32_e32 v0, s28, v0
	v_mov_b32_e32 v11, 0x8000
	s_mov_b32 s29, exec_lo
	v_and_b32_e32 v1, 0x7f800000, v0
	v_cmpx_ne_u32_e32 0x7f800000, v1
	s_cbranch_execz .LBB6_9924
; %bb.9917:                             ;   in Loop: Header=BB6_9580 Depth=2
	v_mov_b32_e32 v11, 0
	s_mov_b32 s40, exec_lo
	v_cmpx_ne_u32_e32 0, v0
	s_cbranch_execz .LBB6_9923
; %bb.9918:                             ;   in Loop: Header=BB6_9580 Depth=2
	v_bfe_u32 v1, v0, 23, 8
	v_and_b32_e32 v2, 0x7fffff, v0
	v_sub_nc_u32_e32 v3, 0x78, v1
	v_cmp_gt_u32_e32 vcc_lo, 0x79, v1
	v_or_b32_e32 v4, 0x800000, v2
	v_cndmask_b32_e32 v3, 0, v3, vcc_lo
	v_cmp_eq_u32_e32 vcc_lo, 0, v1
	v_add_nc_u32_e32 v1, 0xffffff89, v1
	v_cndmask_b32_e64 v3, v3, 0x77, vcc_lo
	v_cndmask_b32_e32 v2, v4, v2, vcc_lo
	v_cndmask_b32_e64 v1, v1, 0xffffff8a, vcc_lo
	v_lshl_add_u32 v4, 0x100000, v3, -1
	v_lshrrev_b32_e32 v5, v3, v2
	v_lshlrev_b32_e64 v7, v3, 0x80000
	v_add_nc_u32_e32 v3, v3, v1
	v_and_b32_e32 v2, v4, v2
	v_bfe_u32 v6, v5, 20, 1
	v_cmp_eq_u32_e64 s13, v2, v7
	v_add_nc_u32_e32 v4, -1, v6
	v_cndmask_b32_e64 v2, 0, v4, s13
	v_lshrrev_b32_e32 v4, 23, v5
	s_mov_b32 s13, exec_lo
	v_add_nc_u32_e32 v2, v2, v5
	v_xor_b32_e32 v4, 1, v4
	v_and_b32_e32 v1, 0xfffff, v2
	v_add_nc_u32_e32 v2, v1, v5
                                        ; implicit-def: $vgpr1
	v_cmpx_ne_u32_e64 v3, v4
	s_xor_b32 s13, exec_lo, s13
; %bb.9919:                             ;   in Loop: Header=BB6_9580 Depth=2
	v_cmp_lt_u32_e32 vcc_lo, 0xffffff, v2
	v_sub_nc_u32_e32 v1, v3, v4
	v_cndmask_b32_e64 v3, 0, 1, vcc_lo
	v_add_co_ci_u32_e64 v1, null, 0, v1, vcc_lo
	v_lshrrev_b32_e32 v2, v3, v2
; %bb.9920:                             ;   in Loop: Header=BB6_9580 Depth=2
	s_andn2_saveexec_b32 s13, s13
; %bb.9921:                             ;   in Loop: Header=BB6_9580 Depth=2
	v_bfe_u32 v1, v2, 23, 1
; %bb.9922:                             ;   in Loop: Header=BB6_9580 Depth=2
	s_or_b32 exec_lo, exec_lo, s13
	v_lshrrev_b32_e32 v2, 20, v2
	v_min_i32_e32 v3, 15, v1
	v_cmp_gt_i32_e32 vcc_lo, 16, v1
	v_and_b32_sdwa v0, v0, v81 dst_sel:DWORD dst_unused:UNUSED_PAD src0_sel:BYTE_3 src1_sel:DWORD
	v_lshlrev_b32_e32 v3, 3, v3
	v_cndmask_b32_e32 v2, 7, v2, vcc_lo
	v_and_b32_e32 v3, 0xf8, v3
	v_and_b32_e32 v4, 7, v2
	v_or_b32_e32 v1, v1, v2
	v_or3_b32 v0, v0, v3, v4
	v_cmp_ne_u32_e32 vcc_lo, 0, v1
	v_lshlrev_b32_e32 v0, 8, v0
	v_cndmask_b32_e32 v11, 0, v0, vcc_lo
.LBB6_9923:                             ;   in Loop: Header=BB6_9580 Depth=2
	s_or_b32 exec_lo, exec_lo, s40
.LBB6_9924:                             ;   in Loop: Header=BB6_9580 Depth=2
	s_or_b32 exec_lo, exec_lo, s29
	v_cmp_gt_i16_sdwa s29, v12, v80 src0_sel:BYTE_0 src1_sel:DWORD
	s_mov_b32 s13, 0
	s_and_saveexec_b32 s40, s29
	s_xor_b32 s29, exec_lo, s40
	s_cbranch_execz .LBB6_11426
; %bb.9925:                             ;   in Loop: Header=BB6_9580 Depth=2
	v_cmp_eq_u16_sdwa s41, v12, v81 src0_sel:BYTE_0 src1_sel:DWORD
	s_mov_b32 s13, -1
	s_and_saveexec_b32 s40, s41
; %bb.9926:                             ;   in Loop: Header=BB6_9580 Depth=2
	s_xor_b32 s13, exec_lo, -1
; %bb.9927:                             ;   in Loop: Header=BB6_9580 Depth=2
	s_or_b32 exec_lo, exec_lo, s40
	s_and_b32 s13, s13, exec_lo
	s_or_saveexec_b32 s29, s29
	v_mov_b32_e32 v0, 0x7f800001
	s_xor_b32 exec_lo, exec_lo, s29
	s_cbranch_execnz .LBB6_11427
.LBB6_9928:                             ;   in Loop: Header=BB6_9580 Depth=2
	s_or_b32 exec_lo, exec_lo, s29
	s_and_saveexec_b32 s29, s13
	s_cbranch_execz .LBB6_9930
.LBB6_9929:                             ;   in Loop: Header=BB6_9580 Depth=2
	v_and_b32_e32 v0, 7, v12
	v_bfe_u32 v3, v12, 3, 4
	v_lshlrev_b32_e32 v4, 24, v12
	v_ffbh_u32_e32 v1, v0
	v_cmp_eq_u32_e32 vcc_lo, 0, v3
	v_min_u32_e32 v1, 32, v1
	v_subrev_nc_u32_e32 v2, 28, v1
	v_sub_nc_u32_e32 v1, 29, v1
	v_lshlrev_b32_e32 v2, v2, v12
	v_cndmask_b32_e32 v1, v3, v1, vcc_lo
	v_and_b32_e32 v2, 7, v2
	v_lshl_add_u32 v1, v1, 23, 0x3b800000
	v_cndmask_b32_e32 v0, v0, v2, vcc_lo
	v_and_b32_e32 v2, 0x80000000, v4
	v_lshlrev_b32_e32 v0, 20, v0
	v_or3_b32 v0, v2, v1, v0
.LBB6_9930:                             ;   in Loop: Header=BB6_9580 Depth=2
	s_or_b32 exec_lo, exec_lo, s29
	v_mul_f32_e32 v0, s28, v0
	v_and_b32_e32 v1, 0x7f800000, v0
	v_cmp_ne_u32_e32 vcc_lo, 0x7f800000, v1
	v_mov_b32_e32 v1, 0x80
	buffer_store_dword v1, off, s[0:3], s33 offset:256 ; 4-byte Folded Spill
	s_and_saveexec_b32 s29, vcc_lo
	s_cbranch_execz .LBB6_9938
; %bb.9931:                             ;   in Loop: Header=BB6_9580 Depth=2
	v_mov_b32_e32 v1, 0
	s_mov_b32 s40, exec_lo
	buffer_store_dword v1, off, s[0:3], s33 offset:256 ; 4-byte Folded Spill
	v_cmpx_ne_u32_e32 0, v0
	s_cbranch_execz .LBB6_9937
; %bb.9932:                             ;   in Loop: Header=BB6_9580 Depth=2
	v_bfe_u32 v1, v0, 23, 8
	v_and_b32_e32 v2, 0x7fffff, v0
	v_sub_nc_u32_e32 v3, 0x78, v1
	v_cmp_gt_u32_e32 vcc_lo, 0x79, v1
	v_or_b32_e32 v4, 0x800000, v2
	v_cndmask_b32_e32 v3, 0, v3, vcc_lo
	v_cmp_eq_u32_e32 vcc_lo, 0, v1
	v_add_nc_u32_e32 v1, 0xffffff89, v1
	v_cndmask_b32_e64 v3, v3, 0x77, vcc_lo
	v_cndmask_b32_e32 v2, v4, v2, vcc_lo
	v_cndmask_b32_e64 v1, v1, 0xffffff8a, vcc_lo
	v_lshl_add_u32 v4, 0x100000, v3, -1
	v_lshrrev_b32_e32 v5, v3, v2
	v_lshlrev_b32_e64 v7, v3, 0x80000
	v_add_nc_u32_e32 v3, v3, v1
	v_and_b32_e32 v2, v4, v2
	v_bfe_u32 v6, v5, 20, 1
	v_cmp_eq_u32_e64 s13, v2, v7
	v_add_nc_u32_e32 v4, -1, v6
	v_cndmask_b32_e64 v2, 0, v4, s13
	v_lshrrev_b32_e32 v4, 23, v5
	s_mov_b32 s13, exec_lo
	v_add_nc_u32_e32 v2, v2, v5
	v_xor_b32_e32 v4, 1, v4
	v_and_b32_e32 v1, 0xfffff, v2
	v_add_nc_u32_e32 v2, v1, v5
                                        ; implicit-def: $vgpr1
	v_cmpx_ne_u32_e64 v3, v4
	s_xor_b32 s13, exec_lo, s13
; %bb.9933:                             ;   in Loop: Header=BB6_9580 Depth=2
	v_cmp_lt_u32_e32 vcc_lo, 0xffffff, v2
	v_sub_nc_u32_e32 v1, v3, v4
	v_cndmask_b32_e64 v3, 0, 1, vcc_lo
	v_add_co_ci_u32_e64 v1, null, 0, v1, vcc_lo
	v_lshrrev_b32_e32 v2, v3, v2
; %bb.9934:                             ;   in Loop: Header=BB6_9580 Depth=2
	s_andn2_saveexec_b32 s13, s13
; %bb.9935:                             ;   in Loop: Header=BB6_9580 Depth=2
	v_bfe_u32 v1, v2, 23, 1
; %bb.9936:                             ;   in Loop: Header=BB6_9580 Depth=2
	s_or_b32 exec_lo, exec_lo, s13
	v_lshrrev_b32_e32 v2, 20, v2
	v_min_i32_e32 v3, 15, v1
	v_cmp_gt_i32_e32 vcc_lo, 16, v1
	v_and_b32_sdwa v0, v0, v81 dst_sel:DWORD dst_unused:UNUSED_PAD src0_sel:BYTE_3 src1_sel:DWORD
	v_lshlrev_b32_e32 v3, 3, v3
	v_cndmask_b32_e32 v2, 7, v2, vcc_lo
	v_and_b32_e32 v3, 0xf8, v3
	v_and_b32_e32 v4, 7, v2
	v_or_b32_e32 v1, v1, v2
	v_or3_b32 v0, v3, v0, v4
	v_cmp_ne_u32_e32 vcc_lo, 0, v1
	v_cndmask_b32_e32 v0, 0, v0, vcc_lo
	buffer_store_dword v0, off, s[0:3], s33 offset:256 ; 4-byte Folded Spill
.LBB6_9937:                             ;   in Loop: Header=BB6_9580 Depth=2
	s_or_b32 exec_lo, exec_lo, s40
.LBB6_9938:                             ;   in Loop: Header=BB6_9580 Depth=2
	s_or_b32 exec_lo, exec_lo, s29
	v_cmp_gt_i16_sdwa s29, v12, v80 src0_sel:BYTE_1 src1_sel:DWORD
	s_mov_b32 s13, 0
	s_and_saveexec_b32 s40, s29
	s_xor_b32 s29, exec_lo, s40
	s_cbranch_execz .LBB6_11428
; %bb.9939:                             ;   in Loop: Header=BB6_9580 Depth=2
	v_cmp_eq_u16_sdwa s41, v12, v81 src0_sel:BYTE_1 src1_sel:DWORD
	s_mov_b32 s13, -1
	s_and_saveexec_b32 s40, s41
; %bb.9940:                             ;   in Loop: Header=BB6_9580 Depth=2
	s_xor_b32 s13, exec_lo, -1
; %bb.9941:                             ;   in Loop: Header=BB6_9580 Depth=2
	s_or_b32 exec_lo, exec_lo, s40
	s_and_b32 s13, s13, exec_lo
	s_or_saveexec_b32 s29, s29
	v_mov_b32_e32 v0, 0x7f800001
	s_xor_b32 exec_lo, exec_lo, s29
	s_cbranch_execnz .LBB6_11429
.LBB6_9942:                             ;   in Loop: Header=BB6_9580 Depth=2
	s_or_b32 exec_lo, exec_lo, s29
	s_and_saveexec_b32 s29, s13
	s_cbranch_execz .LBB6_9944
.LBB6_9943:                             ;   in Loop: Header=BB6_9580 Depth=2
	v_and_b32_sdwa v0, v82, v12 dst_sel:DWORD dst_unused:UNUSED_PAD src0_sel:DWORD src1_sel:BYTE_1
	v_and_b32_e32 v1, 7, v0
	v_bfe_u32 v4, v0, 3, 4
	v_ffbh_u32_e32 v2, v1
	v_cmp_eq_u32_e32 vcc_lo, 0, v4
	v_min_u32_e32 v2, 32, v2
	v_subrev_nc_u32_e32 v3, 28, v2
	v_sub_nc_u32_e32 v2, 29, v2
	v_lshlrev_b32_e32 v0, v3, v0
	v_lshlrev_b32_sdwa v3, v83, v12 dst_sel:DWORD dst_unused:UNUSED_PAD src0_sel:DWORD src1_sel:BYTE_1
	v_cndmask_b32_e32 v2, v4, v2, vcc_lo
	v_and_b32_e32 v0, 7, v0
	v_lshl_add_u32 v2, v2, 23, 0x3b800000
	v_cndmask_b32_e32 v0, v1, v0, vcc_lo
	v_and_b32_e32 v1, 0x80000000, v3
	v_lshlrev_b32_e32 v0, 20, v0
	v_or3_b32 v0, v1, v2, v0
.LBB6_9944:                             ;   in Loop: Header=BB6_9580 Depth=2
	s_or_b32 exec_lo, exec_lo, s29
	v_mul_f32_e32 v0, s28, v0
	v_and_b32_e32 v1, 0x7f800000, v0
	v_cmp_ne_u32_e32 vcc_lo, 0x7f800000, v1
	v_mov_b32_e32 v1, 0x8000
	s_and_saveexec_b32 s29, vcc_lo
	s_cbranch_execz .LBB6_9952
; %bb.9945:                             ;   in Loop: Header=BB6_9580 Depth=2
	v_mov_b32_e32 v1, 0
	s_mov_b32 s40, exec_lo
	v_cmpx_ne_u32_e32 0, v0
	s_cbranch_execz .LBB6_9951
; %bb.9946:                             ;   in Loop: Header=BB6_9580 Depth=2
	v_bfe_u32 v1, v0, 23, 8
	v_and_b32_e32 v2, 0x7fffff, v0
	v_sub_nc_u32_e32 v3, 0x78, v1
	v_cmp_gt_u32_e32 vcc_lo, 0x79, v1
	v_or_b32_e32 v4, 0x800000, v2
	v_cndmask_b32_e32 v3, 0, v3, vcc_lo
	v_cmp_eq_u32_e32 vcc_lo, 0, v1
	v_add_nc_u32_e32 v1, 0xffffff89, v1
	v_cndmask_b32_e64 v3, v3, 0x77, vcc_lo
	v_cndmask_b32_e32 v2, v4, v2, vcc_lo
	v_cndmask_b32_e64 v1, v1, 0xffffff8a, vcc_lo
	v_lshl_add_u32 v4, 0x100000, v3, -1
	v_lshrrev_b32_e32 v5, v3, v2
	v_lshlrev_b32_e64 v7, v3, 0x80000
	v_add_nc_u32_e32 v3, v3, v1
	v_and_b32_e32 v2, v4, v2
	v_bfe_u32 v6, v5, 20, 1
	v_cmp_eq_u32_e64 s13, v2, v7
	v_add_nc_u32_e32 v4, -1, v6
	v_cndmask_b32_e64 v2, 0, v4, s13
	v_lshrrev_b32_e32 v4, 23, v5
	s_mov_b32 s13, exec_lo
	v_add_nc_u32_e32 v2, v2, v5
	v_xor_b32_e32 v4, 1, v4
	v_and_b32_e32 v1, 0xfffff, v2
	v_add_nc_u32_e32 v2, v1, v5
                                        ; implicit-def: $vgpr1
	v_cmpx_ne_u32_e64 v3, v4
	s_xor_b32 s13, exec_lo, s13
; %bb.9947:                             ;   in Loop: Header=BB6_9580 Depth=2
	v_cmp_lt_u32_e32 vcc_lo, 0xffffff, v2
	v_sub_nc_u32_e32 v1, v3, v4
	v_cndmask_b32_e64 v3, 0, 1, vcc_lo
	v_add_co_ci_u32_e64 v1, null, 0, v1, vcc_lo
	v_lshrrev_b32_e32 v2, v3, v2
; %bb.9948:                             ;   in Loop: Header=BB6_9580 Depth=2
	s_andn2_saveexec_b32 s13, s13
; %bb.9949:                             ;   in Loop: Header=BB6_9580 Depth=2
	v_bfe_u32 v1, v2, 23, 1
; %bb.9950:                             ;   in Loop: Header=BB6_9580 Depth=2
	s_or_b32 exec_lo, exec_lo, s13
	v_lshrrev_b32_e32 v2, 20, v2
	v_min_i32_e32 v3, 15, v1
	v_cmp_gt_i32_e32 vcc_lo, 16, v1
	v_and_b32_sdwa v0, v0, v81 dst_sel:DWORD dst_unused:UNUSED_PAD src0_sel:BYTE_3 src1_sel:DWORD
	v_lshlrev_b32_e32 v3, 3, v3
	v_cndmask_b32_e32 v2, 7, v2, vcc_lo
	v_and_b32_e32 v3, 0xf8, v3
	v_and_b32_e32 v4, 7, v2
	v_or_b32_e32 v1, v1, v2
	v_or3_b32 v0, v0, v3, v4
	v_cmp_ne_u32_e32 vcc_lo, 0, v1
	v_lshlrev_b32_e32 v0, 8, v0
	v_cndmask_b32_e32 v1, 0, v0, vcc_lo
.LBB6_9951:                             ;   in Loop: Header=BB6_9580 Depth=2
	s_or_b32 exec_lo, exec_lo, s40
.LBB6_9952:                             ;   in Loop: Header=BB6_9580 Depth=2
	s_or_b32 exec_lo, exec_lo, s29
	buffer_store_dword v1, off, s[0:3], s33 offset:332 ; 4-byte Folded Spill
	v_and_b32_sdwa v1, v12, v86 dst_sel:DWORD dst_unused:UNUSED_PAD src0_sel:WORD_1 src1_sel:DWORD
	s_mov_b32 s13, 0
	s_mov_b32 s29, exec_lo
	v_cmpx_lt_i16_e32 0x7f, v1
	s_xor_b32 s29, exec_lo, s29
	s_cbranch_execz .LBB6_11430
; %bb.9953:                             ;   in Loop: Header=BB6_9580 Depth=2
	s_mov_b32 s13, -1
	s_mov_b32 s40, exec_lo
	v_cmpx_eq_u16_e32 0x80, v1
; %bb.9954:                             ;   in Loop: Header=BB6_9580 Depth=2
	s_xor_b32 s13, exec_lo, -1
; %bb.9955:                             ;   in Loop: Header=BB6_9580 Depth=2
	s_or_b32 exec_lo, exec_lo, s40
	s_and_b32 s13, s13, exec_lo
                                        ; implicit-def: $vgpr1
	s_or_saveexec_b32 s29, s29
	v_mov_b32_e32 v0, 0x7f800001
	s_xor_b32 exec_lo, exec_lo, s29
	s_cbranch_execnz .LBB6_11431
.LBB6_9956:                             ;   in Loop: Header=BB6_9580 Depth=2
	s_or_b32 exec_lo, exec_lo, s29
	s_and_saveexec_b32 s29, s13
	s_cbranch_execz .LBB6_9958
.LBB6_9957:                             ;   in Loop: Header=BB6_9580 Depth=2
	v_bfe_u32 v0, v12, 16, 3
	v_bfe_u32 v3, v12, 19, 4
	v_lshlrev_b32_e32 v4, 8, v12
	v_ffbh_u32_e32 v1, v0
	v_cmp_eq_u32_e32 vcc_lo, 0, v3
	v_min_u32_e32 v1, 32, v1
	v_subrev_nc_u32_e32 v2, 28, v1
	v_sub_nc_u32_e32 v1, 29, v1
	v_lshlrev_b32_sdwa v2, v2, v12 dst_sel:DWORD dst_unused:UNUSED_PAD src0_sel:DWORD src1_sel:WORD_1
	v_cndmask_b32_e32 v1, v3, v1, vcc_lo
	v_and_b32_e32 v2, 7, v2
	v_lshl_add_u32 v1, v1, 23, 0x3b800000
	v_cndmask_b32_e32 v0, v0, v2, vcc_lo
	v_and_b32_e32 v2, 0x80000000, v4
	v_lshlrev_b32_e32 v0, 20, v0
	v_or3_b32 v0, v2, v1, v0
.LBB6_9958:                             ;   in Loop: Header=BB6_9580 Depth=2
	s_or_b32 exec_lo, exec_lo, s29
	v_mul_f32_e32 v0, s28, v0
	v_and_b32_e32 v1, 0x7f800000, v0
	v_cmp_ne_u32_e32 vcc_lo, 0x7f800000, v1
	v_mov_b32_e32 v1, 0x80
	buffer_store_dword v1, off, s[0:3], s33 offset:260 ; 4-byte Folded Spill
	s_and_saveexec_b32 s29, vcc_lo
	s_cbranch_execz .LBB6_9966
; %bb.9959:                             ;   in Loop: Header=BB6_9580 Depth=2
	v_mov_b32_e32 v1, 0
	s_mov_b32 s40, exec_lo
	buffer_store_dword v1, off, s[0:3], s33 offset:260 ; 4-byte Folded Spill
	v_cmpx_ne_u32_e32 0, v0
	s_cbranch_execz .LBB6_9965
; %bb.9960:                             ;   in Loop: Header=BB6_9580 Depth=2
	v_bfe_u32 v1, v0, 23, 8
	v_and_b32_e32 v2, 0x7fffff, v0
	v_sub_nc_u32_e32 v3, 0x78, v1
	v_cmp_gt_u32_e32 vcc_lo, 0x79, v1
	v_or_b32_e32 v4, 0x800000, v2
	v_cndmask_b32_e32 v3, 0, v3, vcc_lo
	v_cmp_eq_u32_e32 vcc_lo, 0, v1
	v_add_nc_u32_e32 v1, 0xffffff89, v1
	v_cndmask_b32_e64 v3, v3, 0x77, vcc_lo
	v_cndmask_b32_e32 v2, v4, v2, vcc_lo
	v_cndmask_b32_e64 v1, v1, 0xffffff8a, vcc_lo
	v_lshl_add_u32 v4, 0x100000, v3, -1
	v_lshrrev_b32_e32 v5, v3, v2
	v_lshlrev_b32_e64 v7, v3, 0x80000
	v_add_nc_u32_e32 v3, v3, v1
	v_and_b32_e32 v2, v4, v2
	v_bfe_u32 v6, v5, 20, 1
	v_cmp_eq_u32_e64 s13, v2, v7
	v_add_nc_u32_e32 v4, -1, v6
	v_cndmask_b32_e64 v2, 0, v4, s13
	v_lshrrev_b32_e32 v4, 23, v5
	s_mov_b32 s13, exec_lo
	v_add_nc_u32_e32 v2, v2, v5
	v_xor_b32_e32 v4, 1, v4
	v_and_b32_e32 v1, 0xfffff, v2
	v_add_nc_u32_e32 v2, v1, v5
                                        ; implicit-def: $vgpr1
	v_cmpx_ne_u32_e64 v3, v4
	s_xor_b32 s13, exec_lo, s13
; %bb.9961:                             ;   in Loop: Header=BB6_9580 Depth=2
	v_cmp_lt_u32_e32 vcc_lo, 0xffffff, v2
	v_sub_nc_u32_e32 v1, v3, v4
	v_cndmask_b32_e64 v3, 0, 1, vcc_lo
	v_add_co_ci_u32_e64 v1, null, 0, v1, vcc_lo
	v_lshrrev_b32_e32 v2, v3, v2
; %bb.9962:                             ;   in Loop: Header=BB6_9580 Depth=2
	s_andn2_saveexec_b32 s13, s13
; %bb.9963:                             ;   in Loop: Header=BB6_9580 Depth=2
	v_bfe_u32 v1, v2, 23, 1
; %bb.9964:                             ;   in Loop: Header=BB6_9580 Depth=2
	s_or_b32 exec_lo, exec_lo, s13
	v_lshrrev_b32_e32 v2, 20, v2
	v_min_i32_e32 v3, 15, v1
	v_cmp_gt_i32_e32 vcc_lo, 16, v1
	v_and_b32_sdwa v0, v0, v81 dst_sel:DWORD dst_unused:UNUSED_PAD src0_sel:BYTE_3 src1_sel:DWORD
	v_lshlrev_b32_e32 v3, 3, v3
	v_cndmask_b32_e32 v2, 7, v2, vcc_lo
	v_and_b32_e32 v3, 0xf8, v3
	v_and_b32_e32 v4, 7, v2
	v_or_b32_e32 v1, v1, v2
	v_or3_b32 v0, v3, v0, v4
	v_cmp_ne_u32_e32 vcc_lo, 0, v1
	v_cndmask_b32_e32 v0, 0, v0, vcc_lo
	buffer_store_dword v0, off, s[0:3], s33 offset:260 ; 4-byte Folded Spill
.LBB6_9965:                             ;   in Loop: Header=BB6_9580 Depth=2
	s_or_b32 exec_lo, exec_lo, s40
.LBB6_9966:                             ;   in Loop: Header=BB6_9580 Depth=2
	s_or_b32 exec_lo, exec_lo, s29
	v_cmp_gt_i16_sdwa s29, v12, v80 src0_sel:BYTE_3 src1_sel:DWORD
	s_mov_b32 s13, 0
	s_and_saveexec_b32 s40, s29
	s_xor_b32 s29, exec_lo, s40
	s_cbranch_execz .LBB6_11432
; %bb.9967:                             ;   in Loop: Header=BB6_9580 Depth=2
	v_cmp_eq_u16_sdwa s41, v12, v81 src0_sel:BYTE_3 src1_sel:DWORD
	s_mov_b32 s13, -1
	s_and_saveexec_b32 s40, s41
; %bb.9968:                             ;   in Loop: Header=BB6_9580 Depth=2
	s_xor_b32 s13, exec_lo, -1
; %bb.9969:                             ;   in Loop: Header=BB6_9580 Depth=2
	s_or_b32 exec_lo, exec_lo, s40
	s_and_b32 s13, s13, exec_lo
	s_or_saveexec_b32 s29, s29
	v_mov_b32_e32 v0, 0x7f800001
	s_xor_b32 exec_lo, exec_lo, s29
	s_cbranch_execnz .LBB6_11433
.LBB6_9970:                             ;   in Loop: Header=BB6_9580 Depth=2
	s_or_b32 exec_lo, exec_lo, s29
	s_and_saveexec_b32 s29, s13
	s_cbranch_execz .LBB6_9972
.LBB6_9971:                             ;   in Loop: Header=BB6_9580 Depth=2
	v_bfe_u32 v0, v12, 24, 3
	v_bfe_u32 v3, v12, 27, 4
	v_ffbh_u32_e32 v1, v0
	v_cmp_eq_u32_e32 vcc_lo, 0, v3
	v_min_u32_e32 v1, 32, v1
	v_subrev_nc_u32_e32 v2, 28, v1
	v_sub_nc_u32_e32 v1, 29, v1
	v_lshlrev_b32_sdwa v2, v2, v12 dst_sel:DWORD dst_unused:UNUSED_PAD src0_sel:DWORD src1_sel:BYTE_3
	v_cndmask_b32_e32 v1, v3, v1, vcc_lo
	v_and_b32_e32 v2, 7, v2
	v_lshl_add_u32 v1, v1, 23, 0x3b800000
	v_cndmask_b32_e32 v0, v0, v2, vcc_lo
	v_and_b32_e32 v2, 0x80000000, v12
	v_lshlrev_b32_e32 v0, 20, v0
	v_or3_b32 v0, v2, v1, v0
.LBB6_9972:                             ;   in Loop: Header=BB6_9580 Depth=2
	s_or_b32 exec_lo, exec_lo, s29
	v_mul_f32_e32 v0, s28, v0
	v_mov_b32_e32 v60, 0x8000
	s_mov_b32 s29, exec_lo
	v_and_b32_e32 v1, 0x7f800000, v0
	v_cmpx_ne_u32_e32 0x7f800000, v1
	s_cbranch_execz .LBB6_9980
; %bb.9973:                             ;   in Loop: Header=BB6_9580 Depth=2
	v_mov_b32_e32 v60, 0
	s_mov_b32 s40, exec_lo
	v_cmpx_ne_u32_e32 0, v0
	s_cbranch_execz .LBB6_9979
; %bb.9974:                             ;   in Loop: Header=BB6_9580 Depth=2
	v_bfe_u32 v1, v0, 23, 8
	v_and_b32_e32 v2, 0x7fffff, v0
	v_sub_nc_u32_e32 v3, 0x78, v1
	v_cmp_gt_u32_e32 vcc_lo, 0x79, v1
	v_or_b32_e32 v4, 0x800000, v2
	v_cndmask_b32_e32 v3, 0, v3, vcc_lo
	v_cmp_eq_u32_e32 vcc_lo, 0, v1
	v_add_nc_u32_e32 v1, 0xffffff89, v1
	v_cndmask_b32_e64 v3, v3, 0x77, vcc_lo
	v_cndmask_b32_e32 v2, v4, v2, vcc_lo
	v_cndmask_b32_e64 v1, v1, 0xffffff8a, vcc_lo
	v_lshl_add_u32 v4, 0x100000, v3, -1
	v_lshrrev_b32_e32 v5, v3, v2
	v_lshlrev_b32_e64 v7, v3, 0x80000
	v_add_nc_u32_e32 v3, v3, v1
	v_and_b32_e32 v2, v4, v2
	v_bfe_u32 v6, v5, 20, 1
	v_cmp_eq_u32_e64 s13, v2, v7
	v_add_nc_u32_e32 v4, -1, v6
	v_cndmask_b32_e64 v2, 0, v4, s13
	v_lshrrev_b32_e32 v4, 23, v5
	s_mov_b32 s13, exec_lo
	v_add_nc_u32_e32 v2, v2, v5
	v_xor_b32_e32 v4, 1, v4
	v_and_b32_e32 v1, 0xfffff, v2
	v_add_nc_u32_e32 v2, v1, v5
                                        ; implicit-def: $vgpr1
	v_cmpx_ne_u32_e64 v3, v4
	s_xor_b32 s13, exec_lo, s13
; %bb.9975:                             ;   in Loop: Header=BB6_9580 Depth=2
	v_cmp_lt_u32_e32 vcc_lo, 0xffffff, v2
	v_sub_nc_u32_e32 v1, v3, v4
	v_cndmask_b32_e64 v3, 0, 1, vcc_lo
	v_add_co_ci_u32_e64 v1, null, 0, v1, vcc_lo
	v_lshrrev_b32_e32 v2, v3, v2
; %bb.9976:                             ;   in Loop: Header=BB6_9580 Depth=2
	s_andn2_saveexec_b32 s13, s13
; %bb.9977:                             ;   in Loop: Header=BB6_9580 Depth=2
	v_bfe_u32 v1, v2, 23, 1
; %bb.9978:                             ;   in Loop: Header=BB6_9580 Depth=2
	s_or_b32 exec_lo, exec_lo, s13
	v_lshrrev_b32_e32 v2, 20, v2
	v_min_i32_e32 v3, 15, v1
	v_cmp_gt_i32_e32 vcc_lo, 16, v1
	v_and_b32_sdwa v0, v0, v81 dst_sel:DWORD dst_unused:UNUSED_PAD src0_sel:BYTE_3 src1_sel:DWORD
	v_lshlrev_b32_e32 v3, 3, v3
	v_cndmask_b32_e32 v2, 7, v2, vcc_lo
	v_and_b32_e32 v3, 0xf8, v3
	v_and_b32_e32 v4, 7, v2
	v_or_b32_e32 v1, v1, v2
	v_or3_b32 v0, v0, v3, v4
	v_cmp_ne_u32_e32 vcc_lo, 0, v1
	v_lshlrev_b32_e32 v0, 8, v0
	v_cndmask_b32_e32 v60, 0, v0, vcc_lo
.LBB6_9979:                             ;   in Loop: Header=BB6_9580 Depth=2
	s_or_b32 exec_lo, exec_lo, s40
.LBB6_9980:                             ;   in Loop: Header=BB6_9580 Depth=2
	s_or_b32 exec_lo, exec_lo, s29
	v_cmp_gt_i16_sdwa s29, v13, v80 src0_sel:BYTE_0 src1_sel:DWORD
	s_mov_b32 s13, 0
	s_and_saveexec_b32 s40, s29
	s_xor_b32 s29, exec_lo, s40
	s_cbranch_execz .LBB6_11434
; %bb.9981:                             ;   in Loop: Header=BB6_9580 Depth=2
	v_cmp_eq_u16_sdwa s41, v13, v81 src0_sel:BYTE_0 src1_sel:DWORD
	s_mov_b32 s13, -1
	s_and_saveexec_b32 s40, s41
; %bb.9982:                             ;   in Loop: Header=BB6_9580 Depth=2
	s_xor_b32 s13, exec_lo, -1
; %bb.9983:                             ;   in Loop: Header=BB6_9580 Depth=2
	s_or_b32 exec_lo, exec_lo, s40
	s_and_b32 s13, s13, exec_lo
	s_or_saveexec_b32 s29, s29
	v_mov_b32_e32 v0, 0x7f800001
	s_xor_b32 exec_lo, exec_lo, s29
	s_cbranch_execnz .LBB6_11435
.LBB6_9984:                             ;   in Loop: Header=BB6_9580 Depth=2
	s_or_b32 exec_lo, exec_lo, s29
	s_and_saveexec_b32 s29, s13
	s_cbranch_execz .LBB6_9986
.LBB6_9985:                             ;   in Loop: Header=BB6_9580 Depth=2
	v_and_b32_e32 v0, 7, v13
	v_bfe_u32 v3, v13, 3, 4
	v_lshlrev_b32_e32 v4, 24, v13
	v_ffbh_u32_e32 v1, v0
	v_cmp_eq_u32_e32 vcc_lo, 0, v3
	v_min_u32_e32 v1, 32, v1
	v_subrev_nc_u32_e32 v2, 28, v1
	v_sub_nc_u32_e32 v1, 29, v1
	v_lshlrev_b32_e32 v2, v2, v13
	v_cndmask_b32_e32 v1, v3, v1, vcc_lo
	v_and_b32_e32 v2, 7, v2
	v_lshl_add_u32 v1, v1, 23, 0x3b800000
	v_cndmask_b32_e32 v0, v0, v2, vcc_lo
	v_and_b32_e32 v2, 0x80000000, v4
	v_lshlrev_b32_e32 v0, 20, v0
	v_or3_b32 v0, v2, v1, v0
.LBB6_9986:                             ;   in Loop: Header=BB6_9580 Depth=2
	s_or_b32 exec_lo, exec_lo, s29
	v_mul_f32_e32 v0, s28, v0
	v_mov_b32_e32 v61, 0x80
	s_mov_b32 s29, exec_lo
	v_and_b32_e32 v1, 0x7f800000, v0
	v_cmpx_ne_u32_e32 0x7f800000, v1
	s_cbranch_execz .LBB6_9994
; %bb.9987:                             ;   in Loop: Header=BB6_9580 Depth=2
	v_mov_b32_e32 v61, 0
	s_mov_b32 s40, exec_lo
	v_cmpx_ne_u32_e32 0, v0
	s_cbranch_execz .LBB6_9993
; %bb.9988:                             ;   in Loop: Header=BB6_9580 Depth=2
	v_bfe_u32 v1, v0, 23, 8
	v_and_b32_e32 v2, 0x7fffff, v0
	v_sub_nc_u32_e32 v3, 0x78, v1
	v_cmp_gt_u32_e32 vcc_lo, 0x79, v1
	v_or_b32_e32 v4, 0x800000, v2
	v_cndmask_b32_e32 v3, 0, v3, vcc_lo
	v_cmp_eq_u32_e32 vcc_lo, 0, v1
	v_add_nc_u32_e32 v1, 0xffffff89, v1
	v_cndmask_b32_e64 v3, v3, 0x77, vcc_lo
	v_cndmask_b32_e32 v2, v4, v2, vcc_lo
	v_cndmask_b32_e64 v1, v1, 0xffffff8a, vcc_lo
	v_lshl_add_u32 v4, 0x100000, v3, -1
	v_lshrrev_b32_e32 v5, v3, v2
	v_lshlrev_b32_e64 v7, v3, 0x80000
	v_add_nc_u32_e32 v3, v3, v1
	v_and_b32_e32 v2, v4, v2
	v_bfe_u32 v6, v5, 20, 1
	v_cmp_eq_u32_e64 s13, v2, v7
	v_add_nc_u32_e32 v4, -1, v6
	v_cndmask_b32_e64 v2, 0, v4, s13
	v_lshrrev_b32_e32 v4, 23, v5
	s_mov_b32 s13, exec_lo
	v_add_nc_u32_e32 v2, v2, v5
	v_xor_b32_e32 v4, 1, v4
	v_and_b32_e32 v1, 0xfffff, v2
	v_add_nc_u32_e32 v2, v1, v5
                                        ; implicit-def: $vgpr1
	v_cmpx_ne_u32_e64 v3, v4
	s_xor_b32 s13, exec_lo, s13
; %bb.9989:                             ;   in Loop: Header=BB6_9580 Depth=2
	v_cmp_lt_u32_e32 vcc_lo, 0xffffff, v2
	v_sub_nc_u32_e32 v1, v3, v4
	v_cndmask_b32_e64 v3, 0, 1, vcc_lo
	v_add_co_ci_u32_e64 v1, null, 0, v1, vcc_lo
	v_lshrrev_b32_e32 v2, v3, v2
; %bb.9990:                             ;   in Loop: Header=BB6_9580 Depth=2
	s_andn2_saveexec_b32 s13, s13
; %bb.9991:                             ;   in Loop: Header=BB6_9580 Depth=2
	v_bfe_u32 v1, v2, 23, 1
; %bb.9992:                             ;   in Loop: Header=BB6_9580 Depth=2
	s_or_b32 exec_lo, exec_lo, s13
	v_lshrrev_b32_e32 v2, 20, v2
	v_min_i32_e32 v3, 15, v1
	v_cmp_gt_i32_e32 vcc_lo, 16, v1
	v_and_b32_sdwa v0, v0, v81 dst_sel:DWORD dst_unused:UNUSED_PAD src0_sel:BYTE_3 src1_sel:DWORD
	v_lshlrev_b32_e32 v3, 3, v3
	v_cndmask_b32_e32 v2, 7, v2, vcc_lo
	v_and_b32_e32 v3, 0xf8, v3
	v_and_b32_e32 v4, 7, v2
	v_or_b32_e32 v1, v1, v2
	v_or3_b32 v0, v3, v0, v4
	v_cmp_ne_u32_e32 vcc_lo, 0, v1
	v_cndmask_b32_e32 v61, 0, v0, vcc_lo
.LBB6_9993:                             ;   in Loop: Header=BB6_9580 Depth=2
	s_or_b32 exec_lo, exec_lo, s40
.LBB6_9994:                             ;   in Loop: Header=BB6_9580 Depth=2
	s_or_b32 exec_lo, exec_lo, s29
	v_cmp_gt_i16_sdwa s29, v13, v80 src0_sel:BYTE_1 src1_sel:DWORD
	s_mov_b32 s13, 0
	s_and_saveexec_b32 s40, s29
	s_xor_b32 s29, exec_lo, s40
	s_cbranch_execz .LBB6_11436
; %bb.9995:                             ;   in Loop: Header=BB6_9580 Depth=2
	v_cmp_eq_u16_sdwa s41, v13, v81 src0_sel:BYTE_1 src1_sel:DWORD
	s_mov_b32 s13, -1
	s_and_saveexec_b32 s40, s41
; %bb.9996:                             ;   in Loop: Header=BB6_9580 Depth=2
	s_xor_b32 s13, exec_lo, -1
; %bb.9997:                             ;   in Loop: Header=BB6_9580 Depth=2
	s_or_b32 exec_lo, exec_lo, s40
	s_and_b32 s13, s13, exec_lo
	s_or_saveexec_b32 s29, s29
	v_mov_b32_e32 v0, 0x7f800001
	s_xor_b32 exec_lo, exec_lo, s29
	s_cbranch_execnz .LBB6_11437
.LBB6_9998:                             ;   in Loop: Header=BB6_9580 Depth=2
	s_or_b32 exec_lo, exec_lo, s29
	s_and_saveexec_b32 s29, s13
	s_cbranch_execz .LBB6_10000
.LBB6_9999:                             ;   in Loop: Header=BB6_9580 Depth=2
	v_and_b32_sdwa v0, v82, v13 dst_sel:DWORD dst_unused:UNUSED_PAD src0_sel:DWORD src1_sel:BYTE_1
	v_and_b32_e32 v1, 7, v0
	v_bfe_u32 v4, v0, 3, 4
	v_ffbh_u32_e32 v2, v1
	v_cmp_eq_u32_e32 vcc_lo, 0, v4
	v_min_u32_e32 v2, 32, v2
	v_subrev_nc_u32_e32 v3, 28, v2
	v_sub_nc_u32_e32 v2, 29, v2
	v_lshlrev_b32_e32 v0, v3, v0
	v_lshlrev_b32_sdwa v3, v83, v13 dst_sel:DWORD dst_unused:UNUSED_PAD src0_sel:DWORD src1_sel:BYTE_1
	v_cndmask_b32_e32 v2, v4, v2, vcc_lo
	v_and_b32_e32 v0, 7, v0
	v_lshl_add_u32 v2, v2, 23, 0x3b800000
	v_cndmask_b32_e32 v0, v1, v0, vcc_lo
	v_and_b32_e32 v1, 0x80000000, v3
	v_lshlrev_b32_e32 v0, 20, v0
	v_or3_b32 v0, v1, v2, v0
.LBB6_10000:                            ;   in Loop: Header=BB6_9580 Depth=2
	s_or_b32 exec_lo, exec_lo, s29
	v_mul_f32_e32 v0, s28, v0
	v_mov_b32_e32 v62, 0x8000
	s_mov_b32 s29, exec_lo
	v_and_b32_e32 v1, 0x7f800000, v0
	v_cmpx_ne_u32_e32 0x7f800000, v1
	s_cbranch_execz .LBB6_10008
; %bb.10001:                            ;   in Loop: Header=BB6_9580 Depth=2
	v_mov_b32_e32 v62, 0
	s_mov_b32 s40, exec_lo
	v_cmpx_ne_u32_e32 0, v0
	s_cbranch_execz .LBB6_10007
; %bb.10002:                            ;   in Loop: Header=BB6_9580 Depth=2
	v_bfe_u32 v1, v0, 23, 8
	v_and_b32_e32 v2, 0x7fffff, v0
	v_sub_nc_u32_e32 v3, 0x78, v1
	v_cmp_gt_u32_e32 vcc_lo, 0x79, v1
	v_or_b32_e32 v4, 0x800000, v2
	v_cndmask_b32_e32 v3, 0, v3, vcc_lo
	v_cmp_eq_u32_e32 vcc_lo, 0, v1
	v_add_nc_u32_e32 v1, 0xffffff89, v1
	v_cndmask_b32_e64 v3, v3, 0x77, vcc_lo
	v_cndmask_b32_e32 v2, v4, v2, vcc_lo
	v_cndmask_b32_e64 v1, v1, 0xffffff8a, vcc_lo
	v_lshl_add_u32 v4, 0x100000, v3, -1
	v_lshrrev_b32_e32 v5, v3, v2
	v_lshlrev_b32_e64 v7, v3, 0x80000
	v_add_nc_u32_e32 v3, v3, v1
	v_and_b32_e32 v2, v4, v2
	v_bfe_u32 v6, v5, 20, 1
	v_cmp_eq_u32_e64 s13, v2, v7
	v_add_nc_u32_e32 v4, -1, v6
	v_cndmask_b32_e64 v2, 0, v4, s13
	v_lshrrev_b32_e32 v4, 23, v5
	s_mov_b32 s13, exec_lo
	v_add_nc_u32_e32 v2, v2, v5
	v_xor_b32_e32 v4, 1, v4
	v_and_b32_e32 v1, 0xfffff, v2
	v_add_nc_u32_e32 v2, v1, v5
                                        ; implicit-def: $vgpr1
	v_cmpx_ne_u32_e64 v3, v4
	s_xor_b32 s13, exec_lo, s13
; %bb.10003:                            ;   in Loop: Header=BB6_9580 Depth=2
	v_cmp_lt_u32_e32 vcc_lo, 0xffffff, v2
	v_sub_nc_u32_e32 v1, v3, v4
	v_cndmask_b32_e64 v3, 0, 1, vcc_lo
	v_add_co_ci_u32_e64 v1, null, 0, v1, vcc_lo
	v_lshrrev_b32_e32 v2, v3, v2
; %bb.10004:                            ;   in Loop: Header=BB6_9580 Depth=2
	s_andn2_saveexec_b32 s13, s13
; %bb.10005:                            ;   in Loop: Header=BB6_9580 Depth=2
	v_bfe_u32 v1, v2, 23, 1
; %bb.10006:                            ;   in Loop: Header=BB6_9580 Depth=2
	s_or_b32 exec_lo, exec_lo, s13
	v_lshrrev_b32_e32 v2, 20, v2
	v_min_i32_e32 v3, 15, v1
	v_cmp_gt_i32_e32 vcc_lo, 16, v1
	v_and_b32_sdwa v0, v0, v81 dst_sel:DWORD dst_unused:UNUSED_PAD src0_sel:BYTE_3 src1_sel:DWORD
	v_lshlrev_b32_e32 v3, 3, v3
	v_cndmask_b32_e32 v2, 7, v2, vcc_lo
	v_and_b32_e32 v3, 0xf8, v3
	v_and_b32_e32 v4, 7, v2
	v_or_b32_e32 v1, v1, v2
	v_or3_b32 v0, v0, v3, v4
	v_cmp_ne_u32_e32 vcc_lo, 0, v1
	v_lshlrev_b32_e32 v0, 8, v0
	v_cndmask_b32_e32 v62, 0, v0, vcc_lo
.LBB6_10007:                            ;   in Loop: Header=BB6_9580 Depth=2
	s_or_b32 exec_lo, exec_lo, s40
.LBB6_10008:                            ;   in Loop: Header=BB6_9580 Depth=2
	s_or_b32 exec_lo, exec_lo, s29
	v_and_b32_sdwa v1, v13, v86 dst_sel:DWORD dst_unused:UNUSED_PAD src0_sel:WORD_1 src1_sel:DWORD
	s_mov_b32 s13, 0
	s_mov_b32 s29, exec_lo
	v_cmpx_lt_i16_e32 0x7f, v1
	s_xor_b32 s29, exec_lo, s29
	s_cbranch_execz .LBB6_11438
; %bb.10009:                            ;   in Loop: Header=BB6_9580 Depth=2
	s_mov_b32 s13, -1
	s_mov_b32 s40, exec_lo
	v_cmpx_eq_u16_e32 0x80, v1
; %bb.10010:                            ;   in Loop: Header=BB6_9580 Depth=2
	s_xor_b32 s13, exec_lo, -1
; %bb.10011:                            ;   in Loop: Header=BB6_9580 Depth=2
	s_or_b32 exec_lo, exec_lo, s40
	s_and_b32 s13, s13, exec_lo
                                        ; implicit-def: $vgpr1
	s_or_saveexec_b32 s29, s29
	v_mov_b32_e32 v0, 0x7f800001
	s_xor_b32 exec_lo, exec_lo, s29
	s_cbranch_execnz .LBB6_11439
.LBB6_10012:                            ;   in Loop: Header=BB6_9580 Depth=2
	s_or_b32 exec_lo, exec_lo, s29
	s_and_saveexec_b32 s29, s13
	s_cbranch_execz .LBB6_10014
.LBB6_10013:                            ;   in Loop: Header=BB6_9580 Depth=2
	v_bfe_u32 v0, v13, 16, 3
	v_bfe_u32 v3, v13, 19, 4
	v_lshlrev_b32_e32 v4, 8, v13
	v_ffbh_u32_e32 v1, v0
	v_cmp_eq_u32_e32 vcc_lo, 0, v3
	v_min_u32_e32 v1, 32, v1
	v_subrev_nc_u32_e32 v2, 28, v1
	v_sub_nc_u32_e32 v1, 29, v1
	v_lshlrev_b32_sdwa v2, v2, v13 dst_sel:DWORD dst_unused:UNUSED_PAD src0_sel:DWORD src1_sel:WORD_1
	v_cndmask_b32_e32 v1, v3, v1, vcc_lo
	v_and_b32_e32 v2, 7, v2
	v_lshl_add_u32 v1, v1, 23, 0x3b800000
	v_cndmask_b32_e32 v0, v0, v2, vcc_lo
	v_and_b32_e32 v2, 0x80000000, v4
	v_lshlrev_b32_e32 v0, 20, v0
	v_or3_b32 v0, v2, v1, v0
.LBB6_10014:                            ;   in Loop: Header=BB6_9580 Depth=2
	s_or_b32 exec_lo, exec_lo, s29
	v_mul_f32_e32 v0, s28, v0
	v_mov_b32_e32 v63, 0x80
	s_mov_b32 s29, exec_lo
	v_and_b32_e32 v1, 0x7f800000, v0
	v_cmpx_ne_u32_e32 0x7f800000, v1
	s_cbranch_execz .LBB6_10022
; %bb.10015:                            ;   in Loop: Header=BB6_9580 Depth=2
	v_mov_b32_e32 v63, 0
	s_mov_b32 s40, exec_lo
	v_cmpx_ne_u32_e32 0, v0
	s_cbranch_execz .LBB6_10021
; %bb.10016:                            ;   in Loop: Header=BB6_9580 Depth=2
	v_bfe_u32 v1, v0, 23, 8
	v_and_b32_e32 v2, 0x7fffff, v0
	v_sub_nc_u32_e32 v3, 0x78, v1
	v_cmp_gt_u32_e32 vcc_lo, 0x79, v1
	v_or_b32_e32 v4, 0x800000, v2
	v_cndmask_b32_e32 v3, 0, v3, vcc_lo
	v_cmp_eq_u32_e32 vcc_lo, 0, v1
	v_add_nc_u32_e32 v1, 0xffffff89, v1
	v_cndmask_b32_e64 v3, v3, 0x77, vcc_lo
	v_cndmask_b32_e32 v2, v4, v2, vcc_lo
	v_cndmask_b32_e64 v1, v1, 0xffffff8a, vcc_lo
	v_lshl_add_u32 v4, 0x100000, v3, -1
	v_lshrrev_b32_e32 v5, v3, v2
	v_lshlrev_b32_e64 v7, v3, 0x80000
	v_add_nc_u32_e32 v3, v3, v1
	v_and_b32_e32 v2, v4, v2
	v_bfe_u32 v6, v5, 20, 1
	v_cmp_eq_u32_e64 s13, v2, v7
	v_add_nc_u32_e32 v4, -1, v6
	v_cndmask_b32_e64 v2, 0, v4, s13
	v_lshrrev_b32_e32 v4, 23, v5
	s_mov_b32 s13, exec_lo
	v_add_nc_u32_e32 v2, v2, v5
	v_xor_b32_e32 v4, 1, v4
	v_and_b32_e32 v1, 0xfffff, v2
	v_add_nc_u32_e32 v2, v1, v5
                                        ; implicit-def: $vgpr1
	v_cmpx_ne_u32_e64 v3, v4
	s_xor_b32 s13, exec_lo, s13
; %bb.10017:                            ;   in Loop: Header=BB6_9580 Depth=2
	v_cmp_lt_u32_e32 vcc_lo, 0xffffff, v2
	v_sub_nc_u32_e32 v1, v3, v4
	v_cndmask_b32_e64 v3, 0, 1, vcc_lo
	v_add_co_ci_u32_e64 v1, null, 0, v1, vcc_lo
	v_lshrrev_b32_e32 v2, v3, v2
; %bb.10018:                            ;   in Loop: Header=BB6_9580 Depth=2
	s_andn2_saveexec_b32 s13, s13
; %bb.10019:                            ;   in Loop: Header=BB6_9580 Depth=2
	v_bfe_u32 v1, v2, 23, 1
; %bb.10020:                            ;   in Loop: Header=BB6_9580 Depth=2
	s_or_b32 exec_lo, exec_lo, s13
	v_lshrrev_b32_e32 v2, 20, v2
	v_min_i32_e32 v3, 15, v1
	v_cmp_gt_i32_e32 vcc_lo, 16, v1
	v_and_b32_sdwa v0, v0, v81 dst_sel:DWORD dst_unused:UNUSED_PAD src0_sel:BYTE_3 src1_sel:DWORD
	v_lshlrev_b32_e32 v3, 3, v3
	v_cndmask_b32_e32 v2, 7, v2, vcc_lo
	v_and_b32_e32 v3, 0xf8, v3
	v_and_b32_e32 v4, 7, v2
	v_or_b32_e32 v1, v1, v2
	v_or3_b32 v0, v3, v0, v4
	v_cmp_ne_u32_e32 vcc_lo, 0, v1
	v_cndmask_b32_e32 v63, 0, v0, vcc_lo
.LBB6_10021:                            ;   in Loop: Header=BB6_9580 Depth=2
	s_or_b32 exec_lo, exec_lo, s40
.LBB6_10022:                            ;   in Loop: Header=BB6_9580 Depth=2
	s_or_b32 exec_lo, exec_lo, s29
	v_cmp_gt_i16_sdwa s29, v13, v80 src0_sel:BYTE_3 src1_sel:DWORD
	s_mov_b32 s13, 0
	s_and_saveexec_b32 s40, s29
	s_xor_b32 s29, exec_lo, s40
	s_cbranch_execz .LBB6_11440
; %bb.10023:                            ;   in Loop: Header=BB6_9580 Depth=2
	v_cmp_eq_u16_sdwa s41, v13, v81 src0_sel:BYTE_3 src1_sel:DWORD
	s_mov_b32 s13, -1
	s_and_saveexec_b32 s40, s41
; %bb.10024:                            ;   in Loop: Header=BB6_9580 Depth=2
	s_xor_b32 s13, exec_lo, -1
; %bb.10025:                            ;   in Loop: Header=BB6_9580 Depth=2
	s_or_b32 exec_lo, exec_lo, s40
	s_and_b32 s13, s13, exec_lo
	s_or_saveexec_b32 s29, s29
	v_mov_b32_e32 v0, 0x7f800001
	s_xor_b32 exec_lo, exec_lo, s29
	s_cbranch_execnz .LBB6_11441
.LBB6_10026:                            ;   in Loop: Header=BB6_9580 Depth=2
	s_or_b32 exec_lo, exec_lo, s29
	s_and_saveexec_b32 s29, s13
	s_cbranch_execz .LBB6_10028
.LBB6_10027:                            ;   in Loop: Header=BB6_9580 Depth=2
	v_bfe_u32 v0, v13, 24, 3
	v_bfe_u32 v3, v13, 27, 4
	v_ffbh_u32_e32 v1, v0
	v_cmp_eq_u32_e32 vcc_lo, 0, v3
	v_min_u32_e32 v1, 32, v1
	v_subrev_nc_u32_e32 v2, 28, v1
	v_sub_nc_u32_e32 v1, 29, v1
	v_lshlrev_b32_sdwa v2, v2, v13 dst_sel:DWORD dst_unused:UNUSED_PAD src0_sel:DWORD src1_sel:BYTE_3
	v_cndmask_b32_e32 v1, v3, v1, vcc_lo
	v_and_b32_e32 v2, 7, v2
	v_lshl_add_u32 v1, v1, 23, 0x3b800000
	v_cndmask_b32_e32 v0, v0, v2, vcc_lo
	v_and_b32_e32 v2, 0x80000000, v13
	v_lshlrev_b32_e32 v0, 20, v0
	v_or3_b32 v0, v2, v1, v0
.LBB6_10028:                            ;   in Loop: Header=BB6_9580 Depth=2
	s_or_b32 exec_lo, exec_lo, s29
	v_mul_f32_e32 v0, s28, v0
	v_mov_b32_e32 v72, 0x8000
	s_mov_b32 s29, exec_lo
	v_and_b32_e32 v1, 0x7f800000, v0
	v_cmpx_ne_u32_e32 0x7f800000, v1
	s_cbranch_execz .LBB6_10036
; %bb.10029:                            ;   in Loop: Header=BB6_9580 Depth=2
	v_mov_b32_e32 v72, 0
	s_mov_b32 s40, exec_lo
	v_cmpx_ne_u32_e32 0, v0
	s_cbranch_execz .LBB6_10035
; %bb.10030:                            ;   in Loop: Header=BB6_9580 Depth=2
	v_bfe_u32 v1, v0, 23, 8
	v_and_b32_e32 v2, 0x7fffff, v0
	v_sub_nc_u32_e32 v3, 0x78, v1
	v_cmp_gt_u32_e32 vcc_lo, 0x79, v1
	v_or_b32_e32 v4, 0x800000, v2
	v_cndmask_b32_e32 v3, 0, v3, vcc_lo
	v_cmp_eq_u32_e32 vcc_lo, 0, v1
	v_add_nc_u32_e32 v1, 0xffffff89, v1
	v_cndmask_b32_e64 v3, v3, 0x77, vcc_lo
	v_cndmask_b32_e32 v2, v4, v2, vcc_lo
	v_cndmask_b32_e64 v1, v1, 0xffffff8a, vcc_lo
	v_lshl_add_u32 v4, 0x100000, v3, -1
	v_lshrrev_b32_e32 v5, v3, v2
	v_lshlrev_b32_e64 v7, v3, 0x80000
	v_add_nc_u32_e32 v3, v3, v1
	v_and_b32_e32 v2, v4, v2
	v_bfe_u32 v6, v5, 20, 1
	v_cmp_eq_u32_e64 s13, v2, v7
	v_add_nc_u32_e32 v4, -1, v6
	v_cndmask_b32_e64 v2, 0, v4, s13
	v_lshrrev_b32_e32 v4, 23, v5
	s_mov_b32 s13, exec_lo
	v_add_nc_u32_e32 v2, v2, v5
	v_xor_b32_e32 v4, 1, v4
	v_and_b32_e32 v1, 0xfffff, v2
	v_add_nc_u32_e32 v2, v1, v5
                                        ; implicit-def: $vgpr1
	v_cmpx_ne_u32_e64 v3, v4
	s_xor_b32 s13, exec_lo, s13
; %bb.10031:                            ;   in Loop: Header=BB6_9580 Depth=2
	v_cmp_lt_u32_e32 vcc_lo, 0xffffff, v2
	v_sub_nc_u32_e32 v1, v3, v4
	v_cndmask_b32_e64 v3, 0, 1, vcc_lo
	v_add_co_ci_u32_e64 v1, null, 0, v1, vcc_lo
	v_lshrrev_b32_e32 v2, v3, v2
; %bb.10032:                            ;   in Loop: Header=BB6_9580 Depth=2
	s_andn2_saveexec_b32 s13, s13
; %bb.10033:                            ;   in Loop: Header=BB6_9580 Depth=2
	v_bfe_u32 v1, v2, 23, 1
; %bb.10034:                            ;   in Loop: Header=BB6_9580 Depth=2
	s_or_b32 exec_lo, exec_lo, s13
	v_lshrrev_b32_e32 v2, 20, v2
	v_min_i32_e32 v3, 15, v1
	v_cmp_gt_i32_e32 vcc_lo, 16, v1
	v_and_b32_sdwa v0, v0, v81 dst_sel:DWORD dst_unused:UNUSED_PAD src0_sel:BYTE_3 src1_sel:DWORD
	v_lshlrev_b32_e32 v3, 3, v3
	v_cndmask_b32_e32 v2, 7, v2, vcc_lo
	v_and_b32_e32 v3, 0xf8, v3
	v_and_b32_e32 v4, 7, v2
	v_or_b32_e32 v1, v1, v2
	v_or3_b32 v0, v0, v3, v4
	v_cmp_ne_u32_e32 vcc_lo, 0, v1
	v_lshlrev_b32_e32 v0, 8, v0
	v_cndmask_b32_e32 v72, 0, v0, vcc_lo
.LBB6_10035:                            ;   in Loop: Header=BB6_9580 Depth=2
	s_or_b32 exec_lo, exec_lo, s40
.LBB6_10036:                            ;   in Loop: Header=BB6_9580 Depth=2
	s_or_b32 exec_lo, exec_lo, s29
	buffer_store_dword v11, off, s[0:3], s33 offset:328 ; 4-byte Folded Spill
	buffer_store_dword v10, off, s[0:3], s33 offset:324 ; 4-byte Folded Spill
	;; [unrolled: 1-line block ×4, first 2 shown]
	global_load_dwordx4 v[10:13], v[54:55], off offset:1024 slc
	s_mov_b32 s13, 0
	s_waitcnt vmcnt(0)
	v_cmp_gt_i16_sdwa s29, v10, v80 src0_sel:BYTE_0 src1_sel:DWORD
	s_and_saveexec_b32 s40, s29
	s_xor_b32 s29, exec_lo, s40
	s_cbranch_execz .LBB6_11442
; %bb.10037:                            ;   in Loop: Header=BB6_9580 Depth=2
	v_cmp_eq_u16_sdwa s41, v10, v81 src0_sel:BYTE_0 src1_sel:DWORD
	s_mov_b32 s13, -1
	s_and_saveexec_b32 s40, s41
; %bb.10038:                            ;   in Loop: Header=BB6_9580 Depth=2
	s_xor_b32 s13, exec_lo, -1
; %bb.10039:                            ;   in Loop: Header=BB6_9580 Depth=2
	s_or_b32 exec_lo, exec_lo, s40
	s_and_b32 s13, s13, exec_lo
	s_or_saveexec_b32 s29, s29
	v_mov_b32_e32 v0, 0x7f800001
	s_xor_b32 exec_lo, exec_lo, s29
	s_cbranch_execnz .LBB6_11443
.LBB6_10040:                            ;   in Loop: Header=BB6_9580 Depth=2
	s_or_b32 exec_lo, exec_lo, s29
	s_and_saveexec_b32 s29, s13
	s_cbranch_execz .LBB6_10042
.LBB6_10041:                            ;   in Loop: Header=BB6_9580 Depth=2
	v_and_b32_e32 v0, 7, v10
	v_bfe_u32 v3, v10, 3, 4
	v_lshlrev_b32_e32 v4, 24, v10
	v_ffbh_u32_e32 v1, v0
	v_cmp_eq_u32_e32 vcc_lo, 0, v3
	v_min_u32_e32 v1, 32, v1
	v_subrev_nc_u32_e32 v2, 28, v1
	v_sub_nc_u32_e32 v1, 29, v1
	v_lshlrev_b32_e32 v2, v2, v10
	v_cndmask_b32_e32 v1, v3, v1, vcc_lo
	v_and_b32_e32 v2, 7, v2
	v_lshl_add_u32 v1, v1, 23, 0x3b800000
	v_cndmask_b32_e32 v0, v0, v2, vcc_lo
	v_and_b32_e32 v2, 0x80000000, v4
	v_lshlrev_b32_e32 v0, 20, v0
	v_or3_b32 v0, v2, v1, v0
.LBB6_10042:                            ;   in Loop: Header=BB6_9580 Depth=2
	s_or_b32 exec_lo, exec_lo, s29
	v_mul_f32_e32 v0, s28, v0
	v_mov_b32_e32 v73, 0x80
	s_mov_b32 s29, exec_lo
	v_and_b32_e32 v1, 0x7f800000, v0
	v_cmpx_ne_u32_e32 0x7f800000, v1
	s_cbranch_execz .LBB6_10050
; %bb.10043:                            ;   in Loop: Header=BB6_9580 Depth=2
	v_mov_b32_e32 v73, 0
	s_mov_b32 s40, exec_lo
	v_cmpx_ne_u32_e32 0, v0
	s_cbranch_execz .LBB6_10049
; %bb.10044:                            ;   in Loop: Header=BB6_9580 Depth=2
	v_bfe_u32 v1, v0, 23, 8
	v_and_b32_e32 v2, 0x7fffff, v0
	v_sub_nc_u32_e32 v3, 0x78, v1
	v_cmp_gt_u32_e32 vcc_lo, 0x79, v1
	v_or_b32_e32 v4, 0x800000, v2
	v_cndmask_b32_e32 v3, 0, v3, vcc_lo
	v_cmp_eq_u32_e32 vcc_lo, 0, v1
	v_add_nc_u32_e32 v1, 0xffffff89, v1
	v_cndmask_b32_e64 v3, v3, 0x77, vcc_lo
	v_cndmask_b32_e32 v2, v4, v2, vcc_lo
	v_cndmask_b32_e64 v1, v1, 0xffffff8a, vcc_lo
	v_lshl_add_u32 v4, 0x100000, v3, -1
	v_lshrrev_b32_e32 v5, v3, v2
	v_lshlrev_b32_e64 v7, v3, 0x80000
	v_add_nc_u32_e32 v3, v3, v1
	v_and_b32_e32 v2, v4, v2
	v_bfe_u32 v6, v5, 20, 1
	v_cmp_eq_u32_e64 s13, v2, v7
	v_add_nc_u32_e32 v4, -1, v6
	v_cndmask_b32_e64 v2, 0, v4, s13
	v_lshrrev_b32_e32 v4, 23, v5
	s_mov_b32 s13, exec_lo
	v_add_nc_u32_e32 v2, v2, v5
	v_xor_b32_e32 v4, 1, v4
	v_and_b32_e32 v1, 0xfffff, v2
	v_add_nc_u32_e32 v2, v1, v5
                                        ; implicit-def: $vgpr1
	v_cmpx_ne_u32_e64 v3, v4
	s_xor_b32 s13, exec_lo, s13
; %bb.10045:                            ;   in Loop: Header=BB6_9580 Depth=2
	v_cmp_lt_u32_e32 vcc_lo, 0xffffff, v2
	v_sub_nc_u32_e32 v1, v3, v4
	v_cndmask_b32_e64 v3, 0, 1, vcc_lo
	v_add_co_ci_u32_e64 v1, null, 0, v1, vcc_lo
	v_lshrrev_b32_e32 v2, v3, v2
; %bb.10046:                            ;   in Loop: Header=BB6_9580 Depth=2
	s_andn2_saveexec_b32 s13, s13
; %bb.10047:                            ;   in Loop: Header=BB6_9580 Depth=2
	v_bfe_u32 v1, v2, 23, 1
; %bb.10048:                            ;   in Loop: Header=BB6_9580 Depth=2
	s_or_b32 exec_lo, exec_lo, s13
	v_lshrrev_b32_e32 v2, 20, v2
	v_min_i32_e32 v3, 15, v1
	v_cmp_gt_i32_e32 vcc_lo, 16, v1
	v_and_b32_sdwa v0, v0, v81 dst_sel:DWORD dst_unused:UNUSED_PAD src0_sel:BYTE_3 src1_sel:DWORD
	v_lshlrev_b32_e32 v3, 3, v3
	v_cndmask_b32_e32 v2, 7, v2, vcc_lo
	v_and_b32_e32 v3, 0xf8, v3
	v_and_b32_e32 v4, 7, v2
	v_or_b32_e32 v1, v1, v2
	v_or3_b32 v0, v3, v0, v4
	v_cmp_ne_u32_e32 vcc_lo, 0, v1
	v_cndmask_b32_e32 v73, 0, v0, vcc_lo
.LBB6_10049:                            ;   in Loop: Header=BB6_9580 Depth=2
	s_or_b32 exec_lo, exec_lo, s40
.LBB6_10050:                            ;   in Loop: Header=BB6_9580 Depth=2
	s_or_b32 exec_lo, exec_lo, s29
	v_cmp_gt_i16_sdwa s29, v10, v80 src0_sel:BYTE_1 src1_sel:DWORD
	s_mov_b32 s13, 0
	s_and_saveexec_b32 s40, s29
	s_xor_b32 s29, exec_lo, s40
	s_cbranch_execz .LBB6_11444
; %bb.10051:                            ;   in Loop: Header=BB6_9580 Depth=2
	v_cmp_eq_u16_sdwa s41, v10, v81 src0_sel:BYTE_1 src1_sel:DWORD
	s_mov_b32 s13, -1
	s_and_saveexec_b32 s40, s41
; %bb.10052:                            ;   in Loop: Header=BB6_9580 Depth=2
	s_xor_b32 s13, exec_lo, -1
; %bb.10053:                            ;   in Loop: Header=BB6_9580 Depth=2
	s_or_b32 exec_lo, exec_lo, s40
	s_and_b32 s13, s13, exec_lo
	s_or_saveexec_b32 s29, s29
	v_mov_b32_e32 v0, 0x7f800001
	s_xor_b32 exec_lo, exec_lo, s29
	s_cbranch_execnz .LBB6_11445
.LBB6_10054:                            ;   in Loop: Header=BB6_9580 Depth=2
	s_or_b32 exec_lo, exec_lo, s29
	s_and_saveexec_b32 s29, s13
	s_cbranch_execz .LBB6_10056
.LBB6_10055:                            ;   in Loop: Header=BB6_9580 Depth=2
	v_and_b32_sdwa v0, v82, v10 dst_sel:DWORD dst_unused:UNUSED_PAD src0_sel:DWORD src1_sel:BYTE_1
	v_and_b32_e32 v1, 7, v0
	v_bfe_u32 v4, v0, 3, 4
	v_ffbh_u32_e32 v2, v1
	v_cmp_eq_u32_e32 vcc_lo, 0, v4
	v_min_u32_e32 v2, 32, v2
	v_subrev_nc_u32_e32 v3, 28, v2
	v_sub_nc_u32_e32 v2, 29, v2
	v_lshlrev_b32_e32 v0, v3, v0
	v_lshlrev_b32_sdwa v3, v83, v10 dst_sel:DWORD dst_unused:UNUSED_PAD src0_sel:DWORD src1_sel:BYTE_1
	v_cndmask_b32_e32 v2, v4, v2, vcc_lo
	v_and_b32_e32 v0, 7, v0
	v_lshl_add_u32 v2, v2, 23, 0x3b800000
	v_cndmask_b32_e32 v0, v1, v0, vcc_lo
	v_and_b32_e32 v1, 0x80000000, v3
	v_lshlrev_b32_e32 v0, 20, v0
	v_or3_b32 v0, v1, v2, v0
.LBB6_10056:                            ;   in Loop: Header=BB6_9580 Depth=2
	s_or_b32 exec_lo, exec_lo, s29
	v_mul_f32_e32 v0, s28, v0
	v_mov_b32_e32 v74, 0x8000
	s_mov_b32 s29, exec_lo
	v_and_b32_e32 v1, 0x7f800000, v0
	v_cmpx_ne_u32_e32 0x7f800000, v1
	s_cbranch_execz .LBB6_10064
; %bb.10057:                            ;   in Loop: Header=BB6_9580 Depth=2
	v_mov_b32_e32 v74, 0
	s_mov_b32 s40, exec_lo
	v_cmpx_ne_u32_e32 0, v0
	s_cbranch_execz .LBB6_10063
; %bb.10058:                            ;   in Loop: Header=BB6_9580 Depth=2
	v_bfe_u32 v1, v0, 23, 8
	v_and_b32_e32 v2, 0x7fffff, v0
	v_sub_nc_u32_e32 v3, 0x78, v1
	v_cmp_gt_u32_e32 vcc_lo, 0x79, v1
	v_or_b32_e32 v4, 0x800000, v2
	v_cndmask_b32_e32 v3, 0, v3, vcc_lo
	v_cmp_eq_u32_e32 vcc_lo, 0, v1
	v_add_nc_u32_e32 v1, 0xffffff89, v1
	v_cndmask_b32_e64 v3, v3, 0x77, vcc_lo
	v_cndmask_b32_e32 v2, v4, v2, vcc_lo
	v_cndmask_b32_e64 v1, v1, 0xffffff8a, vcc_lo
	v_lshl_add_u32 v4, 0x100000, v3, -1
	v_lshrrev_b32_e32 v5, v3, v2
	v_lshlrev_b32_e64 v7, v3, 0x80000
	v_add_nc_u32_e32 v3, v3, v1
	v_and_b32_e32 v2, v4, v2
	v_bfe_u32 v6, v5, 20, 1
	v_cmp_eq_u32_e64 s13, v2, v7
	v_add_nc_u32_e32 v4, -1, v6
	v_cndmask_b32_e64 v2, 0, v4, s13
	v_lshrrev_b32_e32 v4, 23, v5
	s_mov_b32 s13, exec_lo
	v_add_nc_u32_e32 v2, v2, v5
	v_xor_b32_e32 v4, 1, v4
	v_and_b32_e32 v1, 0xfffff, v2
	v_add_nc_u32_e32 v2, v1, v5
                                        ; implicit-def: $vgpr1
	v_cmpx_ne_u32_e64 v3, v4
	s_xor_b32 s13, exec_lo, s13
; %bb.10059:                            ;   in Loop: Header=BB6_9580 Depth=2
	v_cmp_lt_u32_e32 vcc_lo, 0xffffff, v2
	v_sub_nc_u32_e32 v1, v3, v4
	v_cndmask_b32_e64 v3, 0, 1, vcc_lo
	v_add_co_ci_u32_e64 v1, null, 0, v1, vcc_lo
	v_lshrrev_b32_e32 v2, v3, v2
; %bb.10060:                            ;   in Loop: Header=BB6_9580 Depth=2
	s_andn2_saveexec_b32 s13, s13
; %bb.10061:                            ;   in Loop: Header=BB6_9580 Depth=2
	v_bfe_u32 v1, v2, 23, 1
; %bb.10062:                            ;   in Loop: Header=BB6_9580 Depth=2
	s_or_b32 exec_lo, exec_lo, s13
	v_lshrrev_b32_e32 v2, 20, v2
	v_min_i32_e32 v3, 15, v1
	v_cmp_gt_i32_e32 vcc_lo, 16, v1
	v_and_b32_sdwa v0, v0, v81 dst_sel:DWORD dst_unused:UNUSED_PAD src0_sel:BYTE_3 src1_sel:DWORD
	v_lshlrev_b32_e32 v3, 3, v3
	v_cndmask_b32_e32 v2, 7, v2, vcc_lo
	v_and_b32_e32 v3, 0xf8, v3
	v_and_b32_e32 v4, 7, v2
	v_or_b32_e32 v1, v1, v2
	v_or3_b32 v0, v0, v3, v4
	v_cmp_ne_u32_e32 vcc_lo, 0, v1
	v_lshlrev_b32_e32 v0, 8, v0
	v_cndmask_b32_e32 v74, 0, v0, vcc_lo
.LBB6_10063:                            ;   in Loop: Header=BB6_9580 Depth=2
	s_or_b32 exec_lo, exec_lo, s40
.LBB6_10064:                            ;   in Loop: Header=BB6_9580 Depth=2
	s_or_b32 exec_lo, exec_lo, s29
	v_and_b32_sdwa v1, v10, v86 dst_sel:DWORD dst_unused:UNUSED_PAD src0_sel:WORD_1 src1_sel:DWORD
	s_mov_b32 s13, 0
	s_mov_b32 s29, exec_lo
	v_cmpx_lt_i16_e32 0x7f, v1
	s_xor_b32 s29, exec_lo, s29
	s_cbranch_execz .LBB6_11446
; %bb.10065:                            ;   in Loop: Header=BB6_9580 Depth=2
	s_mov_b32 s13, -1
	s_mov_b32 s40, exec_lo
	v_cmpx_eq_u16_e32 0x80, v1
; %bb.10066:                            ;   in Loop: Header=BB6_9580 Depth=2
	s_xor_b32 s13, exec_lo, -1
; %bb.10067:                            ;   in Loop: Header=BB6_9580 Depth=2
	s_or_b32 exec_lo, exec_lo, s40
	s_and_b32 s13, s13, exec_lo
                                        ; implicit-def: $vgpr1
	s_or_saveexec_b32 s29, s29
	v_mov_b32_e32 v0, 0x7f800001
	s_xor_b32 exec_lo, exec_lo, s29
	s_cbranch_execnz .LBB6_11447
.LBB6_10068:                            ;   in Loop: Header=BB6_9580 Depth=2
	s_or_b32 exec_lo, exec_lo, s29
	s_and_saveexec_b32 s29, s13
	s_cbranch_execz .LBB6_10070
.LBB6_10069:                            ;   in Loop: Header=BB6_9580 Depth=2
	v_bfe_u32 v0, v10, 16, 3
	v_bfe_u32 v3, v10, 19, 4
	v_lshlrev_b32_e32 v4, 8, v10
	v_ffbh_u32_e32 v1, v0
	v_cmp_eq_u32_e32 vcc_lo, 0, v3
	v_min_u32_e32 v1, 32, v1
	v_subrev_nc_u32_e32 v2, 28, v1
	v_sub_nc_u32_e32 v1, 29, v1
	v_lshlrev_b32_sdwa v2, v2, v10 dst_sel:DWORD dst_unused:UNUSED_PAD src0_sel:DWORD src1_sel:WORD_1
	v_cndmask_b32_e32 v1, v3, v1, vcc_lo
	v_and_b32_e32 v2, 7, v2
	v_lshl_add_u32 v1, v1, 23, 0x3b800000
	v_cndmask_b32_e32 v0, v0, v2, vcc_lo
	v_and_b32_e32 v2, 0x80000000, v4
	v_lshlrev_b32_e32 v0, 20, v0
	v_or3_b32 v0, v2, v1, v0
.LBB6_10070:                            ;   in Loop: Header=BB6_9580 Depth=2
	s_or_b32 exec_lo, exec_lo, s29
	v_mul_f32_e32 v0, s28, v0
	v_mov_b32_e32 v75, 0x80
	s_mov_b32 s29, exec_lo
	v_and_b32_e32 v1, 0x7f800000, v0
	v_cmpx_ne_u32_e32 0x7f800000, v1
	s_cbranch_execz .LBB6_10078
; %bb.10071:                            ;   in Loop: Header=BB6_9580 Depth=2
	v_mov_b32_e32 v75, 0
	s_mov_b32 s40, exec_lo
	v_cmpx_ne_u32_e32 0, v0
	s_cbranch_execz .LBB6_10077
; %bb.10072:                            ;   in Loop: Header=BB6_9580 Depth=2
	v_bfe_u32 v1, v0, 23, 8
	v_and_b32_e32 v2, 0x7fffff, v0
	v_sub_nc_u32_e32 v3, 0x78, v1
	v_cmp_gt_u32_e32 vcc_lo, 0x79, v1
	v_or_b32_e32 v4, 0x800000, v2
	v_cndmask_b32_e32 v3, 0, v3, vcc_lo
	v_cmp_eq_u32_e32 vcc_lo, 0, v1
	v_add_nc_u32_e32 v1, 0xffffff89, v1
	v_cndmask_b32_e64 v3, v3, 0x77, vcc_lo
	v_cndmask_b32_e32 v2, v4, v2, vcc_lo
	v_cndmask_b32_e64 v1, v1, 0xffffff8a, vcc_lo
	v_lshl_add_u32 v4, 0x100000, v3, -1
	v_lshrrev_b32_e32 v5, v3, v2
	v_lshlrev_b32_e64 v7, v3, 0x80000
	v_add_nc_u32_e32 v3, v3, v1
	v_and_b32_e32 v2, v4, v2
	v_bfe_u32 v6, v5, 20, 1
	v_cmp_eq_u32_e64 s13, v2, v7
	v_add_nc_u32_e32 v4, -1, v6
	v_cndmask_b32_e64 v2, 0, v4, s13
	v_lshrrev_b32_e32 v4, 23, v5
	s_mov_b32 s13, exec_lo
	v_add_nc_u32_e32 v2, v2, v5
	v_xor_b32_e32 v4, 1, v4
	v_and_b32_e32 v1, 0xfffff, v2
	v_add_nc_u32_e32 v2, v1, v5
                                        ; implicit-def: $vgpr1
	v_cmpx_ne_u32_e64 v3, v4
	s_xor_b32 s13, exec_lo, s13
; %bb.10073:                            ;   in Loop: Header=BB6_9580 Depth=2
	v_cmp_lt_u32_e32 vcc_lo, 0xffffff, v2
	v_sub_nc_u32_e32 v1, v3, v4
	v_cndmask_b32_e64 v3, 0, 1, vcc_lo
	v_add_co_ci_u32_e64 v1, null, 0, v1, vcc_lo
	v_lshrrev_b32_e32 v2, v3, v2
; %bb.10074:                            ;   in Loop: Header=BB6_9580 Depth=2
	s_andn2_saveexec_b32 s13, s13
; %bb.10075:                            ;   in Loop: Header=BB6_9580 Depth=2
	v_bfe_u32 v1, v2, 23, 1
; %bb.10076:                            ;   in Loop: Header=BB6_9580 Depth=2
	s_or_b32 exec_lo, exec_lo, s13
	v_lshrrev_b32_e32 v2, 20, v2
	v_min_i32_e32 v3, 15, v1
	v_cmp_gt_i32_e32 vcc_lo, 16, v1
	v_and_b32_sdwa v0, v0, v81 dst_sel:DWORD dst_unused:UNUSED_PAD src0_sel:BYTE_3 src1_sel:DWORD
	v_lshlrev_b32_e32 v3, 3, v3
	v_cndmask_b32_e32 v2, 7, v2, vcc_lo
	v_and_b32_e32 v3, 0xf8, v3
	v_and_b32_e32 v4, 7, v2
	v_or_b32_e32 v1, v1, v2
	v_or3_b32 v0, v3, v0, v4
	v_cmp_ne_u32_e32 vcc_lo, 0, v1
	v_cndmask_b32_e32 v75, 0, v0, vcc_lo
.LBB6_10077:                            ;   in Loop: Header=BB6_9580 Depth=2
	s_or_b32 exec_lo, exec_lo, s40
.LBB6_10078:                            ;   in Loop: Header=BB6_9580 Depth=2
	s_or_b32 exec_lo, exec_lo, s29
	v_cmp_gt_i16_sdwa s29, v10, v80 src0_sel:BYTE_3 src1_sel:DWORD
	s_mov_b32 s13, 0
	s_and_saveexec_b32 s40, s29
	s_xor_b32 s29, exec_lo, s40
	s_cbranch_execz .LBB6_11448
; %bb.10079:                            ;   in Loop: Header=BB6_9580 Depth=2
	v_cmp_eq_u16_sdwa s41, v10, v81 src0_sel:BYTE_3 src1_sel:DWORD
	s_mov_b32 s13, -1
	s_and_saveexec_b32 s40, s41
; %bb.10080:                            ;   in Loop: Header=BB6_9580 Depth=2
	s_xor_b32 s13, exec_lo, -1
; %bb.10081:                            ;   in Loop: Header=BB6_9580 Depth=2
	s_or_b32 exec_lo, exec_lo, s40
	s_and_b32 s13, s13, exec_lo
	s_or_saveexec_b32 s29, s29
	v_mov_b32_e32 v0, 0x7f800001
	s_xor_b32 exec_lo, exec_lo, s29
	s_cbranch_execnz .LBB6_11449
.LBB6_10082:                            ;   in Loop: Header=BB6_9580 Depth=2
	s_or_b32 exec_lo, exec_lo, s29
	s_and_saveexec_b32 s29, s13
	s_cbranch_execz .LBB6_10084
.LBB6_10083:                            ;   in Loop: Header=BB6_9580 Depth=2
	v_bfe_u32 v0, v10, 24, 3
	v_bfe_u32 v3, v10, 27, 4
	v_ffbh_u32_e32 v1, v0
	v_cmp_eq_u32_e32 vcc_lo, 0, v3
	v_min_u32_e32 v1, 32, v1
	v_subrev_nc_u32_e32 v2, 28, v1
	v_sub_nc_u32_e32 v1, 29, v1
	v_lshlrev_b32_sdwa v2, v2, v10 dst_sel:DWORD dst_unused:UNUSED_PAD src0_sel:DWORD src1_sel:BYTE_3
	v_cndmask_b32_e32 v1, v3, v1, vcc_lo
	v_and_b32_e32 v2, 7, v2
	v_lshl_add_u32 v1, v1, 23, 0x3b800000
	v_cndmask_b32_e32 v0, v0, v2, vcc_lo
	v_and_b32_e32 v2, 0x80000000, v10
	v_lshlrev_b32_e32 v0, 20, v0
	v_or3_b32 v0, v2, v1, v0
.LBB6_10084:                            ;   in Loop: Header=BB6_9580 Depth=2
	s_or_b32 exec_lo, exec_lo, s29
	v_mul_f32_e32 v0, s28, v0
	v_mov_b32_e32 v76, 0x8000
	s_mov_b32 s29, exec_lo
	v_and_b32_e32 v1, 0x7f800000, v0
	v_cmpx_ne_u32_e32 0x7f800000, v1
	s_cbranch_execz .LBB6_10092
; %bb.10085:                            ;   in Loop: Header=BB6_9580 Depth=2
	v_mov_b32_e32 v76, 0
	s_mov_b32 s40, exec_lo
	v_cmpx_ne_u32_e32 0, v0
	s_cbranch_execz .LBB6_10091
; %bb.10086:                            ;   in Loop: Header=BB6_9580 Depth=2
	v_bfe_u32 v1, v0, 23, 8
	v_and_b32_e32 v2, 0x7fffff, v0
	v_sub_nc_u32_e32 v3, 0x78, v1
	v_cmp_gt_u32_e32 vcc_lo, 0x79, v1
	v_or_b32_e32 v4, 0x800000, v2
	v_cndmask_b32_e32 v3, 0, v3, vcc_lo
	v_cmp_eq_u32_e32 vcc_lo, 0, v1
	v_add_nc_u32_e32 v1, 0xffffff89, v1
	v_cndmask_b32_e64 v3, v3, 0x77, vcc_lo
	v_cndmask_b32_e32 v2, v4, v2, vcc_lo
	v_cndmask_b32_e64 v1, v1, 0xffffff8a, vcc_lo
	v_lshl_add_u32 v4, 0x100000, v3, -1
	v_lshrrev_b32_e32 v5, v3, v2
	v_lshlrev_b32_e64 v7, v3, 0x80000
	v_add_nc_u32_e32 v3, v3, v1
	v_and_b32_e32 v2, v4, v2
	v_bfe_u32 v6, v5, 20, 1
	v_cmp_eq_u32_e64 s13, v2, v7
	v_add_nc_u32_e32 v4, -1, v6
	v_cndmask_b32_e64 v2, 0, v4, s13
	v_lshrrev_b32_e32 v4, 23, v5
	s_mov_b32 s13, exec_lo
	v_add_nc_u32_e32 v2, v2, v5
	v_xor_b32_e32 v4, 1, v4
	v_and_b32_e32 v1, 0xfffff, v2
	v_add_nc_u32_e32 v2, v1, v5
                                        ; implicit-def: $vgpr1
	v_cmpx_ne_u32_e64 v3, v4
	s_xor_b32 s13, exec_lo, s13
; %bb.10087:                            ;   in Loop: Header=BB6_9580 Depth=2
	v_cmp_lt_u32_e32 vcc_lo, 0xffffff, v2
	v_sub_nc_u32_e32 v1, v3, v4
	v_cndmask_b32_e64 v3, 0, 1, vcc_lo
	v_add_co_ci_u32_e64 v1, null, 0, v1, vcc_lo
	v_lshrrev_b32_e32 v2, v3, v2
; %bb.10088:                            ;   in Loop: Header=BB6_9580 Depth=2
	s_andn2_saveexec_b32 s13, s13
; %bb.10089:                            ;   in Loop: Header=BB6_9580 Depth=2
	v_bfe_u32 v1, v2, 23, 1
; %bb.10090:                            ;   in Loop: Header=BB6_9580 Depth=2
	s_or_b32 exec_lo, exec_lo, s13
	v_lshrrev_b32_e32 v2, 20, v2
	v_min_i32_e32 v3, 15, v1
	v_cmp_gt_i32_e32 vcc_lo, 16, v1
	v_and_b32_sdwa v0, v0, v81 dst_sel:DWORD dst_unused:UNUSED_PAD src0_sel:BYTE_3 src1_sel:DWORD
	v_lshlrev_b32_e32 v3, 3, v3
	v_cndmask_b32_e32 v2, 7, v2, vcc_lo
	v_and_b32_e32 v3, 0xf8, v3
	v_and_b32_e32 v4, 7, v2
	v_or_b32_e32 v1, v1, v2
	v_or3_b32 v0, v0, v3, v4
	v_cmp_ne_u32_e32 vcc_lo, 0, v1
	v_lshlrev_b32_e32 v0, 8, v0
	v_cndmask_b32_e32 v76, 0, v0, vcc_lo
.LBB6_10091:                            ;   in Loop: Header=BB6_9580 Depth=2
	s_or_b32 exec_lo, exec_lo, s40
.LBB6_10092:                            ;   in Loop: Header=BB6_9580 Depth=2
	s_or_b32 exec_lo, exec_lo, s29
	v_cmp_gt_i16_sdwa s29, v11, v80 src0_sel:BYTE_0 src1_sel:DWORD
	s_mov_b32 s13, 0
	s_and_saveexec_b32 s40, s29
	s_xor_b32 s29, exec_lo, s40
	s_cbranch_execz .LBB6_11450
; %bb.10093:                            ;   in Loop: Header=BB6_9580 Depth=2
	v_cmp_eq_u16_sdwa s41, v11, v81 src0_sel:BYTE_0 src1_sel:DWORD
	s_mov_b32 s13, -1
	s_and_saveexec_b32 s40, s41
; %bb.10094:                            ;   in Loop: Header=BB6_9580 Depth=2
	s_xor_b32 s13, exec_lo, -1
; %bb.10095:                            ;   in Loop: Header=BB6_9580 Depth=2
	s_or_b32 exec_lo, exec_lo, s40
	s_and_b32 s13, s13, exec_lo
	s_or_saveexec_b32 s29, s29
	v_mov_b32_e32 v0, 0x7f800001
	s_xor_b32 exec_lo, exec_lo, s29
	s_cbranch_execnz .LBB6_11451
.LBB6_10096:                            ;   in Loop: Header=BB6_9580 Depth=2
	s_or_b32 exec_lo, exec_lo, s29
	s_and_saveexec_b32 s29, s13
	s_cbranch_execz .LBB6_10098
.LBB6_10097:                            ;   in Loop: Header=BB6_9580 Depth=2
	v_and_b32_e32 v0, 7, v11
	v_bfe_u32 v3, v11, 3, 4
	v_lshlrev_b32_e32 v4, 24, v11
	v_ffbh_u32_e32 v1, v0
	v_cmp_eq_u32_e32 vcc_lo, 0, v3
	v_min_u32_e32 v1, 32, v1
	v_subrev_nc_u32_e32 v2, 28, v1
	v_sub_nc_u32_e32 v1, 29, v1
	v_lshlrev_b32_e32 v2, v2, v11
	v_cndmask_b32_e32 v1, v3, v1, vcc_lo
	v_and_b32_e32 v2, 7, v2
	v_lshl_add_u32 v1, v1, 23, 0x3b800000
	v_cndmask_b32_e32 v0, v0, v2, vcc_lo
	v_and_b32_e32 v2, 0x80000000, v4
	v_lshlrev_b32_e32 v0, 20, v0
	v_or3_b32 v0, v2, v1, v0
.LBB6_10098:                            ;   in Loop: Header=BB6_9580 Depth=2
	s_or_b32 exec_lo, exec_lo, s29
	v_mul_f32_e32 v0, s28, v0
	v_mov_b32_e32 v77, 0x80
	s_mov_b32 s29, exec_lo
	v_and_b32_e32 v1, 0x7f800000, v0
	v_cmpx_ne_u32_e32 0x7f800000, v1
	s_cbranch_execz .LBB6_10106
; %bb.10099:                            ;   in Loop: Header=BB6_9580 Depth=2
	v_mov_b32_e32 v77, 0
	s_mov_b32 s40, exec_lo
	v_cmpx_ne_u32_e32 0, v0
	s_cbranch_execz .LBB6_10105
; %bb.10100:                            ;   in Loop: Header=BB6_9580 Depth=2
	v_bfe_u32 v1, v0, 23, 8
	v_and_b32_e32 v2, 0x7fffff, v0
	v_sub_nc_u32_e32 v3, 0x78, v1
	v_cmp_gt_u32_e32 vcc_lo, 0x79, v1
	v_or_b32_e32 v4, 0x800000, v2
	v_cndmask_b32_e32 v3, 0, v3, vcc_lo
	v_cmp_eq_u32_e32 vcc_lo, 0, v1
	v_add_nc_u32_e32 v1, 0xffffff89, v1
	v_cndmask_b32_e64 v3, v3, 0x77, vcc_lo
	v_cndmask_b32_e32 v2, v4, v2, vcc_lo
	v_cndmask_b32_e64 v1, v1, 0xffffff8a, vcc_lo
	v_lshl_add_u32 v4, 0x100000, v3, -1
	v_lshrrev_b32_e32 v5, v3, v2
	v_lshlrev_b32_e64 v7, v3, 0x80000
	v_add_nc_u32_e32 v3, v3, v1
	v_and_b32_e32 v2, v4, v2
	v_bfe_u32 v6, v5, 20, 1
	v_cmp_eq_u32_e64 s13, v2, v7
	v_add_nc_u32_e32 v4, -1, v6
	v_cndmask_b32_e64 v2, 0, v4, s13
	v_lshrrev_b32_e32 v4, 23, v5
	s_mov_b32 s13, exec_lo
	v_add_nc_u32_e32 v2, v2, v5
	v_xor_b32_e32 v4, 1, v4
	v_and_b32_e32 v1, 0xfffff, v2
	v_add_nc_u32_e32 v2, v1, v5
                                        ; implicit-def: $vgpr1
	v_cmpx_ne_u32_e64 v3, v4
	s_xor_b32 s13, exec_lo, s13
; %bb.10101:                            ;   in Loop: Header=BB6_9580 Depth=2
	v_cmp_lt_u32_e32 vcc_lo, 0xffffff, v2
	v_sub_nc_u32_e32 v1, v3, v4
	v_cndmask_b32_e64 v3, 0, 1, vcc_lo
	v_add_co_ci_u32_e64 v1, null, 0, v1, vcc_lo
	v_lshrrev_b32_e32 v2, v3, v2
; %bb.10102:                            ;   in Loop: Header=BB6_9580 Depth=2
	s_andn2_saveexec_b32 s13, s13
; %bb.10103:                            ;   in Loop: Header=BB6_9580 Depth=2
	v_bfe_u32 v1, v2, 23, 1
; %bb.10104:                            ;   in Loop: Header=BB6_9580 Depth=2
	s_or_b32 exec_lo, exec_lo, s13
	v_lshrrev_b32_e32 v2, 20, v2
	v_min_i32_e32 v3, 15, v1
	v_cmp_gt_i32_e32 vcc_lo, 16, v1
	v_and_b32_sdwa v0, v0, v81 dst_sel:DWORD dst_unused:UNUSED_PAD src0_sel:BYTE_3 src1_sel:DWORD
	v_lshlrev_b32_e32 v3, 3, v3
	v_cndmask_b32_e32 v2, 7, v2, vcc_lo
	v_and_b32_e32 v3, 0xf8, v3
	v_and_b32_e32 v4, 7, v2
	v_or_b32_e32 v1, v1, v2
	v_or3_b32 v0, v3, v0, v4
	v_cmp_ne_u32_e32 vcc_lo, 0, v1
	v_cndmask_b32_e32 v77, 0, v0, vcc_lo
.LBB6_10105:                            ;   in Loop: Header=BB6_9580 Depth=2
	s_or_b32 exec_lo, exec_lo, s40
.LBB6_10106:                            ;   in Loop: Header=BB6_9580 Depth=2
	s_or_b32 exec_lo, exec_lo, s29
	v_cmp_gt_i16_sdwa s29, v11, v80 src0_sel:BYTE_1 src1_sel:DWORD
	s_mov_b32 s13, 0
	s_and_saveexec_b32 s40, s29
	s_xor_b32 s29, exec_lo, s40
	s_cbranch_execz .LBB6_11452
; %bb.10107:                            ;   in Loop: Header=BB6_9580 Depth=2
	v_cmp_eq_u16_sdwa s41, v11, v81 src0_sel:BYTE_1 src1_sel:DWORD
	s_mov_b32 s13, -1
	s_and_saveexec_b32 s40, s41
; %bb.10108:                            ;   in Loop: Header=BB6_9580 Depth=2
	s_xor_b32 s13, exec_lo, -1
; %bb.10109:                            ;   in Loop: Header=BB6_9580 Depth=2
	s_or_b32 exec_lo, exec_lo, s40
	s_and_b32 s13, s13, exec_lo
	s_or_saveexec_b32 s29, s29
	v_mov_b32_e32 v0, 0x7f800001
	s_xor_b32 exec_lo, exec_lo, s29
	s_cbranch_execnz .LBB6_11453
.LBB6_10110:                            ;   in Loop: Header=BB6_9580 Depth=2
	s_or_b32 exec_lo, exec_lo, s29
	s_and_saveexec_b32 s29, s13
	s_cbranch_execz .LBB6_10112
.LBB6_10111:                            ;   in Loop: Header=BB6_9580 Depth=2
	v_and_b32_sdwa v0, v82, v11 dst_sel:DWORD dst_unused:UNUSED_PAD src0_sel:DWORD src1_sel:BYTE_1
	v_and_b32_e32 v1, 7, v0
	v_bfe_u32 v4, v0, 3, 4
	v_ffbh_u32_e32 v2, v1
	v_cmp_eq_u32_e32 vcc_lo, 0, v4
	v_min_u32_e32 v2, 32, v2
	v_subrev_nc_u32_e32 v3, 28, v2
	v_sub_nc_u32_e32 v2, 29, v2
	v_lshlrev_b32_e32 v0, v3, v0
	v_lshlrev_b32_sdwa v3, v83, v11 dst_sel:DWORD dst_unused:UNUSED_PAD src0_sel:DWORD src1_sel:BYTE_1
	v_cndmask_b32_e32 v2, v4, v2, vcc_lo
	v_and_b32_e32 v0, 7, v0
	v_lshl_add_u32 v2, v2, 23, 0x3b800000
	v_cndmask_b32_e32 v0, v1, v0, vcc_lo
	v_and_b32_e32 v1, 0x80000000, v3
	v_lshlrev_b32_e32 v0, 20, v0
	v_or3_b32 v0, v1, v2, v0
.LBB6_10112:                            ;   in Loop: Header=BB6_9580 Depth=2
	s_or_b32 exec_lo, exec_lo, s29
	v_mul_f32_e32 v0, s28, v0
	v_mov_b32_e32 v78, 0x8000
	s_mov_b32 s29, exec_lo
	v_and_b32_e32 v1, 0x7f800000, v0
	v_cmpx_ne_u32_e32 0x7f800000, v1
	s_cbranch_execz .LBB6_10120
; %bb.10113:                            ;   in Loop: Header=BB6_9580 Depth=2
	v_mov_b32_e32 v78, 0
	s_mov_b32 s40, exec_lo
	v_cmpx_ne_u32_e32 0, v0
	s_cbranch_execz .LBB6_10119
; %bb.10114:                            ;   in Loop: Header=BB6_9580 Depth=2
	v_bfe_u32 v1, v0, 23, 8
	v_and_b32_e32 v2, 0x7fffff, v0
	v_sub_nc_u32_e32 v3, 0x78, v1
	v_cmp_gt_u32_e32 vcc_lo, 0x79, v1
	v_or_b32_e32 v4, 0x800000, v2
	v_cndmask_b32_e32 v3, 0, v3, vcc_lo
	v_cmp_eq_u32_e32 vcc_lo, 0, v1
	v_add_nc_u32_e32 v1, 0xffffff89, v1
	v_cndmask_b32_e64 v3, v3, 0x77, vcc_lo
	v_cndmask_b32_e32 v2, v4, v2, vcc_lo
	v_cndmask_b32_e64 v1, v1, 0xffffff8a, vcc_lo
	v_lshl_add_u32 v4, 0x100000, v3, -1
	v_lshrrev_b32_e32 v5, v3, v2
	v_lshlrev_b32_e64 v7, v3, 0x80000
	v_add_nc_u32_e32 v3, v3, v1
	v_and_b32_e32 v2, v4, v2
	v_bfe_u32 v6, v5, 20, 1
	v_cmp_eq_u32_e64 s13, v2, v7
	v_add_nc_u32_e32 v4, -1, v6
	v_cndmask_b32_e64 v2, 0, v4, s13
	v_lshrrev_b32_e32 v4, 23, v5
	s_mov_b32 s13, exec_lo
	v_add_nc_u32_e32 v2, v2, v5
	v_xor_b32_e32 v4, 1, v4
	v_and_b32_e32 v1, 0xfffff, v2
	v_add_nc_u32_e32 v2, v1, v5
                                        ; implicit-def: $vgpr1
	v_cmpx_ne_u32_e64 v3, v4
	s_xor_b32 s13, exec_lo, s13
; %bb.10115:                            ;   in Loop: Header=BB6_9580 Depth=2
	v_cmp_lt_u32_e32 vcc_lo, 0xffffff, v2
	v_sub_nc_u32_e32 v1, v3, v4
	v_cndmask_b32_e64 v3, 0, 1, vcc_lo
	v_add_co_ci_u32_e64 v1, null, 0, v1, vcc_lo
	v_lshrrev_b32_e32 v2, v3, v2
; %bb.10116:                            ;   in Loop: Header=BB6_9580 Depth=2
	s_andn2_saveexec_b32 s13, s13
; %bb.10117:                            ;   in Loop: Header=BB6_9580 Depth=2
	v_bfe_u32 v1, v2, 23, 1
; %bb.10118:                            ;   in Loop: Header=BB6_9580 Depth=2
	s_or_b32 exec_lo, exec_lo, s13
	v_lshrrev_b32_e32 v2, 20, v2
	v_min_i32_e32 v3, 15, v1
	v_cmp_gt_i32_e32 vcc_lo, 16, v1
	v_and_b32_sdwa v0, v0, v81 dst_sel:DWORD dst_unused:UNUSED_PAD src0_sel:BYTE_3 src1_sel:DWORD
	v_lshlrev_b32_e32 v3, 3, v3
	v_cndmask_b32_e32 v2, 7, v2, vcc_lo
	v_and_b32_e32 v3, 0xf8, v3
	v_and_b32_e32 v4, 7, v2
	v_or_b32_e32 v1, v1, v2
	v_or3_b32 v0, v0, v3, v4
	v_cmp_ne_u32_e32 vcc_lo, 0, v1
	v_lshlrev_b32_e32 v0, 8, v0
	v_cndmask_b32_e32 v78, 0, v0, vcc_lo
.LBB6_10119:                            ;   in Loop: Header=BB6_9580 Depth=2
	s_or_b32 exec_lo, exec_lo, s40
.LBB6_10120:                            ;   in Loop: Header=BB6_9580 Depth=2
	s_or_b32 exec_lo, exec_lo, s29
	v_and_b32_sdwa v1, v11, v86 dst_sel:DWORD dst_unused:UNUSED_PAD src0_sel:WORD_1 src1_sel:DWORD
	s_mov_b32 s13, 0
	s_mov_b32 s29, exec_lo
	v_cmpx_lt_i16_e32 0x7f, v1
	s_xor_b32 s29, exec_lo, s29
	s_cbranch_execz .LBB6_11454
; %bb.10121:                            ;   in Loop: Header=BB6_9580 Depth=2
	s_mov_b32 s13, -1
	s_mov_b32 s40, exec_lo
	v_cmpx_eq_u16_e32 0x80, v1
; %bb.10122:                            ;   in Loop: Header=BB6_9580 Depth=2
	s_xor_b32 s13, exec_lo, -1
; %bb.10123:                            ;   in Loop: Header=BB6_9580 Depth=2
	s_or_b32 exec_lo, exec_lo, s40
	s_and_b32 s13, s13, exec_lo
                                        ; implicit-def: $vgpr1
	s_or_saveexec_b32 s29, s29
	v_mov_b32_e32 v0, 0x7f800001
	s_xor_b32 exec_lo, exec_lo, s29
	s_cbranch_execnz .LBB6_11455
.LBB6_10124:                            ;   in Loop: Header=BB6_9580 Depth=2
	s_or_b32 exec_lo, exec_lo, s29
	s_and_saveexec_b32 s29, s13
	s_cbranch_execz .LBB6_10126
.LBB6_10125:                            ;   in Loop: Header=BB6_9580 Depth=2
	v_bfe_u32 v0, v11, 16, 3
	v_bfe_u32 v3, v11, 19, 4
	v_lshlrev_b32_e32 v4, 8, v11
	v_ffbh_u32_e32 v1, v0
	v_cmp_eq_u32_e32 vcc_lo, 0, v3
	v_min_u32_e32 v1, 32, v1
	v_subrev_nc_u32_e32 v2, 28, v1
	v_sub_nc_u32_e32 v1, 29, v1
	v_lshlrev_b32_sdwa v2, v2, v11 dst_sel:DWORD dst_unused:UNUSED_PAD src0_sel:DWORD src1_sel:WORD_1
	v_cndmask_b32_e32 v1, v3, v1, vcc_lo
	v_and_b32_e32 v2, 7, v2
	v_lshl_add_u32 v1, v1, 23, 0x3b800000
	v_cndmask_b32_e32 v0, v0, v2, vcc_lo
	v_and_b32_e32 v2, 0x80000000, v4
	v_lshlrev_b32_e32 v0, 20, v0
	v_or3_b32 v0, v2, v1, v0
.LBB6_10126:                            ;   in Loop: Header=BB6_9580 Depth=2
	s_or_b32 exec_lo, exec_lo, s29
	v_mul_f32_e32 v0, s28, v0
	v_mov_b32_e32 v79, 0x80
	s_mov_b32 s29, exec_lo
	v_and_b32_e32 v1, 0x7f800000, v0
	v_cmpx_ne_u32_e32 0x7f800000, v1
	s_cbranch_execz .LBB6_10134
; %bb.10127:                            ;   in Loop: Header=BB6_9580 Depth=2
	v_mov_b32_e32 v79, 0
	s_mov_b32 s40, exec_lo
	v_cmpx_ne_u32_e32 0, v0
	s_cbranch_execz .LBB6_10133
; %bb.10128:                            ;   in Loop: Header=BB6_9580 Depth=2
	v_bfe_u32 v1, v0, 23, 8
	v_and_b32_e32 v2, 0x7fffff, v0
	v_sub_nc_u32_e32 v3, 0x78, v1
	v_cmp_gt_u32_e32 vcc_lo, 0x79, v1
	v_or_b32_e32 v4, 0x800000, v2
	v_cndmask_b32_e32 v3, 0, v3, vcc_lo
	v_cmp_eq_u32_e32 vcc_lo, 0, v1
	v_add_nc_u32_e32 v1, 0xffffff89, v1
	v_cndmask_b32_e64 v3, v3, 0x77, vcc_lo
	v_cndmask_b32_e32 v2, v4, v2, vcc_lo
	v_cndmask_b32_e64 v1, v1, 0xffffff8a, vcc_lo
	v_lshl_add_u32 v4, 0x100000, v3, -1
	v_lshrrev_b32_e32 v5, v3, v2
	v_lshlrev_b32_e64 v7, v3, 0x80000
	v_add_nc_u32_e32 v3, v3, v1
	v_and_b32_e32 v2, v4, v2
	v_bfe_u32 v6, v5, 20, 1
	v_cmp_eq_u32_e64 s13, v2, v7
	v_add_nc_u32_e32 v4, -1, v6
	v_cndmask_b32_e64 v2, 0, v4, s13
	v_lshrrev_b32_e32 v4, 23, v5
	s_mov_b32 s13, exec_lo
	v_add_nc_u32_e32 v2, v2, v5
	v_xor_b32_e32 v4, 1, v4
	v_and_b32_e32 v1, 0xfffff, v2
	v_add_nc_u32_e32 v2, v1, v5
                                        ; implicit-def: $vgpr1
	v_cmpx_ne_u32_e64 v3, v4
	s_xor_b32 s13, exec_lo, s13
; %bb.10129:                            ;   in Loop: Header=BB6_9580 Depth=2
	v_cmp_lt_u32_e32 vcc_lo, 0xffffff, v2
	v_sub_nc_u32_e32 v1, v3, v4
	v_cndmask_b32_e64 v3, 0, 1, vcc_lo
	v_add_co_ci_u32_e64 v1, null, 0, v1, vcc_lo
	v_lshrrev_b32_e32 v2, v3, v2
; %bb.10130:                            ;   in Loop: Header=BB6_9580 Depth=2
	s_andn2_saveexec_b32 s13, s13
; %bb.10131:                            ;   in Loop: Header=BB6_9580 Depth=2
	v_bfe_u32 v1, v2, 23, 1
; %bb.10132:                            ;   in Loop: Header=BB6_9580 Depth=2
	s_or_b32 exec_lo, exec_lo, s13
	v_lshrrev_b32_e32 v2, 20, v2
	v_min_i32_e32 v3, 15, v1
	v_cmp_gt_i32_e32 vcc_lo, 16, v1
	v_and_b32_sdwa v0, v0, v81 dst_sel:DWORD dst_unused:UNUSED_PAD src0_sel:BYTE_3 src1_sel:DWORD
	v_lshlrev_b32_e32 v3, 3, v3
	v_cndmask_b32_e32 v2, 7, v2, vcc_lo
	v_and_b32_e32 v3, 0xf8, v3
	v_and_b32_e32 v4, 7, v2
	v_or_b32_e32 v1, v1, v2
	v_or3_b32 v0, v3, v0, v4
	v_cmp_ne_u32_e32 vcc_lo, 0, v1
	v_cndmask_b32_e32 v79, 0, v0, vcc_lo
.LBB6_10133:                            ;   in Loop: Header=BB6_9580 Depth=2
	s_or_b32 exec_lo, exec_lo, s40
.LBB6_10134:                            ;   in Loop: Header=BB6_9580 Depth=2
	s_or_b32 exec_lo, exec_lo, s29
	v_cmp_gt_i16_sdwa s29, v11, v80 src0_sel:BYTE_3 src1_sel:DWORD
	s_mov_b32 s13, 0
	s_and_saveexec_b32 s40, s29
	s_xor_b32 s29, exec_lo, s40
	s_cbranch_execz .LBB6_11456
; %bb.10135:                            ;   in Loop: Header=BB6_9580 Depth=2
	v_cmp_eq_u16_sdwa s41, v11, v81 src0_sel:BYTE_3 src1_sel:DWORD
	s_mov_b32 s13, -1
	s_and_saveexec_b32 s40, s41
; %bb.10136:                            ;   in Loop: Header=BB6_9580 Depth=2
	s_xor_b32 s13, exec_lo, -1
; %bb.10137:                            ;   in Loop: Header=BB6_9580 Depth=2
	s_or_b32 exec_lo, exec_lo, s40
	s_and_b32 s13, s13, exec_lo
	s_or_saveexec_b32 s29, s29
	v_mov_b32_e32 v0, 0x7f800001
	s_xor_b32 exec_lo, exec_lo, s29
	s_cbranch_execnz .LBB6_11457
.LBB6_10138:                            ;   in Loop: Header=BB6_9580 Depth=2
	s_or_b32 exec_lo, exec_lo, s29
	s_and_saveexec_b32 s29, s13
	s_cbranch_execz .LBB6_10140
.LBB6_10139:                            ;   in Loop: Header=BB6_9580 Depth=2
	v_bfe_u32 v0, v11, 24, 3
	v_bfe_u32 v3, v11, 27, 4
	v_ffbh_u32_e32 v1, v0
	v_cmp_eq_u32_e32 vcc_lo, 0, v3
	v_min_u32_e32 v1, 32, v1
	v_subrev_nc_u32_e32 v2, 28, v1
	v_sub_nc_u32_e32 v1, 29, v1
	v_lshlrev_b32_sdwa v2, v2, v11 dst_sel:DWORD dst_unused:UNUSED_PAD src0_sel:DWORD src1_sel:BYTE_3
	v_cndmask_b32_e32 v1, v3, v1, vcc_lo
	v_and_b32_e32 v2, 7, v2
	v_lshl_add_u32 v1, v1, 23, 0x3b800000
	v_cndmask_b32_e32 v0, v0, v2, vcc_lo
	v_and_b32_e32 v2, 0x80000000, v11
	v_lshlrev_b32_e32 v0, 20, v0
	v_or3_b32 v0, v2, v1, v0
.LBB6_10140:                            ;   in Loop: Header=BB6_9580 Depth=2
	s_or_b32 exec_lo, exec_lo, s29
	v_mul_f32_e32 v0, s28, v0
	v_mov_b32_e32 v88, 0x8000
	s_mov_b32 s29, exec_lo
	v_and_b32_e32 v1, 0x7f800000, v0
	v_cmpx_ne_u32_e32 0x7f800000, v1
	s_cbranch_execz .LBB6_10148
; %bb.10141:                            ;   in Loop: Header=BB6_9580 Depth=2
	v_mov_b32_e32 v88, 0
	s_mov_b32 s40, exec_lo
	v_cmpx_ne_u32_e32 0, v0
	s_cbranch_execz .LBB6_10147
; %bb.10142:                            ;   in Loop: Header=BB6_9580 Depth=2
	v_bfe_u32 v1, v0, 23, 8
	v_and_b32_e32 v2, 0x7fffff, v0
	v_sub_nc_u32_e32 v3, 0x78, v1
	v_cmp_gt_u32_e32 vcc_lo, 0x79, v1
	v_or_b32_e32 v4, 0x800000, v2
	v_cndmask_b32_e32 v3, 0, v3, vcc_lo
	v_cmp_eq_u32_e32 vcc_lo, 0, v1
	v_add_nc_u32_e32 v1, 0xffffff89, v1
	v_cndmask_b32_e64 v3, v3, 0x77, vcc_lo
	v_cndmask_b32_e32 v2, v4, v2, vcc_lo
	v_cndmask_b32_e64 v1, v1, 0xffffff8a, vcc_lo
	v_lshl_add_u32 v4, 0x100000, v3, -1
	v_lshrrev_b32_e32 v5, v3, v2
	v_lshlrev_b32_e64 v7, v3, 0x80000
	v_add_nc_u32_e32 v3, v3, v1
	v_and_b32_e32 v2, v4, v2
	v_bfe_u32 v6, v5, 20, 1
	v_cmp_eq_u32_e64 s13, v2, v7
	v_add_nc_u32_e32 v4, -1, v6
	v_cndmask_b32_e64 v2, 0, v4, s13
	v_lshrrev_b32_e32 v4, 23, v5
	s_mov_b32 s13, exec_lo
	v_add_nc_u32_e32 v2, v2, v5
	v_xor_b32_e32 v4, 1, v4
	v_and_b32_e32 v1, 0xfffff, v2
	v_add_nc_u32_e32 v2, v1, v5
                                        ; implicit-def: $vgpr1
	v_cmpx_ne_u32_e64 v3, v4
	s_xor_b32 s13, exec_lo, s13
; %bb.10143:                            ;   in Loop: Header=BB6_9580 Depth=2
	v_cmp_lt_u32_e32 vcc_lo, 0xffffff, v2
	v_sub_nc_u32_e32 v1, v3, v4
	v_cndmask_b32_e64 v3, 0, 1, vcc_lo
	v_add_co_ci_u32_e64 v1, null, 0, v1, vcc_lo
	v_lshrrev_b32_e32 v2, v3, v2
; %bb.10144:                            ;   in Loop: Header=BB6_9580 Depth=2
	s_andn2_saveexec_b32 s13, s13
; %bb.10145:                            ;   in Loop: Header=BB6_9580 Depth=2
	v_bfe_u32 v1, v2, 23, 1
; %bb.10146:                            ;   in Loop: Header=BB6_9580 Depth=2
	s_or_b32 exec_lo, exec_lo, s13
	v_lshrrev_b32_e32 v2, 20, v2
	v_min_i32_e32 v3, 15, v1
	v_cmp_gt_i32_e32 vcc_lo, 16, v1
	v_and_b32_sdwa v0, v0, v81 dst_sel:DWORD dst_unused:UNUSED_PAD src0_sel:BYTE_3 src1_sel:DWORD
	v_lshlrev_b32_e32 v3, 3, v3
	v_cndmask_b32_e32 v2, 7, v2, vcc_lo
	v_and_b32_e32 v3, 0xf8, v3
	v_and_b32_e32 v4, 7, v2
	v_or_b32_e32 v1, v1, v2
	v_or3_b32 v0, v0, v3, v4
	v_cmp_ne_u32_e32 vcc_lo, 0, v1
	v_lshlrev_b32_e32 v0, 8, v0
	v_cndmask_b32_e32 v88, 0, v0, vcc_lo
.LBB6_10147:                            ;   in Loop: Header=BB6_9580 Depth=2
	s_or_b32 exec_lo, exec_lo, s40
.LBB6_10148:                            ;   in Loop: Header=BB6_9580 Depth=2
	s_or_b32 exec_lo, exec_lo, s29
	v_cmp_gt_i16_sdwa s29, v12, v80 src0_sel:BYTE_0 src1_sel:DWORD
	s_mov_b32 s13, 0
	s_and_saveexec_b32 s40, s29
	s_xor_b32 s29, exec_lo, s40
	s_cbranch_execz .LBB6_11458
; %bb.10149:                            ;   in Loop: Header=BB6_9580 Depth=2
	v_cmp_eq_u16_sdwa s41, v12, v81 src0_sel:BYTE_0 src1_sel:DWORD
	s_mov_b32 s13, -1
	s_and_saveexec_b32 s40, s41
; %bb.10150:                            ;   in Loop: Header=BB6_9580 Depth=2
	s_xor_b32 s13, exec_lo, -1
; %bb.10151:                            ;   in Loop: Header=BB6_9580 Depth=2
	s_or_b32 exec_lo, exec_lo, s40
	s_and_b32 s13, s13, exec_lo
	s_or_saveexec_b32 s29, s29
	v_mov_b32_e32 v0, 0x7f800001
	s_xor_b32 exec_lo, exec_lo, s29
	s_cbranch_execnz .LBB6_11459
.LBB6_10152:                            ;   in Loop: Header=BB6_9580 Depth=2
	s_or_b32 exec_lo, exec_lo, s29
	s_and_saveexec_b32 s29, s13
	s_cbranch_execz .LBB6_10154
.LBB6_10153:                            ;   in Loop: Header=BB6_9580 Depth=2
	v_and_b32_e32 v0, 7, v12
	v_bfe_u32 v3, v12, 3, 4
	v_lshlrev_b32_e32 v4, 24, v12
	v_ffbh_u32_e32 v1, v0
	v_cmp_eq_u32_e32 vcc_lo, 0, v3
	v_min_u32_e32 v1, 32, v1
	v_subrev_nc_u32_e32 v2, 28, v1
	v_sub_nc_u32_e32 v1, 29, v1
	v_lshlrev_b32_e32 v2, v2, v12
	v_cndmask_b32_e32 v1, v3, v1, vcc_lo
	v_and_b32_e32 v2, 7, v2
	v_lshl_add_u32 v1, v1, 23, 0x3b800000
	v_cndmask_b32_e32 v0, v0, v2, vcc_lo
	v_and_b32_e32 v2, 0x80000000, v4
	v_lshlrev_b32_e32 v0, 20, v0
	v_or3_b32 v0, v2, v1, v0
.LBB6_10154:                            ;   in Loop: Header=BB6_9580 Depth=2
	s_or_b32 exec_lo, exec_lo, s29
	v_mul_f32_e32 v0, s28, v0
	v_mov_b32_e32 v89, 0x80
	s_mov_b32 s29, exec_lo
	v_and_b32_e32 v1, 0x7f800000, v0
	v_cmpx_ne_u32_e32 0x7f800000, v1
	s_cbranch_execz .LBB6_10162
; %bb.10155:                            ;   in Loop: Header=BB6_9580 Depth=2
	v_mov_b32_e32 v89, 0
	s_mov_b32 s40, exec_lo
	v_cmpx_ne_u32_e32 0, v0
	s_cbranch_execz .LBB6_10161
; %bb.10156:                            ;   in Loop: Header=BB6_9580 Depth=2
	v_bfe_u32 v1, v0, 23, 8
	v_and_b32_e32 v2, 0x7fffff, v0
	v_sub_nc_u32_e32 v3, 0x78, v1
	v_cmp_gt_u32_e32 vcc_lo, 0x79, v1
	v_or_b32_e32 v4, 0x800000, v2
	v_cndmask_b32_e32 v3, 0, v3, vcc_lo
	v_cmp_eq_u32_e32 vcc_lo, 0, v1
	v_add_nc_u32_e32 v1, 0xffffff89, v1
	v_cndmask_b32_e64 v3, v3, 0x77, vcc_lo
	v_cndmask_b32_e32 v2, v4, v2, vcc_lo
	v_cndmask_b32_e64 v1, v1, 0xffffff8a, vcc_lo
	v_lshl_add_u32 v4, 0x100000, v3, -1
	v_lshrrev_b32_e32 v5, v3, v2
	v_lshlrev_b32_e64 v7, v3, 0x80000
	v_add_nc_u32_e32 v3, v3, v1
	v_and_b32_e32 v2, v4, v2
	v_bfe_u32 v6, v5, 20, 1
	v_cmp_eq_u32_e64 s13, v2, v7
	v_add_nc_u32_e32 v4, -1, v6
	v_cndmask_b32_e64 v2, 0, v4, s13
	v_lshrrev_b32_e32 v4, 23, v5
	s_mov_b32 s13, exec_lo
	v_add_nc_u32_e32 v2, v2, v5
	v_xor_b32_e32 v4, 1, v4
	v_and_b32_e32 v1, 0xfffff, v2
	v_add_nc_u32_e32 v2, v1, v5
                                        ; implicit-def: $vgpr1
	v_cmpx_ne_u32_e64 v3, v4
	s_xor_b32 s13, exec_lo, s13
; %bb.10157:                            ;   in Loop: Header=BB6_9580 Depth=2
	v_cmp_lt_u32_e32 vcc_lo, 0xffffff, v2
	v_sub_nc_u32_e32 v1, v3, v4
	v_cndmask_b32_e64 v3, 0, 1, vcc_lo
	v_add_co_ci_u32_e64 v1, null, 0, v1, vcc_lo
	v_lshrrev_b32_e32 v2, v3, v2
; %bb.10158:                            ;   in Loop: Header=BB6_9580 Depth=2
	s_andn2_saveexec_b32 s13, s13
; %bb.10159:                            ;   in Loop: Header=BB6_9580 Depth=2
	v_bfe_u32 v1, v2, 23, 1
; %bb.10160:                            ;   in Loop: Header=BB6_9580 Depth=2
	s_or_b32 exec_lo, exec_lo, s13
	v_lshrrev_b32_e32 v2, 20, v2
	v_min_i32_e32 v3, 15, v1
	v_cmp_gt_i32_e32 vcc_lo, 16, v1
	v_and_b32_sdwa v0, v0, v81 dst_sel:DWORD dst_unused:UNUSED_PAD src0_sel:BYTE_3 src1_sel:DWORD
	v_lshlrev_b32_e32 v3, 3, v3
	v_cndmask_b32_e32 v2, 7, v2, vcc_lo
	v_and_b32_e32 v3, 0xf8, v3
	v_and_b32_e32 v4, 7, v2
	v_or_b32_e32 v1, v1, v2
	v_or3_b32 v0, v3, v0, v4
	v_cmp_ne_u32_e32 vcc_lo, 0, v1
	v_cndmask_b32_e32 v89, 0, v0, vcc_lo
.LBB6_10161:                            ;   in Loop: Header=BB6_9580 Depth=2
	s_or_b32 exec_lo, exec_lo, s40
.LBB6_10162:                            ;   in Loop: Header=BB6_9580 Depth=2
	s_or_b32 exec_lo, exec_lo, s29
	v_cmp_gt_i16_sdwa s29, v12, v80 src0_sel:BYTE_1 src1_sel:DWORD
	s_mov_b32 s13, 0
	s_and_saveexec_b32 s40, s29
	s_xor_b32 s29, exec_lo, s40
	s_cbranch_execz .LBB6_11460
; %bb.10163:                            ;   in Loop: Header=BB6_9580 Depth=2
	v_cmp_eq_u16_sdwa s41, v12, v81 src0_sel:BYTE_1 src1_sel:DWORD
	s_mov_b32 s13, -1
	s_and_saveexec_b32 s40, s41
; %bb.10164:                            ;   in Loop: Header=BB6_9580 Depth=2
	s_xor_b32 s13, exec_lo, -1
; %bb.10165:                            ;   in Loop: Header=BB6_9580 Depth=2
	s_or_b32 exec_lo, exec_lo, s40
	s_and_b32 s13, s13, exec_lo
	s_or_saveexec_b32 s29, s29
	v_mov_b32_e32 v0, 0x7f800001
	s_xor_b32 exec_lo, exec_lo, s29
	s_cbranch_execnz .LBB6_11461
.LBB6_10166:                            ;   in Loop: Header=BB6_9580 Depth=2
	s_or_b32 exec_lo, exec_lo, s29
	s_and_saveexec_b32 s29, s13
	s_cbranch_execz .LBB6_10168
.LBB6_10167:                            ;   in Loop: Header=BB6_9580 Depth=2
	v_and_b32_sdwa v0, v82, v12 dst_sel:DWORD dst_unused:UNUSED_PAD src0_sel:DWORD src1_sel:BYTE_1
	v_and_b32_e32 v1, 7, v0
	v_bfe_u32 v4, v0, 3, 4
	v_ffbh_u32_e32 v2, v1
	v_cmp_eq_u32_e32 vcc_lo, 0, v4
	v_min_u32_e32 v2, 32, v2
	v_subrev_nc_u32_e32 v3, 28, v2
	v_sub_nc_u32_e32 v2, 29, v2
	v_lshlrev_b32_e32 v0, v3, v0
	v_lshlrev_b32_sdwa v3, v83, v12 dst_sel:DWORD dst_unused:UNUSED_PAD src0_sel:DWORD src1_sel:BYTE_1
	v_cndmask_b32_e32 v2, v4, v2, vcc_lo
	v_and_b32_e32 v0, 7, v0
	v_lshl_add_u32 v2, v2, 23, 0x3b800000
	v_cndmask_b32_e32 v0, v1, v0, vcc_lo
	v_and_b32_e32 v1, 0x80000000, v3
	v_lshlrev_b32_e32 v0, 20, v0
	v_or3_b32 v0, v1, v2, v0
.LBB6_10168:                            ;   in Loop: Header=BB6_9580 Depth=2
	s_or_b32 exec_lo, exec_lo, s29
	v_mul_f32_e32 v0, s28, v0
	v_mov_b32_e32 v90, 0x8000
	s_mov_b32 s29, exec_lo
	v_and_b32_e32 v1, 0x7f800000, v0
	v_cmpx_ne_u32_e32 0x7f800000, v1
	s_cbranch_execz .LBB6_10176
; %bb.10169:                            ;   in Loop: Header=BB6_9580 Depth=2
	v_mov_b32_e32 v90, 0
	s_mov_b32 s40, exec_lo
	v_cmpx_ne_u32_e32 0, v0
	s_cbranch_execz .LBB6_10175
; %bb.10170:                            ;   in Loop: Header=BB6_9580 Depth=2
	v_bfe_u32 v1, v0, 23, 8
	v_and_b32_e32 v2, 0x7fffff, v0
	v_sub_nc_u32_e32 v3, 0x78, v1
	v_cmp_gt_u32_e32 vcc_lo, 0x79, v1
	v_or_b32_e32 v4, 0x800000, v2
	v_cndmask_b32_e32 v3, 0, v3, vcc_lo
	v_cmp_eq_u32_e32 vcc_lo, 0, v1
	v_add_nc_u32_e32 v1, 0xffffff89, v1
	v_cndmask_b32_e64 v3, v3, 0x77, vcc_lo
	v_cndmask_b32_e32 v2, v4, v2, vcc_lo
	v_cndmask_b32_e64 v1, v1, 0xffffff8a, vcc_lo
	v_lshl_add_u32 v4, 0x100000, v3, -1
	v_lshrrev_b32_e32 v5, v3, v2
	v_lshlrev_b32_e64 v7, v3, 0x80000
	v_add_nc_u32_e32 v3, v3, v1
	v_and_b32_e32 v2, v4, v2
	v_bfe_u32 v6, v5, 20, 1
	v_cmp_eq_u32_e64 s13, v2, v7
	v_add_nc_u32_e32 v4, -1, v6
	v_cndmask_b32_e64 v2, 0, v4, s13
	v_lshrrev_b32_e32 v4, 23, v5
	s_mov_b32 s13, exec_lo
	v_add_nc_u32_e32 v2, v2, v5
	v_xor_b32_e32 v4, 1, v4
	v_and_b32_e32 v1, 0xfffff, v2
	v_add_nc_u32_e32 v2, v1, v5
                                        ; implicit-def: $vgpr1
	v_cmpx_ne_u32_e64 v3, v4
	s_xor_b32 s13, exec_lo, s13
; %bb.10171:                            ;   in Loop: Header=BB6_9580 Depth=2
	v_cmp_lt_u32_e32 vcc_lo, 0xffffff, v2
	v_sub_nc_u32_e32 v1, v3, v4
	v_cndmask_b32_e64 v3, 0, 1, vcc_lo
	v_add_co_ci_u32_e64 v1, null, 0, v1, vcc_lo
	v_lshrrev_b32_e32 v2, v3, v2
; %bb.10172:                            ;   in Loop: Header=BB6_9580 Depth=2
	s_andn2_saveexec_b32 s13, s13
; %bb.10173:                            ;   in Loop: Header=BB6_9580 Depth=2
	v_bfe_u32 v1, v2, 23, 1
; %bb.10174:                            ;   in Loop: Header=BB6_9580 Depth=2
	s_or_b32 exec_lo, exec_lo, s13
	v_lshrrev_b32_e32 v2, 20, v2
	v_min_i32_e32 v3, 15, v1
	v_cmp_gt_i32_e32 vcc_lo, 16, v1
	v_and_b32_sdwa v0, v0, v81 dst_sel:DWORD dst_unused:UNUSED_PAD src0_sel:BYTE_3 src1_sel:DWORD
	v_lshlrev_b32_e32 v3, 3, v3
	v_cndmask_b32_e32 v2, 7, v2, vcc_lo
	v_and_b32_e32 v3, 0xf8, v3
	v_and_b32_e32 v4, 7, v2
	v_or_b32_e32 v1, v1, v2
	v_or3_b32 v0, v0, v3, v4
	v_cmp_ne_u32_e32 vcc_lo, 0, v1
	v_lshlrev_b32_e32 v0, 8, v0
	v_cndmask_b32_e32 v90, 0, v0, vcc_lo
.LBB6_10175:                            ;   in Loop: Header=BB6_9580 Depth=2
	s_or_b32 exec_lo, exec_lo, s40
.LBB6_10176:                            ;   in Loop: Header=BB6_9580 Depth=2
	s_or_b32 exec_lo, exec_lo, s29
	v_and_b32_sdwa v1, v12, v86 dst_sel:DWORD dst_unused:UNUSED_PAD src0_sel:WORD_1 src1_sel:DWORD
	s_mov_b32 s13, 0
	s_mov_b32 s29, exec_lo
	v_cmpx_lt_i16_e32 0x7f, v1
	s_xor_b32 s29, exec_lo, s29
	s_cbranch_execz .LBB6_11462
; %bb.10177:                            ;   in Loop: Header=BB6_9580 Depth=2
	s_mov_b32 s13, -1
	s_mov_b32 s40, exec_lo
	v_cmpx_eq_u16_e32 0x80, v1
; %bb.10178:                            ;   in Loop: Header=BB6_9580 Depth=2
	s_xor_b32 s13, exec_lo, -1
; %bb.10179:                            ;   in Loop: Header=BB6_9580 Depth=2
	s_or_b32 exec_lo, exec_lo, s40
	s_and_b32 s13, s13, exec_lo
                                        ; implicit-def: $vgpr1
	s_or_saveexec_b32 s29, s29
	v_mov_b32_e32 v0, 0x7f800001
	s_xor_b32 exec_lo, exec_lo, s29
	s_cbranch_execnz .LBB6_11463
.LBB6_10180:                            ;   in Loop: Header=BB6_9580 Depth=2
	s_or_b32 exec_lo, exec_lo, s29
	s_and_saveexec_b32 s29, s13
	s_cbranch_execz .LBB6_10182
.LBB6_10181:                            ;   in Loop: Header=BB6_9580 Depth=2
	v_bfe_u32 v0, v12, 16, 3
	v_bfe_u32 v3, v12, 19, 4
	v_lshlrev_b32_e32 v4, 8, v12
	v_ffbh_u32_e32 v1, v0
	v_cmp_eq_u32_e32 vcc_lo, 0, v3
	v_min_u32_e32 v1, 32, v1
	v_subrev_nc_u32_e32 v2, 28, v1
	v_sub_nc_u32_e32 v1, 29, v1
	v_lshlrev_b32_sdwa v2, v2, v12 dst_sel:DWORD dst_unused:UNUSED_PAD src0_sel:DWORD src1_sel:WORD_1
	v_cndmask_b32_e32 v1, v3, v1, vcc_lo
	v_and_b32_e32 v2, 7, v2
	v_lshl_add_u32 v1, v1, 23, 0x3b800000
	v_cndmask_b32_e32 v0, v0, v2, vcc_lo
	v_and_b32_e32 v2, 0x80000000, v4
	v_lshlrev_b32_e32 v0, 20, v0
	v_or3_b32 v0, v2, v1, v0
.LBB6_10182:                            ;   in Loop: Header=BB6_9580 Depth=2
	s_or_b32 exec_lo, exec_lo, s29
	v_mul_f32_e32 v0, s28, v0
	v_mov_b32_e32 v91, 0x80
	s_mov_b32 s29, exec_lo
	v_and_b32_e32 v1, 0x7f800000, v0
	v_cmpx_ne_u32_e32 0x7f800000, v1
	s_cbranch_execz .LBB6_10190
; %bb.10183:                            ;   in Loop: Header=BB6_9580 Depth=2
	v_mov_b32_e32 v91, 0
	s_mov_b32 s40, exec_lo
	v_cmpx_ne_u32_e32 0, v0
	s_cbranch_execz .LBB6_10189
; %bb.10184:                            ;   in Loop: Header=BB6_9580 Depth=2
	v_bfe_u32 v1, v0, 23, 8
	v_and_b32_e32 v2, 0x7fffff, v0
	v_sub_nc_u32_e32 v3, 0x78, v1
	v_cmp_gt_u32_e32 vcc_lo, 0x79, v1
	v_or_b32_e32 v4, 0x800000, v2
	v_cndmask_b32_e32 v3, 0, v3, vcc_lo
	v_cmp_eq_u32_e32 vcc_lo, 0, v1
	v_add_nc_u32_e32 v1, 0xffffff89, v1
	v_cndmask_b32_e64 v3, v3, 0x77, vcc_lo
	v_cndmask_b32_e32 v2, v4, v2, vcc_lo
	v_cndmask_b32_e64 v1, v1, 0xffffff8a, vcc_lo
	v_lshl_add_u32 v4, 0x100000, v3, -1
	v_lshrrev_b32_e32 v5, v3, v2
	v_lshlrev_b32_e64 v7, v3, 0x80000
	v_add_nc_u32_e32 v3, v3, v1
	v_and_b32_e32 v2, v4, v2
	v_bfe_u32 v6, v5, 20, 1
	v_cmp_eq_u32_e64 s13, v2, v7
	v_add_nc_u32_e32 v4, -1, v6
	v_cndmask_b32_e64 v2, 0, v4, s13
	v_lshrrev_b32_e32 v4, 23, v5
	s_mov_b32 s13, exec_lo
	v_add_nc_u32_e32 v2, v2, v5
	v_xor_b32_e32 v4, 1, v4
	v_and_b32_e32 v1, 0xfffff, v2
	v_add_nc_u32_e32 v2, v1, v5
                                        ; implicit-def: $vgpr1
	v_cmpx_ne_u32_e64 v3, v4
	s_xor_b32 s13, exec_lo, s13
; %bb.10185:                            ;   in Loop: Header=BB6_9580 Depth=2
	v_cmp_lt_u32_e32 vcc_lo, 0xffffff, v2
	v_sub_nc_u32_e32 v1, v3, v4
	v_cndmask_b32_e64 v3, 0, 1, vcc_lo
	v_add_co_ci_u32_e64 v1, null, 0, v1, vcc_lo
	v_lshrrev_b32_e32 v2, v3, v2
; %bb.10186:                            ;   in Loop: Header=BB6_9580 Depth=2
	s_andn2_saveexec_b32 s13, s13
; %bb.10187:                            ;   in Loop: Header=BB6_9580 Depth=2
	v_bfe_u32 v1, v2, 23, 1
; %bb.10188:                            ;   in Loop: Header=BB6_9580 Depth=2
	s_or_b32 exec_lo, exec_lo, s13
	v_lshrrev_b32_e32 v2, 20, v2
	v_min_i32_e32 v3, 15, v1
	v_cmp_gt_i32_e32 vcc_lo, 16, v1
	v_and_b32_sdwa v0, v0, v81 dst_sel:DWORD dst_unused:UNUSED_PAD src0_sel:BYTE_3 src1_sel:DWORD
	v_lshlrev_b32_e32 v3, 3, v3
	v_cndmask_b32_e32 v2, 7, v2, vcc_lo
	v_and_b32_e32 v3, 0xf8, v3
	v_and_b32_e32 v4, 7, v2
	v_or_b32_e32 v1, v1, v2
	v_or3_b32 v0, v3, v0, v4
	v_cmp_ne_u32_e32 vcc_lo, 0, v1
	v_cndmask_b32_e32 v91, 0, v0, vcc_lo
.LBB6_10189:                            ;   in Loop: Header=BB6_9580 Depth=2
	s_or_b32 exec_lo, exec_lo, s40
.LBB6_10190:                            ;   in Loop: Header=BB6_9580 Depth=2
	s_or_b32 exec_lo, exec_lo, s29
	v_cmp_gt_i16_sdwa s29, v12, v80 src0_sel:BYTE_3 src1_sel:DWORD
	s_mov_b32 s13, 0
	s_and_saveexec_b32 s40, s29
	s_xor_b32 s29, exec_lo, s40
	s_cbranch_execz .LBB6_11464
; %bb.10191:                            ;   in Loop: Header=BB6_9580 Depth=2
	v_cmp_eq_u16_sdwa s41, v12, v81 src0_sel:BYTE_3 src1_sel:DWORD
	s_mov_b32 s13, -1
	s_and_saveexec_b32 s40, s41
; %bb.10192:                            ;   in Loop: Header=BB6_9580 Depth=2
	s_xor_b32 s13, exec_lo, -1
; %bb.10193:                            ;   in Loop: Header=BB6_9580 Depth=2
	s_or_b32 exec_lo, exec_lo, s40
	s_and_b32 s13, s13, exec_lo
	s_or_saveexec_b32 s29, s29
	v_mov_b32_e32 v0, 0x7f800001
	s_xor_b32 exec_lo, exec_lo, s29
	s_cbranch_execnz .LBB6_11465
.LBB6_10194:                            ;   in Loop: Header=BB6_9580 Depth=2
	s_or_b32 exec_lo, exec_lo, s29
	s_and_saveexec_b32 s29, s13
	s_cbranch_execz .LBB6_10196
.LBB6_10195:                            ;   in Loop: Header=BB6_9580 Depth=2
	v_bfe_u32 v0, v12, 24, 3
	v_bfe_u32 v3, v12, 27, 4
	v_ffbh_u32_e32 v1, v0
	v_cmp_eq_u32_e32 vcc_lo, 0, v3
	v_min_u32_e32 v1, 32, v1
	v_subrev_nc_u32_e32 v2, 28, v1
	v_sub_nc_u32_e32 v1, 29, v1
	v_lshlrev_b32_sdwa v2, v2, v12 dst_sel:DWORD dst_unused:UNUSED_PAD src0_sel:DWORD src1_sel:BYTE_3
	v_cndmask_b32_e32 v1, v3, v1, vcc_lo
	v_and_b32_e32 v2, 7, v2
	v_lshl_add_u32 v1, v1, 23, 0x3b800000
	v_cndmask_b32_e32 v0, v0, v2, vcc_lo
	v_and_b32_e32 v2, 0x80000000, v12
	v_lshlrev_b32_e32 v0, 20, v0
	v_or3_b32 v0, v2, v1, v0
.LBB6_10196:                            ;   in Loop: Header=BB6_9580 Depth=2
	s_or_b32 exec_lo, exec_lo, s29
	v_mul_f32_e32 v0, s28, v0
	v_mov_b32_e32 v92, 0x8000
	s_mov_b32 s29, exec_lo
	v_and_b32_e32 v1, 0x7f800000, v0
	v_cmpx_ne_u32_e32 0x7f800000, v1
	s_cbranch_execz .LBB6_10204
; %bb.10197:                            ;   in Loop: Header=BB6_9580 Depth=2
	v_mov_b32_e32 v92, 0
	s_mov_b32 s40, exec_lo
	v_cmpx_ne_u32_e32 0, v0
	s_cbranch_execz .LBB6_10203
; %bb.10198:                            ;   in Loop: Header=BB6_9580 Depth=2
	v_bfe_u32 v1, v0, 23, 8
	v_and_b32_e32 v2, 0x7fffff, v0
	v_sub_nc_u32_e32 v3, 0x78, v1
	v_cmp_gt_u32_e32 vcc_lo, 0x79, v1
	v_or_b32_e32 v4, 0x800000, v2
	v_cndmask_b32_e32 v3, 0, v3, vcc_lo
	v_cmp_eq_u32_e32 vcc_lo, 0, v1
	v_add_nc_u32_e32 v1, 0xffffff89, v1
	v_cndmask_b32_e64 v3, v3, 0x77, vcc_lo
	v_cndmask_b32_e32 v2, v4, v2, vcc_lo
	v_cndmask_b32_e64 v1, v1, 0xffffff8a, vcc_lo
	v_lshl_add_u32 v4, 0x100000, v3, -1
	v_lshrrev_b32_e32 v5, v3, v2
	v_lshlrev_b32_e64 v7, v3, 0x80000
	v_add_nc_u32_e32 v3, v3, v1
	v_and_b32_e32 v2, v4, v2
	v_bfe_u32 v6, v5, 20, 1
	v_cmp_eq_u32_e64 s13, v2, v7
	v_add_nc_u32_e32 v4, -1, v6
	v_cndmask_b32_e64 v2, 0, v4, s13
	v_lshrrev_b32_e32 v4, 23, v5
	s_mov_b32 s13, exec_lo
	v_add_nc_u32_e32 v2, v2, v5
	v_xor_b32_e32 v4, 1, v4
	v_and_b32_e32 v1, 0xfffff, v2
	v_add_nc_u32_e32 v2, v1, v5
                                        ; implicit-def: $vgpr1
	v_cmpx_ne_u32_e64 v3, v4
	s_xor_b32 s13, exec_lo, s13
; %bb.10199:                            ;   in Loop: Header=BB6_9580 Depth=2
	v_cmp_lt_u32_e32 vcc_lo, 0xffffff, v2
	v_sub_nc_u32_e32 v1, v3, v4
	v_cndmask_b32_e64 v3, 0, 1, vcc_lo
	v_add_co_ci_u32_e64 v1, null, 0, v1, vcc_lo
	v_lshrrev_b32_e32 v2, v3, v2
; %bb.10200:                            ;   in Loop: Header=BB6_9580 Depth=2
	s_andn2_saveexec_b32 s13, s13
; %bb.10201:                            ;   in Loop: Header=BB6_9580 Depth=2
	v_bfe_u32 v1, v2, 23, 1
; %bb.10202:                            ;   in Loop: Header=BB6_9580 Depth=2
	s_or_b32 exec_lo, exec_lo, s13
	v_lshrrev_b32_e32 v2, 20, v2
	v_min_i32_e32 v3, 15, v1
	v_cmp_gt_i32_e32 vcc_lo, 16, v1
	v_and_b32_sdwa v0, v0, v81 dst_sel:DWORD dst_unused:UNUSED_PAD src0_sel:BYTE_3 src1_sel:DWORD
	v_lshlrev_b32_e32 v3, 3, v3
	v_cndmask_b32_e32 v2, 7, v2, vcc_lo
	v_and_b32_e32 v3, 0xf8, v3
	v_and_b32_e32 v4, 7, v2
	v_or_b32_e32 v1, v1, v2
	v_or3_b32 v0, v0, v3, v4
	v_cmp_ne_u32_e32 vcc_lo, 0, v1
	v_lshlrev_b32_e32 v0, 8, v0
	v_cndmask_b32_e32 v92, 0, v0, vcc_lo
.LBB6_10203:                            ;   in Loop: Header=BB6_9580 Depth=2
	s_or_b32 exec_lo, exec_lo, s40
.LBB6_10204:                            ;   in Loop: Header=BB6_9580 Depth=2
	s_or_b32 exec_lo, exec_lo, s29
	v_cmp_gt_i16_sdwa s29, v13, v80 src0_sel:BYTE_0 src1_sel:DWORD
	s_mov_b32 s13, 0
	s_and_saveexec_b32 s40, s29
	s_xor_b32 s29, exec_lo, s40
	s_cbranch_execz .LBB6_11466
; %bb.10205:                            ;   in Loop: Header=BB6_9580 Depth=2
	v_cmp_eq_u16_sdwa s41, v13, v81 src0_sel:BYTE_0 src1_sel:DWORD
	s_mov_b32 s13, -1
	s_and_saveexec_b32 s40, s41
; %bb.10206:                            ;   in Loop: Header=BB6_9580 Depth=2
	s_xor_b32 s13, exec_lo, -1
; %bb.10207:                            ;   in Loop: Header=BB6_9580 Depth=2
	s_or_b32 exec_lo, exec_lo, s40
	s_and_b32 s13, s13, exec_lo
	s_or_saveexec_b32 s29, s29
	v_mov_b32_e32 v0, 0x7f800001
	s_xor_b32 exec_lo, exec_lo, s29
	s_cbranch_execnz .LBB6_11467
.LBB6_10208:                            ;   in Loop: Header=BB6_9580 Depth=2
	s_or_b32 exec_lo, exec_lo, s29
	s_and_saveexec_b32 s29, s13
	s_cbranch_execz .LBB6_10210
.LBB6_10209:                            ;   in Loop: Header=BB6_9580 Depth=2
	v_and_b32_e32 v0, 7, v13
	v_bfe_u32 v3, v13, 3, 4
	v_lshlrev_b32_e32 v4, 24, v13
	v_ffbh_u32_e32 v1, v0
	v_cmp_eq_u32_e32 vcc_lo, 0, v3
	v_min_u32_e32 v1, 32, v1
	v_subrev_nc_u32_e32 v2, 28, v1
	v_sub_nc_u32_e32 v1, 29, v1
	v_lshlrev_b32_e32 v2, v2, v13
	v_cndmask_b32_e32 v1, v3, v1, vcc_lo
	v_and_b32_e32 v2, 7, v2
	v_lshl_add_u32 v1, v1, 23, 0x3b800000
	v_cndmask_b32_e32 v0, v0, v2, vcc_lo
	v_and_b32_e32 v2, 0x80000000, v4
	v_lshlrev_b32_e32 v0, 20, v0
	v_or3_b32 v0, v2, v1, v0
.LBB6_10210:                            ;   in Loop: Header=BB6_9580 Depth=2
	s_or_b32 exec_lo, exec_lo, s29
	v_mul_f32_e32 v0, s28, v0
	v_mov_b32_e32 v93, 0x80
	s_mov_b32 s29, exec_lo
	v_and_b32_e32 v1, 0x7f800000, v0
	v_cmpx_ne_u32_e32 0x7f800000, v1
	s_cbranch_execz .LBB6_10218
; %bb.10211:                            ;   in Loop: Header=BB6_9580 Depth=2
	v_mov_b32_e32 v93, 0
	s_mov_b32 s40, exec_lo
	v_cmpx_ne_u32_e32 0, v0
	s_cbranch_execz .LBB6_10217
; %bb.10212:                            ;   in Loop: Header=BB6_9580 Depth=2
	v_bfe_u32 v1, v0, 23, 8
	v_and_b32_e32 v2, 0x7fffff, v0
	v_sub_nc_u32_e32 v3, 0x78, v1
	v_cmp_gt_u32_e32 vcc_lo, 0x79, v1
	v_or_b32_e32 v4, 0x800000, v2
	v_cndmask_b32_e32 v3, 0, v3, vcc_lo
	v_cmp_eq_u32_e32 vcc_lo, 0, v1
	v_add_nc_u32_e32 v1, 0xffffff89, v1
	v_cndmask_b32_e64 v3, v3, 0x77, vcc_lo
	v_cndmask_b32_e32 v2, v4, v2, vcc_lo
	v_cndmask_b32_e64 v1, v1, 0xffffff8a, vcc_lo
	v_lshl_add_u32 v4, 0x100000, v3, -1
	v_lshrrev_b32_e32 v5, v3, v2
	v_lshlrev_b32_e64 v7, v3, 0x80000
	v_add_nc_u32_e32 v3, v3, v1
	v_and_b32_e32 v2, v4, v2
	v_bfe_u32 v6, v5, 20, 1
	v_cmp_eq_u32_e64 s13, v2, v7
	v_add_nc_u32_e32 v4, -1, v6
	v_cndmask_b32_e64 v2, 0, v4, s13
	v_lshrrev_b32_e32 v4, 23, v5
	s_mov_b32 s13, exec_lo
	v_add_nc_u32_e32 v2, v2, v5
	v_xor_b32_e32 v4, 1, v4
	v_and_b32_e32 v1, 0xfffff, v2
	v_add_nc_u32_e32 v2, v1, v5
                                        ; implicit-def: $vgpr1
	v_cmpx_ne_u32_e64 v3, v4
	s_xor_b32 s13, exec_lo, s13
; %bb.10213:                            ;   in Loop: Header=BB6_9580 Depth=2
	v_cmp_lt_u32_e32 vcc_lo, 0xffffff, v2
	v_sub_nc_u32_e32 v1, v3, v4
	v_cndmask_b32_e64 v3, 0, 1, vcc_lo
	v_add_co_ci_u32_e64 v1, null, 0, v1, vcc_lo
	v_lshrrev_b32_e32 v2, v3, v2
; %bb.10214:                            ;   in Loop: Header=BB6_9580 Depth=2
	s_andn2_saveexec_b32 s13, s13
; %bb.10215:                            ;   in Loop: Header=BB6_9580 Depth=2
	v_bfe_u32 v1, v2, 23, 1
; %bb.10216:                            ;   in Loop: Header=BB6_9580 Depth=2
	s_or_b32 exec_lo, exec_lo, s13
	v_lshrrev_b32_e32 v2, 20, v2
	v_min_i32_e32 v3, 15, v1
	v_cmp_gt_i32_e32 vcc_lo, 16, v1
	v_and_b32_sdwa v0, v0, v81 dst_sel:DWORD dst_unused:UNUSED_PAD src0_sel:BYTE_3 src1_sel:DWORD
	v_lshlrev_b32_e32 v3, 3, v3
	v_cndmask_b32_e32 v2, 7, v2, vcc_lo
	v_and_b32_e32 v3, 0xf8, v3
	v_and_b32_e32 v4, 7, v2
	v_or_b32_e32 v1, v1, v2
	v_or3_b32 v0, v3, v0, v4
	v_cmp_ne_u32_e32 vcc_lo, 0, v1
	v_cndmask_b32_e32 v93, 0, v0, vcc_lo
.LBB6_10217:                            ;   in Loop: Header=BB6_9580 Depth=2
	s_or_b32 exec_lo, exec_lo, s40
.LBB6_10218:                            ;   in Loop: Header=BB6_9580 Depth=2
	s_or_b32 exec_lo, exec_lo, s29
	v_cmp_gt_i16_sdwa s29, v13, v80 src0_sel:BYTE_1 src1_sel:DWORD
	s_mov_b32 s13, 0
	s_and_saveexec_b32 s40, s29
	s_xor_b32 s29, exec_lo, s40
	s_cbranch_execz .LBB6_11468
; %bb.10219:                            ;   in Loop: Header=BB6_9580 Depth=2
	v_cmp_eq_u16_sdwa s41, v13, v81 src0_sel:BYTE_1 src1_sel:DWORD
	s_mov_b32 s13, -1
	s_and_saveexec_b32 s40, s41
; %bb.10220:                            ;   in Loop: Header=BB6_9580 Depth=2
	s_xor_b32 s13, exec_lo, -1
; %bb.10221:                            ;   in Loop: Header=BB6_9580 Depth=2
	s_or_b32 exec_lo, exec_lo, s40
	s_and_b32 s13, s13, exec_lo
	s_or_saveexec_b32 s29, s29
	v_mov_b32_e32 v0, 0x7f800001
	s_xor_b32 exec_lo, exec_lo, s29
	s_cbranch_execnz .LBB6_11469
.LBB6_10222:                            ;   in Loop: Header=BB6_9580 Depth=2
	s_or_b32 exec_lo, exec_lo, s29
	s_and_saveexec_b32 s29, s13
	s_cbranch_execz .LBB6_10224
.LBB6_10223:                            ;   in Loop: Header=BB6_9580 Depth=2
	v_and_b32_sdwa v0, v82, v13 dst_sel:DWORD dst_unused:UNUSED_PAD src0_sel:DWORD src1_sel:BYTE_1
	v_and_b32_e32 v1, 7, v0
	v_bfe_u32 v4, v0, 3, 4
	v_ffbh_u32_e32 v2, v1
	v_cmp_eq_u32_e32 vcc_lo, 0, v4
	v_min_u32_e32 v2, 32, v2
	v_subrev_nc_u32_e32 v3, 28, v2
	v_sub_nc_u32_e32 v2, 29, v2
	v_lshlrev_b32_e32 v0, v3, v0
	v_lshlrev_b32_sdwa v3, v83, v13 dst_sel:DWORD dst_unused:UNUSED_PAD src0_sel:DWORD src1_sel:BYTE_1
	v_cndmask_b32_e32 v2, v4, v2, vcc_lo
	v_and_b32_e32 v0, 7, v0
	v_lshl_add_u32 v2, v2, 23, 0x3b800000
	v_cndmask_b32_e32 v0, v1, v0, vcc_lo
	v_and_b32_e32 v1, 0x80000000, v3
	v_lshlrev_b32_e32 v0, 20, v0
	v_or3_b32 v0, v1, v2, v0
.LBB6_10224:                            ;   in Loop: Header=BB6_9580 Depth=2
	s_or_b32 exec_lo, exec_lo, s29
	v_mul_f32_e32 v0, s28, v0
	v_mov_b32_e32 v94, 0x8000
	s_mov_b32 s29, exec_lo
	v_and_b32_e32 v1, 0x7f800000, v0
	v_cmpx_ne_u32_e32 0x7f800000, v1
	s_cbranch_execz .LBB6_10232
; %bb.10225:                            ;   in Loop: Header=BB6_9580 Depth=2
	v_mov_b32_e32 v94, 0
	s_mov_b32 s40, exec_lo
	v_cmpx_ne_u32_e32 0, v0
	s_cbranch_execz .LBB6_10231
; %bb.10226:                            ;   in Loop: Header=BB6_9580 Depth=2
	v_bfe_u32 v1, v0, 23, 8
	v_and_b32_e32 v2, 0x7fffff, v0
	v_sub_nc_u32_e32 v3, 0x78, v1
	v_cmp_gt_u32_e32 vcc_lo, 0x79, v1
	v_or_b32_e32 v4, 0x800000, v2
	v_cndmask_b32_e32 v3, 0, v3, vcc_lo
	v_cmp_eq_u32_e32 vcc_lo, 0, v1
	v_add_nc_u32_e32 v1, 0xffffff89, v1
	v_cndmask_b32_e64 v3, v3, 0x77, vcc_lo
	v_cndmask_b32_e32 v2, v4, v2, vcc_lo
	v_cndmask_b32_e64 v1, v1, 0xffffff8a, vcc_lo
	v_lshl_add_u32 v4, 0x100000, v3, -1
	v_lshrrev_b32_e32 v5, v3, v2
	v_lshlrev_b32_e64 v7, v3, 0x80000
	v_add_nc_u32_e32 v3, v3, v1
	v_and_b32_e32 v2, v4, v2
	v_bfe_u32 v6, v5, 20, 1
	v_cmp_eq_u32_e64 s13, v2, v7
	v_add_nc_u32_e32 v4, -1, v6
	v_cndmask_b32_e64 v2, 0, v4, s13
	v_lshrrev_b32_e32 v4, 23, v5
	s_mov_b32 s13, exec_lo
	v_add_nc_u32_e32 v2, v2, v5
	v_xor_b32_e32 v4, 1, v4
	v_and_b32_e32 v1, 0xfffff, v2
	v_add_nc_u32_e32 v2, v1, v5
                                        ; implicit-def: $vgpr1
	v_cmpx_ne_u32_e64 v3, v4
	s_xor_b32 s13, exec_lo, s13
; %bb.10227:                            ;   in Loop: Header=BB6_9580 Depth=2
	v_cmp_lt_u32_e32 vcc_lo, 0xffffff, v2
	v_sub_nc_u32_e32 v1, v3, v4
	v_cndmask_b32_e64 v3, 0, 1, vcc_lo
	v_add_co_ci_u32_e64 v1, null, 0, v1, vcc_lo
	v_lshrrev_b32_e32 v2, v3, v2
; %bb.10228:                            ;   in Loop: Header=BB6_9580 Depth=2
	s_andn2_saveexec_b32 s13, s13
; %bb.10229:                            ;   in Loop: Header=BB6_9580 Depth=2
	v_bfe_u32 v1, v2, 23, 1
; %bb.10230:                            ;   in Loop: Header=BB6_9580 Depth=2
	s_or_b32 exec_lo, exec_lo, s13
	v_lshrrev_b32_e32 v2, 20, v2
	v_min_i32_e32 v3, 15, v1
	v_cmp_gt_i32_e32 vcc_lo, 16, v1
	v_and_b32_sdwa v0, v0, v81 dst_sel:DWORD dst_unused:UNUSED_PAD src0_sel:BYTE_3 src1_sel:DWORD
	v_lshlrev_b32_e32 v3, 3, v3
	v_cndmask_b32_e32 v2, 7, v2, vcc_lo
	v_and_b32_e32 v3, 0xf8, v3
	v_and_b32_e32 v4, 7, v2
	v_or_b32_e32 v1, v1, v2
	v_or3_b32 v0, v0, v3, v4
	v_cmp_ne_u32_e32 vcc_lo, 0, v1
	v_lshlrev_b32_e32 v0, 8, v0
	v_cndmask_b32_e32 v94, 0, v0, vcc_lo
.LBB6_10231:                            ;   in Loop: Header=BB6_9580 Depth=2
	s_or_b32 exec_lo, exec_lo, s40
.LBB6_10232:                            ;   in Loop: Header=BB6_9580 Depth=2
	s_or_b32 exec_lo, exec_lo, s29
	v_and_b32_sdwa v1, v13, v86 dst_sel:DWORD dst_unused:UNUSED_PAD src0_sel:WORD_1 src1_sel:DWORD
	s_mov_b32 s13, 0
	s_mov_b32 s29, exec_lo
	v_cmpx_lt_i16_e32 0x7f, v1
	s_xor_b32 s29, exec_lo, s29
	s_cbranch_execz .LBB6_11470
; %bb.10233:                            ;   in Loop: Header=BB6_9580 Depth=2
	s_mov_b32 s13, -1
	s_mov_b32 s40, exec_lo
	v_cmpx_eq_u16_e32 0x80, v1
; %bb.10234:                            ;   in Loop: Header=BB6_9580 Depth=2
	s_xor_b32 s13, exec_lo, -1
; %bb.10235:                            ;   in Loop: Header=BB6_9580 Depth=2
	s_or_b32 exec_lo, exec_lo, s40
	s_and_b32 s13, s13, exec_lo
                                        ; implicit-def: $vgpr1
	s_or_saveexec_b32 s29, s29
	v_mov_b32_e32 v0, 0x7f800001
	s_xor_b32 exec_lo, exec_lo, s29
	s_cbranch_execnz .LBB6_11471
.LBB6_10236:                            ;   in Loop: Header=BB6_9580 Depth=2
	s_or_b32 exec_lo, exec_lo, s29
	s_and_saveexec_b32 s29, s13
	s_cbranch_execz .LBB6_10238
.LBB6_10237:                            ;   in Loop: Header=BB6_9580 Depth=2
	v_bfe_u32 v0, v13, 16, 3
	v_bfe_u32 v3, v13, 19, 4
	v_lshlrev_b32_e32 v4, 8, v13
	v_ffbh_u32_e32 v1, v0
	v_cmp_eq_u32_e32 vcc_lo, 0, v3
	v_min_u32_e32 v1, 32, v1
	v_subrev_nc_u32_e32 v2, 28, v1
	v_sub_nc_u32_e32 v1, 29, v1
	v_lshlrev_b32_sdwa v2, v2, v13 dst_sel:DWORD dst_unused:UNUSED_PAD src0_sel:DWORD src1_sel:WORD_1
	v_cndmask_b32_e32 v1, v3, v1, vcc_lo
	v_and_b32_e32 v2, 7, v2
	v_lshl_add_u32 v1, v1, 23, 0x3b800000
	v_cndmask_b32_e32 v0, v0, v2, vcc_lo
	v_and_b32_e32 v2, 0x80000000, v4
	v_lshlrev_b32_e32 v0, 20, v0
	v_or3_b32 v0, v2, v1, v0
.LBB6_10238:                            ;   in Loop: Header=BB6_9580 Depth=2
	s_or_b32 exec_lo, exec_lo, s29
	v_mul_f32_e32 v0, s28, v0
	v_mov_b32_e32 v95, 0x80
	s_mov_b32 s29, exec_lo
	v_and_b32_e32 v1, 0x7f800000, v0
	v_cmpx_ne_u32_e32 0x7f800000, v1
	s_cbranch_execz .LBB6_10246
; %bb.10239:                            ;   in Loop: Header=BB6_9580 Depth=2
	v_mov_b32_e32 v95, 0
	s_mov_b32 s40, exec_lo
	v_cmpx_ne_u32_e32 0, v0
	s_cbranch_execz .LBB6_10245
; %bb.10240:                            ;   in Loop: Header=BB6_9580 Depth=2
	v_bfe_u32 v1, v0, 23, 8
	v_and_b32_e32 v2, 0x7fffff, v0
	v_sub_nc_u32_e32 v3, 0x78, v1
	v_cmp_gt_u32_e32 vcc_lo, 0x79, v1
	v_or_b32_e32 v4, 0x800000, v2
	v_cndmask_b32_e32 v3, 0, v3, vcc_lo
	v_cmp_eq_u32_e32 vcc_lo, 0, v1
	v_add_nc_u32_e32 v1, 0xffffff89, v1
	v_cndmask_b32_e64 v3, v3, 0x77, vcc_lo
	v_cndmask_b32_e32 v2, v4, v2, vcc_lo
	v_cndmask_b32_e64 v1, v1, 0xffffff8a, vcc_lo
	v_lshl_add_u32 v4, 0x100000, v3, -1
	v_lshrrev_b32_e32 v5, v3, v2
	v_lshlrev_b32_e64 v7, v3, 0x80000
	v_add_nc_u32_e32 v3, v3, v1
	v_and_b32_e32 v2, v4, v2
	v_bfe_u32 v6, v5, 20, 1
	v_cmp_eq_u32_e64 s13, v2, v7
	v_add_nc_u32_e32 v4, -1, v6
	v_cndmask_b32_e64 v2, 0, v4, s13
	v_lshrrev_b32_e32 v4, 23, v5
	s_mov_b32 s13, exec_lo
	v_add_nc_u32_e32 v2, v2, v5
	v_xor_b32_e32 v4, 1, v4
	v_and_b32_e32 v1, 0xfffff, v2
	v_add_nc_u32_e32 v2, v1, v5
                                        ; implicit-def: $vgpr1
	v_cmpx_ne_u32_e64 v3, v4
	s_xor_b32 s13, exec_lo, s13
; %bb.10241:                            ;   in Loop: Header=BB6_9580 Depth=2
	v_cmp_lt_u32_e32 vcc_lo, 0xffffff, v2
	v_sub_nc_u32_e32 v1, v3, v4
	v_cndmask_b32_e64 v3, 0, 1, vcc_lo
	v_add_co_ci_u32_e64 v1, null, 0, v1, vcc_lo
	v_lshrrev_b32_e32 v2, v3, v2
; %bb.10242:                            ;   in Loop: Header=BB6_9580 Depth=2
	s_andn2_saveexec_b32 s13, s13
; %bb.10243:                            ;   in Loop: Header=BB6_9580 Depth=2
	v_bfe_u32 v1, v2, 23, 1
; %bb.10244:                            ;   in Loop: Header=BB6_9580 Depth=2
	s_or_b32 exec_lo, exec_lo, s13
	v_lshrrev_b32_e32 v2, 20, v2
	v_min_i32_e32 v3, 15, v1
	v_cmp_gt_i32_e32 vcc_lo, 16, v1
	v_and_b32_sdwa v0, v0, v81 dst_sel:DWORD dst_unused:UNUSED_PAD src0_sel:BYTE_3 src1_sel:DWORD
	v_lshlrev_b32_e32 v3, 3, v3
	v_cndmask_b32_e32 v2, 7, v2, vcc_lo
	v_and_b32_e32 v3, 0xf8, v3
	v_and_b32_e32 v4, 7, v2
	v_or_b32_e32 v1, v1, v2
	v_or3_b32 v0, v3, v0, v4
	v_cmp_ne_u32_e32 vcc_lo, 0, v1
	v_cndmask_b32_e32 v95, 0, v0, vcc_lo
.LBB6_10245:                            ;   in Loop: Header=BB6_9580 Depth=2
	s_or_b32 exec_lo, exec_lo, s40
.LBB6_10246:                            ;   in Loop: Header=BB6_9580 Depth=2
	s_or_b32 exec_lo, exec_lo, s29
	v_cmp_gt_i16_sdwa s29, v13, v80 src0_sel:BYTE_3 src1_sel:DWORD
	s_mov_b32 s13, 0
	s_and_saveexec_b32 s40, s29
	s_xor_b32 s29, exec_lo, s40
	s_cbranch_execz .LBB6_11472
; %bb.10247:                            ;   in Loop: Header=BB6_9580 Depth=2
	v_cmp_eq_u16_sdwa s41, v13, v81 src0_sel:BYTE_3 src1_sel:DWORD
	s_mov_b32 s13, -1
	s_and_saveexec_b32 s40, s41
; %bb.10248:                            ;   in Loop: Header=BB6_9580 Depth=2
	s_xor_b32 s13, exec_lo, -1
; %bb.10249:                            ;   in Loop: Header=BB6_9580 Depth=2
	s_or_b32 exec_lo, exec_lo, s40
	s_and_b32 s13, s13, exec_lo
	s_or_saveexec_b32 s29, s29
	v_mov_b32_e32 v0, 0x7f800001
	s_xor_b32 exec_lo, exec_lo, s29
	s_cbranch_execnz .LBB6_11473
.LBB6_10250:                            ;   in Loop: Header=BB6_9580 Depth=2
	s_or_b32 exec_lo, exec_lo, s29
	s_and_saveexec_b32 s29, s13
	s_cbranch_execz .LBB6_10252
.LBB6_10251:                            ;   in Loop: Header=BB6_9580 Depth=2
	v_bfe_u32 v0, v13, 24, 3
	v_bfe_u32 v3, v13, 27, 4
	v_ffbh_u32_e32 v1, v0
	v_cmp_eq_u32_e32 vcc_lo, 0, v3
	v_min_u32_e32 v1, 32, v1
	v_subrev_nc_u32_e32 v2, 28, v1
	v_sub_nc_u32_e32 v1, 29, v1
	v_lshlrev_b32_sdwa v2, v2, v13 dst_sel:DWORD dst_unused:UNUSED_PAD src0_sel:DWORD src1_sel:BYTE_3
	v_cndmask_b32_e32 v1, v3, v1, vcc_lo
	v_and_b32_e32 v2, 7, v2
	v_lshl_add_u32 v1, v1, 23, 0x3b800000
	v_cndmask_b32_e32 v0, v0, v2, vcc_lo
	v_and_b32_e32 v2, 0x80000000, v13
	v_lshlrev_b32_e32 v0, 20, v0
	v_or3_b32 v0, v2, v1, v0
.LBB6_10252:                            ;   in Loop: Header=BB6_9580 Depth=2
	s_or_b32 exec_lo, exec_lo, s29
	v_mul_f32_e32 v0, s28, v0
	v_mov_b32_e32 v104, 0x8000
	s_mov_b32 s29, exec_lo
	v_and_b32_e32 v1, 0x7f800000, v0
	v_cmpx_ne_u32_e32 0x7f800000, v1
	s_cbranch_execz .LBB6_10260
; %bb.10253:                            ;   in Loop: Header=BB6_9580 Depth=2
	v_mov_b32_e32 v104, 0
	s_mov_b32 s40, exec_lo
	v_cmpx_ne_u32_e32 0, v0
	s_cbranch_execz .LBB6_10259
; %bb.10254:                            ;   in Loop: Header=BB6_9580 Depth=2
	v_bfe_u32 v1, v0, 23, 8
	v_and_b32_e32 v2, 0x7fffff, v0
	v_sub_nc_u32_e32 v3, 0x78, v1
	v_cmp_gt_u32_e32 vcc_lo, 0x79, v1
	v_or_b32_e32 v4, 0x800000, v2
	v_cndmask_b32_e32 v3, 0, v3, vcc_lo
	v_cmp_eq_u32_e32 vcc_lo, 0, v1
	v_add_nc_u32_e32 v1, 0xffffff89, v1
	v_cndmask_b32_e64 v3, v3, 0x77, vcc_lo
	v_cndmask_b32_e32 v2, v4, v2, vcc_lo
	v_cndmask_b32_e64 v1, v1, 0xffffff8a, vcc_lo
	v_lshl_add_u32 v4, 0x100000, v3, -1
	v_lshrrev_b32_e32 v5, v3, v2
	v_lshlrev_b32_e64 v7, v3, 0x80000
	v_add_nc_u32_e32 v3, v3, v1
	v_and_b32_e32 v2, v4, v2
	v_bfe_u32 v6, v5, 20, 1
	v_cmp_eq_u32_e64 s13, v2, v7
	v_add_nc_u32_e32 v4, -1, v6
	v_cndmask_b32_e64 v2, 0, v4, s13
	v_lshrrev_b32_e32 v4, 23, v5
	s_mov_b32 s13, exec_lo
	v_add_nc_u32_e32 v2, v2, v5
	v_xor_b32_e32 v4, 1, v4
	v_and_b32_e32 v1, 0xfffff, v2
	v_add_nc_u32_e32 v2, v1, v5
                                        ; implicit-def: $vgpr1
	v_cmpx_ne_u32_e64 v3, v4
	s_xor_b32 s13, exec_lo, s13
; %bb.10255:                            ;   in Loop: Header=BB6_9580 Depth=2
	v_cmp_lt_u32_e32 vcc_lo, 0xffffff, v2
	v_sub_nc_u32_e32 v1, v3, v4
	v_cndmask_b32_e64 v3, 0, 1, vcc_lo
	v_add_co_ci_u32_e64 v1, null, 0, v1, vcc_lo
	v_lshrrev_b32_e32 v2, v3, v2
; %bb.10256:                            ;   in Loop: Header=BB6_9580 Depth=2
	s_andn2_saveexec_b32 s13, s13
; %bb.10257:                            ;   in Loop: Header=BB6_9580 Depth=2
	v_bfe_u32 v1, v2, 23, 1
; %bb.10258:                            ;   in Loop: Header=BB6_9580 Depth=2
	s_or_b32 exec_lo, exec_lo, s13
	v_lshrrev_b32_e32 v2, 20, v2
	v_min_i32_e32 v3, 15, v1
	v_cmp_gt_i32_e32 vcc_lo, 16, v1
	v_and_b32_sdwa v0, v0, v81 dst_sel:DWORD dst_unused:UNUSED_PAD src0_sel:BYTE_3 src1_sel:DWORD
	v_lshlrev_b32_e32 v3, 3, v3
	v_cndmask_b32_e32 v2, 7, v2, vcc_lo
	v_and_b32_e32 v3, 0xf8, v3
	v_and_b32_e32 v4, 7, v2
	v_or_b32_e32 v1, v1, v2
	v_or3_b32 v0, v0, v3, v4
	v_cmp_ne_u32_e32 vcc_lo, 0, v1
	v_lshlrev_b32_e32 v0, 8, v0
	v_cndmask_b32_e32 v104, 0, v0, vcc_lo
.LBB6_10259:                            ;   in Loop: Header=BB6_9580 Depth=2
	s_or_b32 exec_lo, exec_lo, s40
.LBB6_10260:                            ;   in Loop: Header=BB6_9580 Depth=2
	s_or_b32 exec_lo, exec_lo, s29
	global_load_dwordx4 v[10:13], v[54:55], off offset:1536 slc
	s_mov_b32 s13, 0
	s_waitcnt vmcnt(0)
	v_cmp_gt_i16_sdwa s29, v10, v80 src0_sel:BYTE_0 src1_sel:DWORD
	s_and_saveexec_b32 s40, s29
	s_xor_b32 s29, exec_lo, s40
	s_cbranch_execz .LBB6_11474
; %bb.10261:                            ;   in Loop: Header=BB6_9580 Depth=2
	v_cmp_eq_u16_sdwa s41, v10, v81 src0_sel:BYTE_0 src1_sel:DWORD
	s_mov_b32 s13, -1
	s_and_saveexec_b32 s40, s41
; %bb.10262:                            ;   in Loop: Header=BB6_9580 Depth=2
	s_xor_b32 s13, exec_lo, -1
; %bb.10263:                            ;   in Loop: Header=BB6_9580 Depth=2
	s_or_b32 exec_lo, exec_lo, s40
	s_and_b32 s13, s13, exec_lo
	s_or_saveexec_b32 s29, s29
	v_mov_b32_e32 v0, 0x7f800001
	s_xor_b32 exec_lo, exec_lo, s29
	s_cbranch_execnz .LBB6_11475
.LBB6_10264:                            ;   in Loop: Header=BB6_9580 Depth=2
	s_or_b32 exec_lo, exec_lo, s29
	s_and_saveexec_b32 s29, s13
	s_cbranch_execz .LBB6_10266
.LBB6_10265:                            ;   in Loop: Header=BB6_9580 Depth=2
	v_and_b32_e32 v0, 7, v10
	v_bfe_u32 v3, v10, 3, 4
	v_lshlrev_b32_e32 v4, 24, v10
	v_ffbh_u32_e32 v1, v0
	v_cmp_eq_u32_e32 vcc_lo, 0, v3
	v_min_u32_e32 v1, 32, v1
	v_subrev_nc_u32_e32 v2, 28, v1
	v_sub_nc_u32_e32 v1, 29, v1
	v_lshlrev_b32_e32 v2, v2, v10
	v_cndmask_b32_e32 v1, v3, v1, vcc_lo
	v_and_b32_e32 v2, 7, v2
	v_lshl_add_u32 v1, v1, 23, 0x3b800000
	v_cndmask_b32_e32 v0, v0, v2, vcc_lo
	v_and_b32_e32 v2, 0x80000000, v4
	v_lshlrev_b32_e32 v0, 20, v0
	v_or3_b32 v0, v2, v1, v0
.LBB6_10266:                            ;   in Loop: Header=BB6_9580 Depth=2
	s_or_b32 exec_lo, exec_lo, s29
	v_mul_f32_e32 v0, s28, v0
	v_mov_b32_e32 v105, 0x80
	s_mov_b32 s29, exec_lo
	v_and_b32_e32 v1, 0x7f800000, v0
	v_cmpx_ne_u32_e32 0x7f800000, v1
	s_cbranch_execz .LBB6_10274
; %bb.10267:                            ;   in Loop: Header=BB6_9580 Depth=2
	v_mov_b32_e32 v105, 0
	s_mov_b32 s40, exec_lo
	v_cmpx_ne_u32_e32 0, v0
	s_cbranch_execz .LBB6_10273
; %bb.10268:                            ;   in Loop: Header=BB6_9580 Depth=2
	v_bfe_u32 v1, v0, 23, 8
	v_and_b32_e32 v2, 0x7fffff, v0
	v_sub_nc_u32_e32 v3, 0x78, v1
	v_cmp_gt_u32_e32 vcc_lo, 0x79, v1
	v_or_b32_e32 v4, 0x800000, v2
	v_cndmask_b32_e32 v3, 0, v3, vcc_lo
	v_cmp_eq_u32_e32 vcc_lo, 0, v1
	v_add_nc_u32_e32 v1, 0xffffff89, v1
	v_cndmask_b32_e64 v3, v3, 0x77, vcc_lo
	v_cndmask_b32_e32 v2, v4, v2, vcc_lo
	v_cndmask_b32_e64 v1, v1, 0xffffff8a, vcc_lo
	v_lshl_add_u32 v4, 0x100000, v3, -1
	v_lshrrev_b32_e32 v5, v3, v2
	v_lshlrev_b32_e64 v7, v3, 0x80000
	v_add_nc_u32_e32 v3, v3, v1
	v_and_b32_e32 v2, v4, v2
	v_bfe_u32 v6, v5, 20, 1
	v_cmp_eq_u32_e64 s13, v2, v7
	v_add_nc_u32_e32 v4, -1, v6
	v_cndmask_b32_e64 v2, 0, v4, s13
	v_lshrrev_b32_e32 v4, 23, v5
	s_mov_b32 s13, exec_lo
	v_add_nc_u32_e32 v2, v2, v5
	v_xor_b32_e32 v4, 1, v4
	v_and_b32_e32 v1, 0xfffff, v2
	v_add_nc_u32_e32 v2, v1, v5
                                        ; implicit-def: $vgpr1
	v_cmpx_ne_u32_e64 v3, v4
	s_xor_b32 s13, exec_lo, s13
; %bb.10269:                            ;   in Loop: Header=BB6_9580 Depth=2
	v_cmp_lt_u32_e32 vcc_lo, 0xffffff, v2
	v_sub_nc_u32_e32 v1, v3, v4
	v_cndmask_b32_e64 v3, 0, 1, vcc_lo
	v_add_co_ci_u32_e64 v1, null, 0, v1, vcc_lo
	v_lshrrev_b32_e32 v2, v3, v2
; %bb.10270:                            ;   in Loop: Header=BB6_9580 Depth=2
	s_andn2_saveexec_b32 s13, s13
; %bb.10271:                            ;   in Loop: Header=BB6_9580 Depth=2
	v_bfe_u32 v1, v2, 23, 1
; %bb.10272:                            ;   in Loop: Header=BB6_9580 Depth=2
	s_or_b32 exec_lo, exec_lo, s13
	v_lshrrev_b32_e32 v2, 20, v2
	v_min_i32_e32 v3, 15, v1
	v_cmp_gt_i32_e32 vcc_lo, 16, v1
	v_and_b32_sdwa v0, v0, v81 dst_sel:DWORD dst_unused:UNUSED_PAD src0_sel:BYTE_3 src1_sel:DWORD
	v_lshlrev_b32_e32 v3, 3, v3
	v_cndmask_b32_e32 v2, 7, v2, vcc_lo
	v_and_b32_e32 v3, 0xf8, v3
	v_and_b32_e32 v4, 7, v2
	v_or_b32_e32 v1, v1, v2
	v_or3_b32 v0, v3, v0, v4
	v_cmp_ne_u32_e32 vcc_lo, 0, v1
	v_cndmask_b32_e32 v105, 0, v0, vcc_lo
.LBB6_10273:                            ;   in Loop: Header=BB6_9580 Depth=2
	s_or_b32 exec_lo, exec_lo, s40
.LBB6_10274:                            ;   in Loop: Header=BB6_9580 Depth=2
	s_or_b32 exec_lo, exec_lo, s29
	v_cmp_gt_i16_sdwa s29, v10, v80 src0_sel:BYTE_1 src1_sel:DWORD
	s_mov_b32 s13, 0
	s_and_saveexec_b32 s40, s29
	s_xor_b32 s29, exec_lo, s40
	s_cbranch_execz .LBB6_11476
; %bb.10275:                            ;   in Loop: Header=BB6_9580 Depth=2
	v_cmp_eq_u16_sdwa s41, v10, v81 src0_sel:BYTE_1 src1_sel:DWORD
	s_mov_b32 s13, -1
	s_and_saveexec_b32 s40, s41
; %bb.10276:                            ;   in Loop: Header=BB6_9580 Depth=2
	s_xor_b32 s13, exec_lo, -1
; %bb.10277:                            ;   in Loop: Header=BB6_9580 Depth=2
	s_or_b32 exec_lo, exec_lo, s40
	s_and_b32 s13, s13, exec_lo
	s_or_saveexec_b32 s29, s29
	v_mov_b32_e32 v0, 0x7f800001
	s_xor_b32 exec_lo, exec_lo, s29
	s_cbranch_execnz .LBB6_11477
.LBB6_10278:                            ;   in Loop: Header=BB6_9580 Depth=2
	s_or_b32 exec_lo, exec_lo, s29
	s_and_saveexec_b32 s29, s13
	s_cbranch_execz .LBB6_10280
.LBB6_10279:                            ;   in Loop: Header=BB6_9580 Depth=2
	v_and_b32_sdwa v0, v82, v10 dst_sel:DWORD dst_unused:UNUSED_PAD src0_sel:DWORD src1_sel:BYTE_1
	v_and_b32_e32 v1, 7, v0
	v_bfe_u32 v4, v0, 3, 4
	v_ffbh_u32_e32 v2, v1
	v_cmp_eq_u32_e32 vcc_lo, 0, v4
	v_min_u32_e32 v2, 32, v2
	v_subrev_nc_u32_e32 v3, 28, v2
	v_sub_nc_u32_e32 v2, 29, v2
	v_lshlrev_b32_e32 v0, v3, v0
	v_lshlrev_b32_sdwa v3, v83, v10 dst_sel:DWORD dst_unused:UNUSED_PAD src0_sel:DWORD src1_sel:BYTE_1
	v_cndmask_b32_e32 v2, v4, v2, vcc_lo
	v_and_b32_e32 v0, 7, v0
	v_lshl_add_u32 v2, v2, 23, 0x3b800000
	v_cndmask_b32_e32 v0, v1, v0, vcc_lo
	v_and_b32_e32 v1, 0x80000000, v3
	v_lshlrev_b32_e32 v0, 20, v0
	v_or3_b32 v0, v1, v2, v0
.LBB6_10280:                            ;   in Loop: Header=BB6_9580 Depth=2
	s_or_b32 exec_lo, exec_lo, s29
	v_mul_f32_e32 v0, s28, v0
	v_mov_b32_e32 v106, 0x8000
	s_mov_b32 s29, exec_lo
	v_and_b32_e32 v1, 0x7f800000, v0
	v_cmpx_ne_u32_e32 0x7f800000, v1
	s_cbranch_execz .LBB6_10288
; %bb.10281:                            ;   in Loop: Header=BB6_9580 Depth=2
	v_mov_b32_e32 v106, 0
	s_mov_b32 s40, exec_lo
	v_cmpx_ne_u32_e32 0, v0
	s_cbranch_execz .LBB6_10287
; %bb.10282:                            ;   in Loop: Header=BB6_9580 Depth=2
	v_bfe_u32 v1, v0, 23, 8
	v_and_b32_e32 v2, 0x7fffff, v0
	v_sub_nc_u32_e32 v3, 0x78, v1
	v_cmp_gt_u32_e32 vcc_lo, 0x79, v1
	v_or_b32_e32 v4, 0x800000, v2
	v_cndmask_b32_e32 v3, 0, v3, vcc_lo
	v_cmp_eq_u32_e32 vcc_lo, 0, v1
	v_add_nc_u32_e32 v1, 0xffffff89, v1
	v_cndmask_b32_e64 v3, v3, 0x77, vcc_lo
	v_cndmask_b32_e32 v2, v4, v2, vcc_lo
	v_cndmask_b32_e64 v1, v1, 0xffffff8a, vcc_lo
	v_lshl_add_u32 v4, 0x100000, v3, -1
	v_lshrrev_b32_e32 v5, v3, v2
	v_lshlrev_b32_e64 v7, v3, 0x80000
	v_add_nc_u32_e32 v3, v3, v1
	v_and_b32_e32 v2, v4, v2
	v_bfe_u32 v6, v5, 20, 1
	v_cmp_eq_u32_e64 s13, v2, v7
	v_add_nc_u32_e32 v4, -1, v6
	v_cndmask_b32_e64 v2, 0, v4, s13
	v_lshrrev_b32_e32 v4, 23, v5
	s_mov_b32 s13, exec_lo
	v_add_nc_u32_e32 v2, v2, v5
	v_xor_b32_e32 v4, 1, v4
	v_and_b32_e32 v1, 0xfffff, v2
	v_add_nc_u32_e32 v2, v1, v5
                                        ; implicit-def: $vgpr1
	v_cmpx_ne_u32_e64 v3, v4
	s_xor_b32 s13, exec_lo, s13
; %bb.10283:                            ;   in Loop: Header=BB6_9580 Depth=2
	v_cmp_lt_u32_e32 vcc_lo, 0xffffff, v2
	v_sub_nc_u32_e32 v1, v3, v4
	v_cndmask_b32_e64 v3, 0, 1, vcc_lo
	v_add_co_ci_u32_e64 v1, null, 0, v1, vcc_lo
	v_lshrrev_b32_e32 v2, v3, v2
; %bb.10284:                            ;   in Loop: Header=BB6_9580 Depth=2
	s_andn2_saveexec_b32 s13, s13
; %bb.10285:                            ;   in Loop: Header=BB6_9580 Depth=2
	v_bfe_u32 v1, v2, 23, 1
; %bb.10286:                            ;   in Loop: Header=BB6_9580 Depth=2
	s_or_b32 exec_lo, exec_lo, s13
	v_lshrrev_b32_e32 v2, 20, v2
	v_min_i32_e32 v3, 15, v1
	v_cmp_gt_i32_e32 vcc_lo, 16, v1
	v_and_b32_sdwa v0, v0, v81 dst_sel:DWORD dst_unused:UNUSED_PAD src0_sel:BYTE_3 src1_sel:DWORD
	v_lshlrev_b32_e32 v3, 3, v3
	v_cndmask_b32_e32 v2, 7, v2, vcc_lo
	v_and_b32_e32 v3, 0xf8, v3
	v_and_b32_e32 v4, 7, v2
	v_or_b32_e32 v1, v1, v2
	v_or3_b32 v0, v0, v3, v4
	v_cmp_ne_u32_e32 vcc_lo, 0, v1
	v_lshlrev_b32_e32 v0, 8, v0
	v_cndmask_b32_e32 v106, 0, v0, vcc_lo
.LBB6_10287:                            ;   in Loop: Header=BB6_9580 Depth=2
	s_or_b32 exec_lo, exec_lo, s40
.LBB6_10288:                            ;   in Loop: Header=BB6_9580 Depth=2
	s_or_b32 exec_lo, exec_lo, s29
	v_and_b32_sdwa v1, v10, v86 dst_sel:DWORD dst_unused:UNUSED_PAD src0_sel:WORD_1 src1_sel:DWORD
	s_mov_b32 s13, 0
	s_mov_b32 s29, exec_lo
	v_cmpx_lt_i16_e32 0x7f, v1
	s_xor_b32 s29, exec_lo, s29
	s_cbranch_execz .LBB6_11478
; %bb.10289:                            ;   in Loop: Header=BB6_9580 Depth=2
	s_mov_b32 s13, -1
	s_mov_b32 s40, exec_lo
	v_cmpx_eq_u16_e32 0x80, v1
; %bb.10290:                            ;   in Loop: Header=BB6_9580 Depth=2
	s_xor_b32 s13, exec_lo, -1
; %bb.10291:                            ;   in Loop: Header=BB6_9580 Depth=2
	s_or_b32 exec_lo, exec_lo, s40
	s_and_b32 s13, s13, exec_lo
                                        ; implicit-def: $vgpr1
	s_or_saveexec_b32 s29, s29
	v_mov_b32_e32 v0, 0x7f800001
	s_xor_b32 exec_lo, exec_lo, s29
	s_cbranch_execnz .LBB6_11479
.LBB6_10292:                            ;   in Loop: Header=BB6_9580 Depth=2
	s_or_b32 exec_lo, exec_lo, s29
	s_and_saveexec_b32 s29, s13
	s_cbranch_execz .LBB6_10294
.LBB6_10293:                            ;   in Loop: Header=BB6_9580 Depth=2
	v_bfe_u32 v0, v10, 16, 3
	v_bfe_u32 v3, v10, 19, 4
	v_lshlrev_b32_e32 v4, 8, v10
	v_ffbh_u32_e32 v1, v0
	v_cmp_eq_u32_e32 vcc_lo, 0, v3
	v_min_u32_e32 v1, 32, v1
	v_subrev_nc_u32_e32 v2, 28, v1
	v_sub_nc_u32_e32 v1, 29, v1
	v_lshlrev_b32_sdwa v2, v2, v10 dst_sel:DWORD dst_unused:UNUSED_PAD src0_sel:DWORD src1_sel:WORD_1
	v_cndmask_b32_e32 v1, v3, v1, vcc_lo
	v_and_b32_e32 v2, 7, v2
	v_lshl_add_u32 v1, v1, 23, 0x3b800000
	v_cndmask_b32_e32 v0, v0, v2, vcc_lo
	v_and_b32_e32 v2, 0x80000000, v4
	v_lshlrev_b32_e32 v0, 20, v0
	v_or3_b32 v0, v2, v1, v0
.LBB6_10294:                            ;   in Loop: Header=BB6_9580 Depth=2
	s_or_b32 exec_lo, exec_lo, s29
	v_mul_f32_e32 v0, s28, v0
	v_mov_b32_e32 v107, 0x80
	s_mov_b32 s29, exec_lo
	v_and_b32_e32 v1, 0x7f800000, v0
	v_cmpx_ne_u32_e32 0x7f800000, v1
	s_cbranch_execz .LBB6_10302
; %bb.10295:                            ;   in Loop: Header=BB6_9580 Depth=2
	v_mov_b32_e32 v107, 0
	s_mov_b32 s40, exec_lo
	v_cmpx_ne_u32_e32 0, v0
	s_cbranch_execz .LBB6_10301
; %bb.10296:                            ;   in Loop: Header=BB6_9580 Depth=2
	v_bfe_u32 v1, v0, 23, 8
	v_and_b32_e32 v2, 0x7fffff, v0
	v_sub_nc_u32_e32 v3, 0x78, v1
	v_cmp_gt_u32_e32 vcc_lo, 0x79, v1
	v_or_b32_e32 v4, 0x800000, v2
	v_cndmask_b32_e32 v3, 0, v3, vcc_lo
	v_cmp_eq_u32_e32 vcc_lo, 0, v1
	v_add_nc_u32_e32 v1, 0xffffff89, v1
	v_cndmask_b32_e64 v3, v3, 0x77, vcc_lo
	v_cndmask_b32_e32 v2, v4, v2, vcc_lo
	v_cndmask_b32_e64 v1, v1, 0xffffff8a, vcc_lo
	v_lshl_add_u32 v4, 0x100000, v3, -1
	v_lshrrev_b32_e32 v5, v3, v2
	v_lshlrev_b32_e64 v7, v3, 0x80000
	v_add_nc_u32_e32 v3, v3, v1
	v_and_b32_e32 v2, v4, v2
	v_bfe_u32 v6, v5, 20, 1
	v_cmp_eq_u32_e64 s13, v2, v7
	v_add_nc_u32_e32 v4, -1, v6
	v_cndmask_b32_e64 v2, 0, v4, s13
	v_lshrrev_b32_e32 v4, 23, v5
	s_mov_b32 s13, exec_lo
	v_add_nc_u32_e32 v2, v2, v5
	v_xor_b32_e32 v4, 1, v4
	v_and_b32_e32 v1, 0xfffff, v2
	v_add_nc_u32_e32 v2, v1, v5
                                        ; implicit-def: $vgpr1
	v_cmpx_ne_u32_e64 v3, v4
	s_xor_b32 s13, exec_lo, s13
; %bb.10297:                            ;   in Loop: Header=BB6_9580 Depth=2
	v_cmp_lt_u32_e32 vcc_lo, 0xffffff, v2
	v_sub_nc_u32_e32 v1, v3, v4
	v_cndmask_b32_e64 v3, 0, 1, vcc_lo
	v_add_co_ci_u32_e64 v1, null, 0, v1, vcc_lo
	v_lshrrev_b32_e32 v2, v3, v2
; %bb.10298:                            ;   in Loop: Header=BB6_9580 Depth=2
	s_andn2_saveexec_b32 s13, s13
; %bb.10299:                            ;   in Loop: Header=BB6_9580 Depth=2
	v_bfe_u32 v1, v2, 23, 1
; %bb.10300:                            ;   in Loop: Header=BB6_9580 Depth=2
	s_or_b32 exec_lo, exec_lo, s13
	v_lshrrev_b32_e32 v2, 20, v2
	v_min_i32_e32 v3, 15, v1
	v_cmp_gt_i32_e32 vcc_lo, 16, v1
	v_and_b32_sdwa v0, v0, v81 dst_sel:DWORD dst_unused:UNUSED_PAD src0_sel:BYTE_3 src1_sel:DWORD
	v_lshlrev_b32_e32 v3, 3, v3
	v_cndmask_b32_e32 v2, 7, v2, vcc_lo
	v_and_b32_e32 v3, 0xf8, v3
	v_and_b32_e32 v4, 7, v2
	v_or_b32_e32 v1, v1, v2
	v_or3_b32 v0, v3, v0, v4
	v_cmp_ne_u32_e32 vcc_lo, 0, v1
	v_cndmask_b32_e32 v107, 0, v0, vcc_lo
.LBB6_10301:                            ;   in Loop: Header=BB6_9580 Depth=2
	s_or_b32 exec_lo, exec_lo, s40
.LBB6_10302:                            ;   in Loop: Header=BB6_9580 Depth=2
	s_or_b32 exec_lo, exec_lo, s29
	v_cmp_gt_i16_sdwa s29, v10, v80 src0_sel:BYTE_3 src1_sel:DWORD
	s_mov_b32 s13, 0
	s_and_saveexec_b32 s40, s29
	s_xor_b32 s29, exec_lo, s40
	s_cbranch_execz .LBB6_11480
; %bb.10303:                            ;   in Loop: Header=BB6_9580 Depth=2
	v_cmp_eq_u16_sdwa s41, v10, v81 src0_sel:BYTE_3 src1_sel:DWORD
	s_mov_b32 s13, -1
	s_and_saveexec_b32 s40, s41
; %bb.10304:                            ;   in Loop: Header=BB6_9580 Depth=2
	s_xor_b32 s13, exec_lo, -1
; %bb.10305:                            ;   in Loop: Header=BB6_9580 Depth=2
	s_or_b32 exec_lo, exec_lo, s40
	s_and_b32 s13, s13, exec_lo
	s_or_saveexec_b32 s29, s29
	v_mov_b32_e32 v0, 0x7f800001
	s_xor_b32 exec_lo, exec_lo, s29
	s_cbranch_execnz .LBB6_11481
.LBB6_10306:                            ;   in Loop: Header=BB6_9580 Depth=2
	s_or_b32 exec_lo, exec_lo, s29
	s_and_saveexec_b32 s29, s13
	s_cbranch_execz .LBB6_10308
.LBB6_10307:                            ;   in Loop: Header=BB6_9580 Depth=2
	v_bfe_u32 v0, v10, 24, 3
	v_bfe_u32 v3, v10, 27, 4
	v_ffbh_u32_e32 v1, v0
	v_cmp_eq_u32_e32 vcc_lo, 0, v3
	v_min_u32_e32 v1, 32, v1
	v_subrev_nc_u32_e32 v2, 28, v1
	v_sub_nc_u32_e32 v1, 29, v1
	v_lshlrev_b32_sdwa v2, v2, v10 dst_sel:DWORD dst_unused:UNUSED_PAD src0_sel:DWORD src1_sel:BYTE_3
	v_cndmask_b32_e32 v1, v3, v1, vcc_lo
	v_and_b32_e32 v2, 7, v2
	v_lshl_add_u32 v1, v1, 23, 0x3b800000
	v_cndmask_b32_e32 v0, v0, v2, vcc_lo
	v_and_b32_e32 v2, 0x80000000, v10
	v_lshlrev_b32_e32 v0, 20, v0
	v_or3_b32 v0, v2, v1, v0
.LBB6_10308:                            ;   in Loop: Header=BB6_9580 Depth=2
	s_or_b32 exec_lo, exec_lo, s29
	v_mul_f32_e32 v0, s28, v0
	v_mov_b32_e32 v108, 0x8000
	s_mov_b32 s29, exec_lo
	v_and_b32_e32 v1, 0x7f800000, v0
	v_cmpx_ne_u32_e32 0x7f800000, v1
	s_cbranch_execz .LBB6_10316
; %bb.10309:                            ;   in Loop: Header=BB6_9580 Depth=2
	v_mov_b32_e32 v108, 0
	s_mov_b32 s40, exec_lo
	v_cmpx_ne_u32_e32 0, v0
	s_cbranch_execz .LBB6_10315
; %bb.10310:                            ;   in Loop: Header=BB6_9580 Depth=2
	v_bfe_u32 v1, v0, 23, 8
	v_and_b32_e32 v2, 0x7fffff, v0
	v_sub_nc_u32_e32 v3, 0x78, v1
	v_cmp_gt_u32_e32 vcc_lo, 0x79, v1
	v_or_b32_e32 v4, 0x800000, v2
	v_cndmask_b32_e32 v3, 0, v3, vcc_lo
	v_cmp_eq_u32_e32 vcc_lo, 0, v1
	v_add_nc_u32_e32 v1, 0xffffff89, v1
	v_cndmask_b32_e64 v3, v3, 0x77, vcc_lo
	v_cndmask_b32_e32 v2, v4, v2, vcc_lo
	v_cndmask_b32_e64 v1, v1, 0xffffff8a, vcc_lo
	v_lshl_add_u32 v4, 0x100000, v3, -1
	v_lshrrev_b32_e32 v5, v3, v2
	v_lshlrev_b32_e64 v7, v3, 0x80000
	v_add_nc_u32_e32 v3, v3, v1
	v_and_b32_e32 v2, v4, v2
	v_bfe_u32 v6, v5, 20, 1
	v_cmp_eq_u32_e64 s13, v2, v7
	v_add_nc_u32_e32 v4, -1, v6
	v_cndmask_b32_e64 v2, 0, v4, s13
	v_lshrrev_b32_e32 v4, 23, v5
	s_mov_b32 s13, exec_lo
	v_add_nc_u32_e32 v2, v2, v5
	v_xor_b32_e32 v4, 1, v4
	v_and_b32_e32 v1, 0xfffff, v2
	v_add_nc_u32_e32 v2, v1, v5
                                        ; implicit-def: $vgpr1
	v_cmpx_ne_u32_e64 v3, v4
	s_xor_b32 s13, exec_lo, s13
; %bb.10311:                            ;   in Loop: Header=BB6_9580 Depth=2
	v_cmp_lt_u32_e32 vcc_lo, 0xffffff, v2
	v_sub_nc_u32_e32 v1, v3, v4
	v_cndmask_b32_e64 v3, 0, 1, vcc_lo
	v_add_co_ci_u32_e64 v1, null, 0, v1, vcc_lo
	v_lshrrev_b32_e32 v2, v3, v2
; %bb.10312:                            ;   in Loop: Header=BB6_9580 Depth=2
	s_andn2_saveexec_b32 s13, s13
; %bb.10313:                            ;   in Loop: Header=BB6_9580 Depth=2
	v_bfe_u32 v1, v2, 23, 1
; %bb.10314:                            ;   in Loop: Header=BB6_9580 Depth=2
	s_or_b32 exec_lo, exec_lo, s13
	v_lshrrev_b32_e32 v2, 20, v2
	v_min_i32_e32 v3, 15, v1
	v_cmp_gt_i32_e32 vcc_lo, 16, v1
	v_and_b32_sdwa v0, v0, v81 dst_sel:DWORD dst_unused:UNUSED_PAD src0_sel:BYTE_3 src1_sel:DWORD
	v_lshlrev_b32_e32 v3, 3, v3
	v_cndmask_b32_e32 v2, 7, v2, vcc_lo
	v_and_b32_e32 v3, 0xf8, v3
	v_and_b32_e32 v4, 7, v2
	v_or_b32_e32 v1, v1, v2
	v_or3_b32 v0, v0, v3, v4
	v_cmp_ne_u32_e32 vcc_lo, 0, v1
	v_lshlrev_b32_e32 v0, 8, v0
	v_cndmask_b32_e32 v108, 0, v0, vcc_lo
.LBB6_10315:                            ;   in Loop: Header=BB6_9580 Depth=2
	s_or_b32 exec_lo, exec_lo, s40
.LBB6_10316:                            ;   in Loop: Header=BB6_9580 Depth=2
	s_or_b32 exec_lo, exec_lo, s29
	v_cmp_gt_i16_sdwa s29, v11, v80 src0_sel:BYTE_0 src1_sel:DWORD
	s_mov_b32 s13, 0
	s_and_saveexec_b32 s40, s29
	s_xor_b32 s29, exec_lo, s40
	s_cbranch_execz .LBB6_11482
; %bb.10317:                            ;   in Loop: Header=BB6_9580 Depth=2
	v_cmp_eq_u16_sdwa s41, v11, v81 src0_sel:BYTE_0 src1_sel:DWORD
	s_mov_b32 s13, -1
	s_and_saveexec_b32 s40, s41
; %bb.10318:                            ;   in Loop: Header=BB6_9580 Depth=2
	s_xor_b32 s13, exec_lo, -1
; %bb.10319:                            ;   in Loop: Header=BB6_9580 Depth=2
	s_or_b32 exec_lo, exec_lo, s40
	s_and_b32 s13, s13, exec_lo
	s_or_saveexec_b32 s29, s29
	v_mov_b32_e32 v0, 0x7f800001
	s_xor_b32 exec_lo, exec_lo, s29
	s_cbranch_execnz .LBB6_11483
.LBB6_10320:                            ;   in Loop: Header=BB6_9580 Depth=2
	s_or_b32 exec_lo, exec_lo, s29
	s_and_saveexec_b32 s29, s13
	s_cbranch_execz .LBB6_10322
.LBB6_10321:                            ;   in Loop: Header=BB6_9580 Depth=2
	v_and_b32_e32 v0, 7, v11
	v_bfe_u32 v3, v11, 3, 4
	v_lshlrev_b32_e32 v4, 24, v11
	v_ffbh_u32_e32 v1, v0
	v_cmp_eq_u32_e32 vcc_lo, 0, v3
	v_min_u32_e32 v1, 32, v1
	v_subrev_nc_u32_e32 v2, 28, v1
	v_sub_nc_u32_e32 v1, 29, v1
	v_lshlrev_b32_e32 v2, v2, v11
	v_cndmask_b32_e32 v1, v3, v1, vcc_lo
	v_and_b32_e32 v2, 7, v2
	v_lshl_add_u32 v1, v1, 23, 0x3b800000
	v_cndmask_b32_e32 v0, v0, v2, vcc_lo
	v_and_b32_e32 v2, 0x80000000, v4
	v_lshlrev_b32_e32 v0, 20, v0
	v_or3_b32 v0, v2, v1, v0
.LBB6_10322:                            ;   in Loop: Header=BB6_9580 Depth=2
	s_or_b32 exec_lo, exec_lo, s29
	v_mul_f32_e32 v0, s28, v0
	v_mov_b32_e32 v109, 0x80
	s_mov_b32 s29, exec_lo
	v_and_b32_e32 v1, 0x7f800000, v0
	v_cmpx_ne_u32_e32 0x7f800000, v1
	s_cbranch_execz .LBB6_10330
; %bb.10323:                            ;   in Loop: Header=BB6_9580 Depth=2
	v_mov_b32_e32 v109, 0
	s_mov_b32 s40, exec_lo
	v_cmpx_ne_u32_e32 0, v0
	s_cbranch_execz .LBB6_10329
; %bb.10324:                            ;   in Loop: Header=BB6_9580 Depth=2
	v_bfe_u32 v1, v0, 23, 8
	v_and_b32_e32 v2, 0x7fffff, v0
	v_sub_nc_u32_e32 v3, 0x78, v1
	v_cmp_gt_u32_e32 vcc_lo, 0x79, v1
	v_or_b32_e32 v4, 0x800000, v2
	v_cndmask_b32_e32 v3, 0, v3, vcc_lo
	v_cmp_eq_u32_e32 vcc_lo, 0, v1
	v_add_nc_u32_e32 v1, 0xffffff89, v1
	v_cndmask_b32_e64 v3, v3, 0x77, vcc_lo
	v_cndmask_b32_e32 v2, v4, v2, vcc_lo
	v_cndmask_b32_e64 v1, v1, 0xffffff8a, vcc_lo
	v_lshl_add_u32 v4, 0x100000, v3, -1
	v_lshrrev_b32_e32 v5, v3, v2
	v_lshlrev_b32_e64 v7, v3, 0x80000
	v_add_nc_u32_e32 v3, v3, v1
	v_and_b32_e32 v2, v4, v2
	v_bfe_u32 v6, v5, 20, 1
	v_cmp_eq_u32_e64 s13, v2, v7
	v_add_nc_u32_e32 v4, -1, v6
	v_cndmask_b32_e64 v2, 0, v4, s13
	v_lshrrev_b32_e32 v4, 23, v5
	s_mov_b32 s13, exec_lo
	v_add_nc_u32_e32 v2, v2, v5
	v_xor_b32_e32 v4, 1, v4
	v_and_b32_e32 v1, 0xfffff, v2
	v_add_nc_u32_e32 v2, v1, v5
                                        ; implicit-def: $vgpr1
	v_cmpx_ne_u32_e64 v3, v4
	s_xor_b32 s13, exec_lo, s13
; %bb.10325:                            ;   in Loop: Header=BB6_9580 Depth=2
	v_cmp_lt_u32_e32 vcc_lo, 0xffffff, v2
	v_sub_nc_u32_e32 v1, v3, v4
	v_cndmask_b32_e64 v3, 0, 1, vcc_lo
	v_add_co_ci_u32_e64 v1, null, 0, v1, vcc_lo
	v_lshrrev_b32_e32 v2, v3, v2
; %bb.10326:                            ;   in Loop: Header=BB6_9580 Depth=2
	s_andn2_saveexec_b32 s13, s13
; %bb.10327:                            ;   in Loop: Header=BB6_9580 Depth=2
	v_bfe_u32 v1, v2, 23, 1
; %bb.10328:                            ;   in Loop: Header=BB6_9580 Depth=2
	s_or_b32 exec_lo, exec_lo, s13
	v_lshrrev_b32_e32 v2, 20, v2
	v_min_i32_e32 v3, 15, v1
	v_cmp_gt_i32_e32 vcc_lo, 16, v1
	v_and_b32_sdwa v0, v0, v81 dst_sel:DWORD dst_unused:UNUSED_PAD src0_sel:BYTE_3 src1_sel:DWORD
	v_lshlrev_b32_e32 v3, 3, v3
	v_cndmask_b32_e32 v2, 7, v2, vcc_lo
	v_and_b32_e32 v3, 0xf8, v3
	v_and_b32_e32 v4, 7, v2
	v_or_b32_e32 v1, v1, v2
	v_or3_b32 v0, v3, v0, v4
	v_cmp_ne_u32_e32 vcc_lo, 0, v1
	v_cndmask_b32_e32 v109, 0, v0, vcc_lo
.LBB6_10329:                            ;   in Loop: Header=BB6_9580 Depth=2
	s_or_b32 exec_lo, exec_lo, s40
.LBB6_10330:                            ;   in Loop: Header=BB6_9580 Depth=2
	s_or_b32 exec_lo, exec_lo, s29
	v_cmp_gt_i16_sdwa s29, v11, v80 src0_sel:BYTE_1 src1_sel:DWORD
	s_mov_b32 s13, 0
	s_and_saveexec_b32 s40, s29
	s_xor_b32 s29, exec_lo, s40
	s_cbranch_execz .LBB6_11484
; %bb.10331:                            ;   in Loop: Header=BB6_9580 Depth=2
	v_cmp_eq_u16_sdwa s41, v11, v81 src0_sel:BYTE_1 src1_sel:DWORD
	s_mov_b32 s13, -1
	s_and_saveexec_b32 s40, s41
; %bb.10332:                            ;   in Loop: Header=BB6_9580 Depth=2
	s_xor_b32 s13, exec_lo, -1
; %bb.10333:                            ;   in Loop: Header=BB6_9580 Depth=2
	s_or_b32 exec_lo, exec_lo, s40
	s_and_b32 s13, s13, exec_lo
	s_or_saveexec_b32 s29, s29
	v_mov_b32_e32 v0, 0x7f800001
	s_xor_b32 exec_lo, exec_lo, s29
	s_cbranch_execnz .LBB6_11485
.LBB6_10334:                            ;   in Loop: Header=BB6_9580 Depth=2
	s_or_b32 exec_lo, exec_lo, s29
	s_and_saveexec_b32 s29, s13
	s_cbranch_execz .LBB6_10336
.LBB6_10335:                            ;   in Loop: Header=BB6_9580 Depth=2
	v_and_b32_sdwa v0, v82, v11 dst_sel:DWORD dst_unused:UNUSED_PAD src0_sel:DWORD src1_sel:BYTE_1
	v_and_b32_e32 v1, 7, v0
	v_bfe_u32 v4, v0, 3, 4
	v_ffbh_u32_e32 v2, v1
	v_cmp_eq_u32_e32 vcc_lo, 0, v4
	v_min_u32_e32 v2, 32, v2
	v_subrev_nc_u32_e32 v3, 28, v2
	v_sub_nc_u32_e32 v2, 29, v2
	v_lshlrev_b32_e32 v0, v3, v0
	v_lshlrev_b32_sdwa v3, v83, v11 dst_sel:DWORD dst_unused:UNUSED_PAD src0_sel:DWORD src1_sel:BYTE_1
	v_cndmask_b32_e32 v2, v4, v2, vcc_lo
	v_and_b32_e32 v0, 7, v0
	v_lshl_add_u32 v2, v2, 23, 0x3b800000
	v_cndmask_b32_e32 v0, v1, v0, vcc_lo
	v_and_b32_e32 v1, 0x80000000, v3
	v_lshlrev_b32_e32 v0, 20, v0
	v_or3_b32 v0, v1, v2, v0
.LBB6_10336:                            ;   in Loop: Header=BB6_9580 Depth=2
	s_or_b32 exec_lo, exec_lo, s29
	v_mul_f32_e32 v0, s28, v0
	v_mov_b32_e32 v110, 0x8000
	s_mov_b32 s29, exec_lo
	v_and_b32_e32 v1, 0x7f800000, v0
	v_cmpx_ne_u32_e32 0x7f800000, v1
	s_cbranch_execz .LBB6_10344
; %bb.10337:                            ;   in Loop: Header=BB6_9580 Depth=2
	v_mov_b32_e32 v110, 0
	s_mov_b32 s40, exec_lo
	v_cmpx_ne_u32_e32 0, v0
	s_cbranch_execz .LBB6_10343
; %bb.10338:                            ;   in Loop: Header=BB6_9580 Depth=2
	v_bfe_u32 v1, v0, 23, 8
	v_and_b32_e32 v2, 0x7fffff, v0
	v_sub_nc_u32_e32 v3, 0x78, v1
	v_cmp_gt_u32_e32 vcc_lo, 0x79, v1
	v_or_b32_e32 v4, 0x800000, v2
	v_cndmask_b32_e32 v3, 0, v3, vcc_lo
	v_cmp_eq_u32_e32 vcc_lo, 0, v1
	v_add_nc_u32_e32 v1, 0xffffff89, v1
	v_cndmask_b32_e64 v3, v3, 0x77, vcc_lo
	v_cndmask_b32_e32 v2, v4, v2, vcc_lo
	v_cndmask_b32_e64 v1, v1, 0xffffff8a, vcc_lo
	v_lshl_add_u32 v4, 0x100000, v3, -1
	v_lshrrev_b32_e32 v5, v3, v2
	v_lshlrev_b32_e64 v7, v3, 0x80000
	v_add_nc_u32_e32 v3, v3, v1
	v_and_b32_e32 v2, v4, v2
	v_bfe_u32 v6, v5, 20, 1
	v_cmp_eq_u32_e64 s13, v2, v7
	v_add_nc_u32_e32 v4, -1, v6
	v_cndmask_b32_e64 v2, 0, v4, s13
	v_lshrrev_b32_e32 v4, 23, v5
	s_mov_b32 s13, exec_lo
	v_add_nc_u32_e32 v2, v2, v5
	v_xor_b32_e32 v4, 1, v4
	v_and_b32_e32 v1, 0xfffff, v2
	v_add_nc_u32_e32 v2, v1, v5
                                        ; implicit-def: $vgpr1
	v_cmpx_ne_u32_e64 v3, v4
	s_xor_b32 s13, exec_lo, s13
; %bb.10339:                            ;   in Loop: Header=BB6_9580 Depth=2
	v_cmp_lt_u32_e32 vcc_lo, 0xffffff, v2
	v_sub_nc_u32_e32 v1, v3, v4
	v_cndmask_b32_e64 v3, 0, 1, vcc_lo
	v_add_co_ci_u32_e64 v1, null, 0, v1, vcc_lo
	v_lshrrev_b32_e32 v2, v3, v2
; %bb.10340:                            ;   in Loop: Header=BB6_9580 Depth=2
	s_andn2_saveexec_b32 s13, s13
; %bb.10341:                            ;   in Loop: Header=BB6_9580 Depth=2
	v_bfe_u32 v1, v2, 23, 1
; %bb.10342:                            ;   in Loop: Header=BB6_9580 Depth=2
	s_or_b32 exec_lo, exec_lo, s13
	v_lshrrev_b32_e32 v2, 20, v2
	v_min_i32_e32 v3, 15, v1
	v_cmp_gt_i32_e32 vcc_lo, 16, v1
	v_and_b32_sdwa v0, v0, v81 dst_sel:DWORD dst_unused:UNUSED_PAD src0_sel:BYTE_3 src1_sel:DWORD
	v_lshlrev_b32_e32 v3, 3, v3
	v_cndmask_b32_e32 v2, 7, v2, vcc_lo
	v_and_b32_e32 v3, 0xf8, v3
	v_and_b32_e32 v4, 7, v2
	v_or_b32_e32 v1, v1, v2
	v_or3_b32 v0, v0, v3, v4
	v_cmp_ne_u32_e32 vcc_lo, 0, v1
	v_lshlrev_b32_e32 v0, 8, v0
	v_cndmask_b32_e32 v110, 0, v0, vcc_lo
.LBB6_10343:                            ;   in Loop: Header=BB6_9580 Depth=2
	s_or_b32 exec_lo, exec_lo, s40
.LBB6_10344:                            ;   in Loop: Header=BB6_9580 Depth=2
	s_or_b32 exec_lo, exec_lo, s29
	v_and_b32_sdwa v1, v11, v86 dst_sel:DWORD dst_unused:UNUSED_PAD src0_sel:WORD_1 src1_sel:DWORD
	s_mov_b32 s13, 0
	s_mov_b32 s29, exec_lo
	v_cmpx_lt_i16_e32 0x7f, v1
	s_xor_b32 s29, exec_lo, s29
	s_cbranch_execz .LBB6_11486
; %bb.10345:                            ;   in Loop: Header=BB6_9580 Depth=2
	s_mov_b32 s13, -1
	s_mov_b32 s40, exec_lo
	v_cmpx_eq_u16_e32 0x80, v1
; %bb.10346:                            ;   in Loop: Header=BB6_9580 Depth=2
	s_xor_b32 s13, exec_lo, -1
; %bb.10347:                            ;   in Loop: Header=BB6_9580 Depth=2
	s_or_b32 exec_lo, exec_lo, s40
	s_and_b32 s13, s13, exec_lo
                                        ; implicit-def: $vgpr1
	s_or_saveexec_b32 s29, s29
	v_mov_b32_e32 v0, 0x7f800001
	s_xor_b32 exec_lo, exec_lo, s29
	s_cbranch_execnz .LBB6_11487
.LBB6_10348:                            ;   in Loop: Header=BB6_9580 Depth=2
	s_or_b32 exec_lo, exec_lo, s29
	s_and_saveexec_b32 s29, s13
	s_cbranch_execz .LBB6_10350
.LBB6_10349:                            ;   in Loop: Header=BB6_9580 Depth=2
	v_bfe_u32 v0, v11, 16, 3
	v_bfe_u32 v3, v11, 19, 4
	v_lshlrev_b32_e32 v4, 8, v11
	v_ffbh_u32_e32 v1, v0
	v_cmp_eq_u32_e32 vcc_lo, 0, v3
	v_min_u32_e32 v1, 32, v1
	v_subrev_nc_u32_e32 v2, 28, v1
	v_sub_nc_u32_e32 v1, 29, v1
	v_lshlrev_b32_sdwa v2, v2, v11 dst_sel:DWORD dst_unused:UNUSED_PAD src0_sel:DWORD src1_sel:WORD_1
	v_cndmask_b32_e32 v1, v3, v1, vcc_lo
	v_and_b32_e32 v2, 7, v2
	v_lshl_add_u32 v1, v1, 23, 0x3b800000
	v_cndmask_b32_e32 v0, v0, v2, vcc_lo
	v_and_b32_e32 v2, 0x80000000, v4
	v_lshlrev_b32_e32 v0, 20, v0
	v_or3_b32 v0, v2, v1, v0
.LBB6_10350:                            ;   in Loop: Header=BB6_9580 Depth=2
	s_or_b32 exec_lo, exec_lo, s29
	v_mul_f32_e32 v0, s28, v0
	v_mov_b32_e32 v111, 0x80
	s_mov_b32 s29, exec_lo
	v_and_b32_e32 v1, 0x7f800000, v0
	v_cmpx_ne_u32_e32 0x7f800000, v1
	s_cbranch_execz .LBB6_10358
; %bb.10351:                            ;   in Loop: Header=BB6_9580 Depth=2
	v_mov_b32_e32 v111, 0
	s_mov_b32 s40, exec_lo
	v_cmpx_ne_u32_e32 0, v0
	s_cbranch_execz .LBB6_10357
; %bb.10352:                            ;   in Loop: Header=BB6_9580 Depth=2
	v_bfe_u32 v1, v0, 23, 8
	v_and_b32_e32 v2, 0x7fffff, v0
	v_sub_nc_u32_e32 v3, 0x78, v1
	v_cmp_gt_u32_e32 vcc_lo, 0x79, v1
	v_or_b32_e32 v4, 0x800000, v2
	v_cndmask_b32_e32 v3, 0, v3, vcc_lo
	v_cmp_eq_u32_e32 vcc_lo, 0, v1
	v_add_nc_u32_e32 v1, 0xffffff89, v1
	v_cndmask_b32_e64 v3, v3, 0x77, vcc_lo
	v_cndmask_b32_e32 v2, v4, v2, vcc_lo
	v_cndmask_b32_e64 v1, v1, 0xffffff8a, vcc_lo
	v_lshl_add_u32 v4, 0x100000, v3, -1
	v_lshrrev_b32_e32 v5, v3, v2
	v_lshlrev_b32_e64 v7, v3, 0x80000
	v_add_nc_u32_e32 v3, v3, v1
	v_and_b32_e32 v2, v4, v2
	v_bfe_u32 v6, v5, 20, 1
	v_cmp_eq_u32_e64 s13, v2, v7
	v_add_nc_u32_e32 v4, -1, v6
	v_cndmask_b32_e64 v2, 0, v4, s13
	v_lshrrev_b32_e32 v4, 23, v5
	s_mov_b32 s13, exec_lo
	v_add_nc_u32_e32 v2, v2, v5
	v_xor_b32_e32 v4, 1, v4
	v_and_b32_e32 v1, 0xfffff, v2
	v_add_nc_u32_e32 v2, v1, v5
                                        ; implicit-def: $vgpr1
	v_cmpx_ne_u32_e64 v3, v4
	s_xor_b32 s13, exec_lo, s13
; %bb.10353:                            ;   in Loop: Header=BB6_9580 Depth=2
	v_cmp_lt_u32_e32 vcc_lo, 0xffffff, v2
	v_sub_nc_u32_e32 v1, v3, v4
	v_cndmask_b32_e64 v3, 0, 1, vcc_lo
	v_add_co_ci_u32_e64 v1, null, 0, v1, vcc_lo
	v_lshrrev_b32_e32 v2, v3, v2
; %bb.10354:                            ;   in Loop: Header=BB6_9580 Depth=2
	s_andn2_saveexec_b32 s13, s13
; %bb.10355:                            ;   in Loop: Header=BB6_9580 Depth=2
	v_bfe_u32 v1, v2, 23, 1
; %bb.10356:                            ;   in Loop: Header=BB6_9580 Depth=2
	s_or_b32 exec_lo, exec_lo, s13
	v_lshrrev_b32_e32 v2, 20, v2
	v_min_i32_e32 v3, 15, v1
	v_cmp_gt_i32_e32 vcc_lo, 16, v1
	v_and_b32_sdwa v0, v0, v81 dst_sel:DWORD dst_unused:UNUSED_PAD src0_sel:BYTE_3 src1_sel:DWORD
	v_lshlrev_b32_e32 v3, 3, v3
	v_cndmask_b32_e32 v2, 7, v2, vcc_lo
	v_and_b32_e32 v3, 0xf8, v3
	v_and_b32_e32 v4, 7, v2
	v_or_b32_e32 v1, v1, v2
	v_or3_b32 v0, v3, v0, v4
	v_cmp_ne_u32_e32 vcc_lo, 0, v1
	v_cndmask_b32_e32 v111, 0, v0, vcc_lo
.LBB6_10357:                            ;   in Loop: Header=BB6_9580 Depth=2
	s_or_b32 exec_lo, exec_lo, s40
.LBB6_10358:                            ;   in Loop: Header=BB6_9580 Depth=2
	s_or_b32 exec_lo, exec_lo, s29
	v_cmp_gt_i16_sdwa s29, v11, v80 src0_sel:BYTE_3 src1_sel:DWORD
	s_mov_b32 s13, 0
	s_and_saveexec_b32 s40, s29
	s_xor_b32 s29, exec_lo, s40
	s_cbranch_execz .LBB6_11488
; %bb.10359:                            ;   in Loop: Header=BB6_9580 Depth=2
	v_cmp_eq_u16_sdwa s41, v11, v81 src0_sel:BYTE_3 src1_sel:DWORD
	s_mov_b32 s13, -1
	s_and_saveexec_b32 s40, s41
; %bb.10360:                            ;   in Loop: Header=BB6_9580 Depth=2
	s_xor_b32 s13, exec_lo, -1
; %bb.10361:                            ;   in Loop: Header=BB6_9580 Depth=2
	s_or_b32 exec_lo, exec_lo, s40
	s_and_b32 s13, s13, exec_lo
	s_or_saveexec_b32 s29, s29
	v_mov_b32_e32 v0, 0x7f800001
	s_xor_b32 exec_lo, exec_lo, s29
	s_cbranch_execnz .LBB6_11489
.LBB6_10362:                            ;   in Loop: Header=BB6_9580 Depth=2
	s_or_b32 exec_lo, exec_lo, s29
	s_and_saveexec_b32 s29, s13
	s_cbranch_execz .LBB6_10364
.LBB6_10363:                            ;   in Loop: Header=BB6_9580 Depth=2
	v_bfe_u32 v0, v11, 24, 3
	v_bfe_u32 v3, v11, 27, 4
	v_ffbh_u32_e32 v1, v0
	v_cmp_eq_u32_e32 vcc_lo, 0, v3
	v_min_u32_e32 v1, 32, v1
	v_subrev_nc_u32_e32 v2, 28, v1
	v_sub_nc_u32_e32 v1, 29, v1
	v_lshlrev_b32_sdwa v2, v2, v11 dst_sel:DWORD dst_unused:UNUSED_PAD src0_sel:DWORD src1_sel:BYTE_3
	v_cndmask_b32_e32 v1, v3, v1, vcc_lo
	v_and_b32_e32 v2, 7, v2
	v_lshl_add_u32 v1, v1, 23, 0x3b800000
	v_cndmask_b32_e32 v0, v0, v2, vcc_lo
	v_and_b32_e32 v2, 0x80000000, v11
	v_lshlrev_b32_e32 v0, 20, v0
	v_or3_b32 v0, v2, v1, v0
.LBB6_10364:                            ;   in Loop: Header=BB6_9580 Depth=2
	s_or_b32 exec_lo, exec_lo, s29
	v_mul_f32_e32 v0, s28, v0
	v_mov_b32_e32 v120, 0x8000
	s_mov_b32 s29, exec_lo
	v_and_b32_e32 v1, 0x7f800000, v0
	v_cmpx_ne_u32_e32 0x7f800000, v1
	s_cbranch_execz .LBB6_10372
; %bb.10365:                            ;   in Loop: Header=BB6_9580 Depth=2
	v_mov_b32_e32 v120, 0
	s_mov_b32 s40, exec_lo
	v_cmpx_ne_u32_e32 0, v0
	s_cbranch_execz .LBB6_10371
; %bb.10366:                            ;   in Loop: Header=BB6_9580 Depth=2
	v_bfe_u32 v1, v0, 23, 8
	v_and_b32_e32 v2, 0x7fffff, v0
	v_sub_nc_u32_e32 v3, 0x78, v1
	v_cmp_gt_u32_e32 vcc_lo, 0x79, v1
	v_or_b32_e32 v4, 0x800000, v2
	v_cndmask_b32_e32 v3, 0, v3, vcc_lo
	v_cmp_eq_u32_e32 vcc_lo, 0, v1
	v_add_nc_u32_e32 v1, 0xffffff89, v1
	v_cndmask_b32_e64 v3, v3, 0x77, vcc_lo
	v_cndmask_b32_e32 v2, v4, v2, vcc_lo
	v_cndmask_b32_e64 v1, v1, 0xffffff8a, vcc_lo
	v_lshl_add_u32 v4, 0x100000, v3, -1
	v_lshrrev_b32_e32 v5, v3, v2
	v_lshlrev_b32_e64 v7, v3, 0x80000
	v_add_nc_u32_e32 v3, v3, v1
	v_and_b32_e32 v2, v4, v2
	v_bfe_u32 v6, v5, 20, 1
	v_cmp_eq_u32_e64 s13, v2, v7
	v_add_nc_u32_e32 v4, -1, v6
	v_cndmask_b32_e64 v2, 0, v4, s13
	v_lshrrev_b32_e32 v4, 23, v5
	s_mov_b32 s13, exec_lo
	v_add_nc_u32_e32 v2, v2, v5
	v_xor_b32_e32 v4, 1, v4
	v_and_b32_e32 v1, 0xfffff, v2
	v_add_nc_u32_e32 v2, v1, v5
                                        ; implicit-def: $vgpr1
	v_cmpx_ne_u32_e64 v3, v4
	s_xor_b32 s13, exec_lo, s13
; %bb.10367:                            ;   in Loop: Header=BB6_9580 Depth=2
	v_cmp_lt_u32_e32 vcc_lo, 0xffffff, v2
	v_sub_nc_u32_e32 v1, v3, v4
	v_cndmask_b32_e64 v3, 0, 1, vcc_lo
	v_add_co_ci_u32_e64 v1, null, 0, v1, vcc_lo
	v_lshrrev_b32_e32 v2, v3, v2
; %bb.10368:                            ;   in Loop: Header=BB6_9580 Depth=2
	s_andn2_saveexec_b32 s13, s13
; %bb.10369:                            ;   in Loop: Header=BB6_9580 Depth=2
	v_bfe_u32 v1, v2, 23, 1
; %bb.10370:                            ;   in Loop: Header=BB6_9580 Depth=2
	s_or_b32 exec_lo, exec_lo, s13
	v_lshrrev_b32_e32 v2, 20, v2
	v_min_i32_e32 v3, 15, v1
	v_cmp_gt_i32_e32 vcc_lo, 16, v1
	v_and_b32_sdwa v0, v0, v81 dst_sel:DWORD dst_unused:UNUSED_PAD src0_sel:BYTE_3 src1_sel:DWORD
	v_lshlrev_b32_e32 v3, 3, v3
	v_cndmask_b32_e32 v2, 7, v2, vcc_lo
	v_and_b32_e32 v3, 0xf8, v3
	v_and_b32_e32 v4, 7, v2
	v_or_b32_e32 v1, v1, v2
	v_or3_b32 v0, v0, v3, v4
	v_cmp_ne_u32_e32 vcc_lo, 0, v1
	v_lshlrev_b32_e32 v0, 8, v0
	v_cndmask_b32_e32 v120, 0, v0, vcc_lo
.LBB6_10371:                            ;   in Loop: Header=BB6_9580 Depth=2
	s_or_b32 exec_lo, exec_lo, s40
.LBB6_10372:                            ;   in Loop: Header=BB6_9580 Depth=2
	s_or_b32 exec_lo, exec_lo, s29
	v_cmp_gt_i16_sdwa s29, v12, v80 src0_sel:BYTE_0 src1_sel:DWORD
	s_mov_b32 s13, 0
	s_and_saveexec_b32 s40, s29
	s_xor_b32 s29, exec_lo, s40
	s_cbranch_execz .LBB6_11490
; %bb.10373:                            ;   in Loop: Header=BB6_9580 Depth=2
	v_cmp_eq_u16_sdwa s41, v12, v81 src0_sel:BYTE_0 src1_sel:DWORD
	s_mov_b32 s13, -1
	s_and_saveexec_b32 s40, s41
; %bb.10374:                            ;   in Loop: Header=BB6_9580 Depth=2
	s_xor_b32 s13, exec_lo, -1
; %bb.10375:                            ;   in Loop: Header=BB6_9580 Depth=2
	s_or_b32 exec_lo, exec_lo, s40
	s_and_b32 s13, s13, exec_lo
	s_or_saveexec_b32 s29, s29
	v_mov_b32_e32 v0, 0x7f800001
	s_xor_b32 exec_lo, exec_lo, s29
	s_cbranch_execnz .LBB6_11491
.LBB6_10376:                            ;   in Loop: Header=BB6_9580 Depth=2
	s_or_b32 exec_lo, exec_lo, s29
	s_and_saveexec_b32 s29, s13
	s_cbranch_execz .LBB6_10378
.LBB6_10377:                            ;   in Loop: Header=BB6_9580 Depth=2
	v_and_b32_e32 v0, 7, v12
	v_bfe_u32 v3, v12, 3, 4
	v_lshlrev_b32_e32 v4, 24, v12
	v_ffbh_u32_e32 v1, v0
	v_cmp_eq_u32_e32 vcc_lo, 0, v3
	v_min_u32_e32 v1, 32, v1
	v_subrev_nc_u32_e32 v2, 28, v1
	v_sub_nc_u32_e32 v1, 29, v1
	v_lshlrev_b32_e32 v2, v2, v12
	v_cndmask_b32_e32 v1, v3, v1, vcc_lo
	v_and_b32_e32 v2, 7, v2
	v_lshl_add_u32 v1, v1, 23, 0x3b800000
	v_cndmask_b32_e32 v0, v0, v2, vcc_lo
	v_and_b32_e32 v2, 0x80000000, v4
	v_lshlrev_b32_e32 v0, 20, v0
	v_or3_b32 v0, v2, v1, v0
.LBB6_10378:                            ;   in Loop: Header=BB6_9580 Depth=2
	s_or_b32 exec_lo, exec_lo, s29
	v_mul_f32_e32 v0, s28, v0
	v_mov_b32_e32 v121, 0x80
	s_mov_b32 s29, exec_lo
	v_and_b32_e32 v1, 0x7f800000, v0
	v_cmpx_ne_u32_e32 0x7f800000, v1
	s_cbranch_execz .LBB6_10386
; %bb.10379:                            ;   in Loop: Header=BB6_9580 Depth=2
	v_mov_b32_e32 v121, 0
	s_mov_b32 s40, exec_lo
	v_cmpx_ne_u32_e32 0, v0
	s_cbranch_execz .LBB6_10385
; %bb.10380:                            ;   in Loop: Header=BB6_9580 Depth=2
	v_bfe_u32 v1, v0, 23, 8
	v_and_b32_e32 v2, 0x7fffff, v0
	v_sub_nc_u32_e32 v3, 0x78, v1
	v_cmp_gt_u32_e32 vcc_lo, 0x79, v1
	v_or_b32_e32 v4, 0x800000, v2
	v_cndmask_b32_e32 v3, 0, v3, vcc_lo
	v_cmp_eq_u32_e32 vcc_lo, 0, v1
	v_add_nc_u32_e32 v1, 0xffffff89, v1
	v_cndmask_b32_e64 v3, v3, 0x77, vcc_lo
	v_cndmask_b32_e32 v2, v4, v2, vcc_lo
	v_cndmask_b32_e64 v1, v1, 0xffffff8a, vcc_lo
	v_lshl_add_u32 v4, 0x100000, v3, -1
	v_lshrrev_b32_e32 v5, v3, v2
	v_lshlrev_b32_e64 v7, v3, 0x80000
	v_add_nc_u32_e32 v3, v3, v1
	v_and_b32_e32 v2, v4, v2
	v_bfe_u32 v6, v5, 20, 1
	v_cmp_eq_u32_e64 s13, v2, v7
	v_add_nc_u32_e32 v4, -1, v6
	v_cndmask_b32_e64 v2, 0, v4, s13
	v_lshrrev_b32_e32 v4, 23, v5
	s_mov_b32 s13, exec_lo
	v_add_nc_u32_e32 v2, v2, v5
	v_xor_b32_e32 v4, 1, v4
	v_and_b32_e32 v1, 0xfffff, v2
	v_add_nc_u32_e32 v2, v1, v5
                                        ; implicit-def: $vgpr1
	v_cmpx_ne_u32_e64 v3, v4
	s_xor_b32 s13, exec_lo, s13
; %bb.10381:                            ;   in Loop: Header=BB6_9580 Depth=2
	v_cmp_lt_u32_e32 vcc_lo, 0xffffff, v2
	v_sub_nc_u32_e32 v1, v3, v4
	v_cndmask_b32_e64 v3, 0, 1, vcc_lo
	v_add_co_ci_u32_e64 v1, null, 0, v1, vcc_lo
	v_lshrrev_b32_e32 v2, v3, v2
; %bb.10382:                            ;   in Loop: Header=BB6_9580 Depth=2
	s_andn2_saveexec_b32 s13, s13
; %bb.10383:                            ;   in Loop: Header=BB6_9580 Depth=2
	v_bfe_u32 v1, v2, 23, 1
; %bb.10384:                            ;   in Loop: Header=BB6_9580 Depth=2
	s_or_b32 exec_lo, exec_lo, s13
	v_lshrrev_b32_e32 v2, 20, v2
	v_min_i32_e32 v3, 15, v1
	v_cmp_gt_i32_e32 vcc_lo, 16, v1
	v_and_b32_sdwa v0, v0, v81 dst_sel:DWORD dst_unused:UNUSED_PAD src0_sel:BYTE_3 src1_sel:DWORD
	v_lshlrev_b32_e32 v3, 3, v3
	v_cndmask_b32_e32 v2, 7, v2, vcc_lo
	v_and_b32_e32 v3, 0xf8, v3
	v_and_b32_e32 v4, 7, v2
	v_or_b32_e32 v1, v1, v2
	v_or3_b32 v0, v3, v0, v4
	v_cmp_ne_u32_e32 vcc_lo, 0, v1
	v_cndmask_b32_e32 v121, 0, v0, vcc_lo
.LBB6_10385:                            ;   in Loop: Header=BB6_9580 Depth=2
	s_or_b32 exec_lo, exec_lo, s40
.LBB6_10386:                            ;   in Loop: Header=BB6_9580 Depth=2
	s_or_b32 exec_lo, exec_lo, s29
	v_cmp_gt_i16_sdwa s29, v12, v80 src0_sel:BYTE_1 src1_sel:DWORD
	s_mov_b32 s13, 0
	s_and_saveexec_b32 s40, s29
	s_xor_b32 s29, exec_lo, s40
	s_cbranch_execz .LBB6_11492
; %bb.10387:                            ;   in Loop: Header=BB6_9580 Depth=2
	v_cmp_eq_u16_sdwa s41, v12, v81 src0_sel:BYTE_1 src1_sel:DWORD
	s_mov_b32 s13, -1
	s_and_saveexec_b32 s40, s41
; %bb.10388:                            ;   in Loop: Header=BB6_9580 Depth=2
	s_xor_b32 s13, exec_lo, -1
; %bb.10389:                            ;   in Loop: Header=BB6_9580 Depth=2
	s_or_b32 exec_lo, exec_lo, s40
	s_and_b32 s13, s13, exec_lo
	s_or_saveexec_b32 s29, s29
	v_mov_b32_e32 v0, 0x7f800001
	s_xor_b32 exec_lo, exec_lo, s29
	s_cbranch_execnz .LBB6_11493
.LBB6_10390:                            ;   in Loop: Header=BB6_9580 Depth=2
	s_or_b32 exec_lo, exec_lo, s29
	s_and_saveexec_b32 s29, s13
	s_cbranch_execz .LBB6_10392
.LBB6_10391:                            ;   in Loop: Header=BB6_9580 Depth=2
	v_and_b32_sdwa v0, v82, v12 dst_sel:DWORD dst_unused:UNUSED_PAD src0_sel:DWORD src1_sel:BYTE_1
	v_and_b32_e32 v1, 7, v0
	v_bfe_u32 v4, v0, 3, 4
	v_ffbh_u32_e32 v2, v1
	v_cmp_eq_u32_e32 vcc_lo, 0, v4
	v_min_u32_e32 v2, 32, v2
	v_subrev_nc_u32_e32 v3, 28, v2
	v_sub_nc_u32_e32 v2, 29, v2
	v_lshlrev_b32_e32 v0, v3, v0
	v_lshlrev_b32_sdwa v3, v83, v12 dst_sel:DWORD dst_unused:UNUSED_PAD src0_sel:DWORD src1_sel:BYTE_1
	v_cndmask_b32_e32 v2, v4, v2, vcc_lo
	v_and_b32_e32 v0, 7, v0
	v_lshl_add_u32 v2, v2, 23, 0x3b800000
	v_cndmask_b32_e32 v0, v1, v0, vcc_lo
	v_and_b32_e32 v1, 0x80000000, v3
	v_lshlrev_b32_e32 v0, 20, v0
	v_or3_b32 v0, v1, v2, v0
.LBB6_10392:                            ;   in Loop: Header=BB6_9580 Depth=2
	s_or_b32 exec_lo, exec_lo, s29
	v_mul_f32_e32 v0, s28, v0
	v_mov_b32_e32 v122, 0x8000
	s_mov_b32 s29, exec_lo
	v_and_b32_e32 v1, 0x7f800000, v0
	v_cmpx_ne_u32_e32 0x7f800000, v1
	s_cbranch_execz .LBB6_10400
; %bb.10393:                            ;   in Loop: Header=BB6_9580 Depth=2
	v_mov_b32_e32 v122, 0
	s_mov_b32 s40, exec_lo
	v_cmpx_ne_u32_e32 0, v0
	s_cbranch_execz .LBB6_10399
; %bb.10394:                            ;   in Loop: Header=BB6_9580 Depth=2
	v_bfe_u32 v2, v0, 23, 8
	v_and_b32_e32 v1, 0x7fffff, v0
	v_cmp_gt_u32_e64 s13, 0x79, v2
	v_sub_nc_u32_e32 v3, 0x78, v2
	v_cmp_eq_u32_e32 vcc_lo, 0, v2
	v_or_b32_e32 v4, 0x800000, v1
	v_cndmask_b32_e64 v3, 0, v3, s13
	v_cndmask_b32_e32 v1, v4, v1, vcc_lo
	v_cndmask_b32_e64 v3, v3, 0x77, vcc_lo
	v_lshl_add_u32 v4, 0x100000, v3, -1
	v_lshlrev_b32_e64 v5, v3, 0x80000
	v_and_b32_e32 v4, v4, v1
	v_cmp_eq_u32_e64 s13, v4, v5
	v_lshrrev_b32_e32 v4, v3, v1
	v_add_nc_u32_e32 v1, 0xffffff89, v2
	v_lshrrev_b32_e32 v2, 23, v4
	v_cndmask_b32_e64 v1, v1, 0xffffff8a, vcc_lo
	v_xor_b32_e32 v2, 1, v2
	v_add_nc_u32_e32 v1, v3, v1
	v_bfe_u32 v3, v4, 20, 1
	v_add_nc_u32_e32 v3, -1, v3
	v_cndmask_b32_e64 v3, 0, v3, s13
	s_mov_b32 s13, exec_lo
	v_add_nc_u32_e32 v3, v3, v4
	v_and_b32_e32 v3, 0xfffff, v3
	v_add_nc_u32_e32 v4, v3, v4
                                        ; implicit-def: $vgpr3
	v_cmpx_ne_u32_e64 v1, v2
	s_xor_b32 s13, exec_lo, s13
; %bb.10395:                            ;   in Loop: Header=BB6_9580 Depth=2
	v_cmp_lt_u32_e32 vcc_lo, 0xffffff, v4
	v_sub_nc_u32_e32 v1, v1, v2
	v_cndmask_b32_e64 v2, 0, 1, vcc_lo
	v_add_co_ci_u32_e64 v3, null, 0, v1, vcc_lo
	v_lshrrev_b32_e32 v4, v2, v4
; %bb.10396:                            ;   in Loop: Header=BB6_9580 Depth=2
	s_andn2_saveexec_b32 s13, s13
; %bb.10397:                            ;   in Loop: Header=BB6_9580 Depth=2
	v_bfe_u32 v3, v4, 23, 1
; %bb.10398:                            ;   in Loop: Header=BB6_9580 Depth=2
	s_or_b32 exec_lo, exec_lo, s13
	v_lshrrev_b32_e32 v1, 20, v4
	v_min_i32_e32 v2, 15, v3
	v_cmp_gt_i32_e32 vcc_lo, 16, v3
	v_and_b32_sdwa v0, v0, v81 dst_sel:DWORD dst_unused:UNUSED_PAD src0_sel:BYTE_3 src1_sel:DWORD
	v_lshlrev_b32_e32 v2, 3, v2
	v_cndmask_b32_e32 v1, 7, v1, vcc_lo
	v_and_b32_e32 v2, 0xf8, v2
	v_and_b32_e32 v4, 7, v1
	v_or_b32_e32 v1, v3, v1
	v_or3_b32 v0, v0, v2, v4
	v_cmp_ne_u32_e32 vcc_lo, 0, v1
	v_lshlrev_b32_e32 v0, 8, v0
	v_cndmask_b32_e32 v122, 0, v0, vcc_lo
.LBB6_10399:                            ;   in Loop: Header=BB6_9580 Depth=2
	s_or_b32 exec_lo, exec_lo, s40
.LBB6_10400:                            ;   in Loop: Header=BB6_9580 Depth=2
	s_or_b32 exec_lo, exec_lo, s29
	v_and_b32_sdwa v1, v12, v86 dst_sel:DWORD dst_unused:UNUSED_PAD src0_sel:WORD_1 src1_sel:DWORD
	s_mov_b32 s13, 0
	s_mov_b32 s29, exec_lo
	v_cmpx_lt_i16_e32 0x7f, v1
	s_xor_b32 s29, exec_lo, s29
	s_cbranch_execz .LBB6_11494
; %bb.10401:                            ;   in Loop: Header=BB6_9580 Depth=2
	s_mov_b32 s13, -1
	s_mov_b32 s40, exec_lo
	v_cmpx_eq_u16_e32 0x80, v1
; %bb.10402:                            ;   in Loop: Header=BB6_9580 Depth=2
	s_xor_b32 s13, exec_lo, -1
; %bb.10403:                            ;   in Loop: Header=BB6_9580 Depth=2
	s_or_b32 exec_lo, exec_lo, s40
	s_and_b32 s13, s13, exec_lo
                                        ; implicit-def: $vgpr1
	s_or_saveexec_b32 s29, s29
	v_mov_b32_e32 v0, 0x7f800001
	s_xor_b32 exec_lo, exec_lo, s29
	s_cbranch_execnz .LBB6_11495
.LBB6_10404:                            ;   in Loop: Header=BB6_9580 Depth=2
	s_or_b32 exec_lo, exec_lo, s29
	s_and_saveexec_b32 s29, s13
	s_cbranch_execz .LBB6_10406
.LBB6_10405:                            ;   in Loop: Header=BB6_9580 Depth=2
	v_bfe_u32 v0, v12, 16, 3
	v_bfe_u32 v3, v12, 19, 4
	v_lshlrev_b32_e32 v4, 8, v12
	v_ffbh_u32_e32 v1, v0
	v_cmp_eq_u32_e32 vcc_lo, 0, v3
	v_min_u32_e32 v1, 32, v1
	v_subrev_nc_u32_e32 v2, 28, v1
	v_sub_nc_u32_e32 v1, 29, v1
	v_lshlrev_b32_sdwa v2, v2, v12 dst_sel:DWORD dst_unused:UNUSED_PAD src0_sel:DWORD src1_sel:WORD_1
	v_cndmask_b32_e32 v1, v3, v1, vcc_lo
	v_and_b32_e32 v2, 7, v2
	v_lshl_add_u32 v1, v1, 23, 0x3b800000
	v_cndmask_b32_e32 v0, v0, v2, vcc_lo
	v_and_b32_e32 v2, 0x80000000, v4
	v_lshlrev_b32_e32 v0, 20, v0
	v_or3_b32 v0, v2, v1, v0
.LBB6_10406:                            ;   in Loop: Header=BB6_9580 Depth=2
	s_or_b32 exec_lo, exec_lo, s29
	v_mul_f32_e32 v0, s28, v0
	v_mov_b32_e32 v123, 0x80
	s_mov_b32 s29, exec_lo
	v_and_b32_e32 v1, 0x7f800000, v0
	v_cmpx_ne_u32_e32 0x7f800000, v1
	s_cbranch_execz .LBB6_10414
; %bb.10407:                            ;   in Loop: Header=BB6_9580 Depth=2
	v_mov_b32_e32 v123, 0
	s_mov_b32 s40, exec_lo
	v_cmpx_ne_u32_e32 0, v0
	s_cbranch_execz .LBB6_10413
; %bb.10408:                            ;   in Loop: Header=BB6_9580 Depth=2
	v_bfe_u32 v2, v0, 23, 8
	v_and_b32_e32 v1, 0x7fffff, v0
	v_cmp_gt_u32_e64 s13, 0x79, v2
	v_sub_nc_u32_e32 v3, 0x78, v2
	v_cmp_eq_u32_e32 vcc_lo, 0, v2
	v_or_b32_e32 v4, 0x800000, v1
	v_cndmask_b32_e64 v3, 0, v3, s13
	v_cndmask_b32_e32 v1, v4, v1, vcc_lo
	v_cndmask_b32_e64 v3, v3, 0x77, vcc_lo
	v_lshl_add_u32 v4, 0x100000, v3, -1
	v_lshlrev_b32_e64 v5, v3, 0x80000
	v_and_b32_e32 v4, v4, v1
	v_cmp_eq_u32_e64 s13, v4, v5
	v_lshrrev_b32_e32 v4, v3, v1
	v_add_nc_u32_e32 v1, 0xffffff89, v2
	v_lshrrev_b32_e32 v2, 23, v4
	v_cndmask_b32_e64 v1, v1, 0xffffff8a, vcc_lo
	v_xor_b32_e32 v2, 1, v2
	v_add_nc_u32_e32 v1, v3, v1
	v_bfe_u32 v3, v4, 20, 1
	v_add_nc_u32_e32 v3, -1, v3
	v_cndmask_b32_e64 v3, 0, v3, s13
	s_mov_b32 s13, exec_lo
	v_add_nc_u32_e32 v3, v3, v4
	v_and_b32_e32 v3, 0xfffff, v3
	v_add_nc_u32_e32 v4, v3, v4
                                        ; implicit-def: $vgpr3
	v_cmpx_ne_u32_e64 v1, v2
	s_xor_b32 s13, exec_lo, s13
; %bb.10409:                            ;   in Loop: Header=BB6_9580 Depth=2
	v_cmp_lt_u32_e32 vcc_lo, 0xffffff, v4
	v_sub_nc_u32_e32 v1, v1, v2
	v_cndmask_b32_e64 v2, 0, 1, vcc_lo
	v_add_co_ci_u32_e64 v3, null, 0, v1, vcc_lo
	v_lshrrev_b32_e32 v4, v2, v4
; %bb.10410:                            ;   in Loop: Header=BB6_9580 Depth=2
	s_andn2_saveexec_b32 s13, s13
; %bb.10411:                            ;   in Loop: Header=BB6_9580 Depth=2
	v_bfe_u32 v3, v4, 23, 1
; %bb.10412:                            ;   in Loop: Header=BB6_9580 Depth=2
	s_or_b32 exec_lo, exec_lo, s13
	v_lshrrev_b32_e32 v1, 20, v4
	v_min_i32_e32 v2, 15, v3
	v_cmp_gt_i32_e32 vcc_lo, 16, v3
	v_and_b32_sdwa v0, v0, v81 dst_sel:DWORD dst_unused:UNUSED_PAD src0_sel:BYTE_3 src1_sel:DWORD
	v_lshlrev_b32_e32 v2, 3, v2
	v_cndmask_b32_e32 v1, 7, v1, vcc_lo
	v_and_b32_e32 v2, 0xf8, v2
	v_and_b32_e32 v4, 7, v1
	v_or_b32_e32 v1, v3, v1
	v_or3_b32 v0, v2, v0, v4
	v_cmp_ne_u32_e32 vcc_lo, 0, v1
	v_cndmask_b32_e32 v123, 0, v0, vcc_lo
.LBB6_10413:                            ;   in Loop: Header=BB6_9580 Depth=2
	s_or_b32 exec_lo, exec_lo, s40
.LBB6_10414:                            ;   in Loop: Header=BB6_9580 Depth=2
	s_or_b32 exec_lo, exec_lo, s29
	v_cmp_gt_i16_sdwa s29, v12, v80 src0_sel:BYTE_3 src1_sel:DWORD
	s_mov_b32 s13, 0
	s_and_saveexec_b32 s40, s29
	s_xor_b32 s29, exec_lo, s40
	s_cbranch_execz .LBB6_11496
; %bb.10415:                            ;   in Loop: Header=BB6_9580 Depth=2
	v_cmp_eq_u16_sdwa s41, v12, v81 src0_sel:BYTE_3 src1_sel:DWORD
	s_mov_b32 s13, -1
	s_and_saveexec_b32 s40, s41
; %bb.10416:                            ;   in Loop: Header=BB6_9580 Depth=2
	s_xor_b32 s13, exec_lo, -1
; %bb.10417:                            ;   in Loop: Header=BB6_9580 Depth=2
	s_or_b32 exec_lo, exec_lo, s40
	s_and_b32 s13, s13, exec_lo
	s_or_saveexec_b32 s29, s29
	v_mov_b32_e32 v0, 0x7f800001
	s_xor_b32 exec_lo, exec_lo, s29
	s_cbranch_execnz .LBB6_11497
.LBB6_10418:                            ;   in Loop: Header=BB6_9580 Depth=2
	s_or_b32 exec_lo, exec_lo, s29
	s_and_saveexec_b32 s29, s13
	s_cbranch_execz .LBB6_10420
.LBB6_10419:                            ;   in Loop: Header=BB6_9580 Depth=2
	v_bfe_u32 v0, v12, 24, 3
	v_bfe_u32 v3, v12, 27, 4
	v_ffbh_u32_e32 v1, v0
	v_cmp_eq_u32_e32 vcc_lo, 0, v3
	v_min_u32_e32 v1, 32, v1
	v_subrev_nc_u32_e32 v2, 28, v1
	v_sub_nc_u32_e32 v1, 29, v1
	v_lshlrev_b32_sdwa v2, v2, v12 dst_sel:DWORD dst_unused:UNUSED_PAD src0_sel:DWORD src1_sel:BYTE_3
	v_cndmask_b32_e32 v1, v3, v1, vcc_lo
	v_and_b32_e32 v2, 7, v2
	v_lshl_add_u32 v1, v1, 23, 0x3b800000
	v_cndmask_b32_e32 v0, v0, v2, vcc_lo
	v_and_b32_e32 v2, 0x80000000, v12
	v_lshlrev_b32_e32 v0, 20, v0
	v_or3_b32 v0, v2, v1, v0
.LBB6_10420:                            ;   in Loop: Header=BB6_9580 Depth=2
	s_or_b32 exec_lo, exec_lo, s29
	v_mul_f32_e32 v0, s28, v0
	v_mov_b32_e32 v124, 0x8000
	s_mov_b32 s29, exec_lo
	v_and_b32_e32 v1, 0x7f800000, v0
	v_cmpx_ne_u32_e32 0x7f800000, v1
	s_cbranch_execz .LBB6_10428
; %bb.10421:                            ;   in Loop: Header=BB6_9580 Depth=2
	v_mov_b32_e32 v124, 0
	s_mov_b32 s40, exec_lo
	v_cmpx_ne_u32_e32 0, v0
	s_cbranch_execz .LBB6_10427
; %bb.10422:                            ;   in Loop: Header=BB6_9580 Depth=2
	v_bfe_u32 v2, v0, 23, 8
	v_and_b32_e32 v1, 0x7fffff, v0
	v_cmp_gt_u32_e64 s13, 0x79, v2
	v_sub_nc_u32_e32 v3, 0x78, v2
	v_cmp_eq_u32_e32 vcc_lo, 0, v2
	v_or_b32_e32 v4, 0x800000, v1
	v_cndmask_b32_e64 v3, 0, v3, s13
	v_cndmask_b32_e32 v1, v4, v1, vcc_lo
	v_cndmask_b32_e64 v3, v3, 0x77, vcc_lo
	v_lshl_add_u32 v4, 0x100000, v3, -1
	v_lshlrev_b32_e64 v5, v3, 0x80000
	v_and_b32_e32 v4, v4, v1
	v_cmp_eq_u32_e64 s13, v4, v5
	v_lshrrev_b32_e32 v4, v3, v1
	v_add_nc_u32_e32 v1, 0xffffff89, v2
	v_lshrrev_b32_e32 v2, 23, v4
	v_cndmask_b32_e64 v1, v1, 0xffffff8a, vcc_lo
	v_xor_b32_e32 v2, 1, v2
	v_add_nc_u32_e32 v1, v3, v1
	v_bfe_u32 v3, v4, 20, 1
	v_add_nc_u32_e32 v3, -1, v3
	v_cndmask_b32_e64 v3, 0, v3, s13
	s_mov_b32 s13, exec_lo
	v_add_nc_u32_e32 v3, v3, v4
	v_and_b32_e32 v3, 0xfffff, v3
	v_add_nc_u32_e32 v4, v3, v4
                                        ; implicit-def: $vgpr3
	v_cmpx_ne_u32_e64 v1, v2
	s_xor_b32 s13, exec_lo, s13
; %bb.10423:                            ;   in Loop: Header=BB6_9580 Depth=2
	v_cmp_lt_u32_e32 vcc_lo, 0xffffff, v4
	v_sub_nc_u32_e32 v1, v1, v2
	v_cndmask_b32_e64 v2, 0, 1, vcc_lo
	v_add_co_ci_u32_e64 v3, null, 0, v1, vcc_lo
	v_lshrrev_b32_e32 v4, v2, v4
; %bb.10424:                            ;   in Loop: Header=BB6_9580 Depth=2
	s_andn2_saveexec_b32 s13, s13
; %bb.10425:                            ;   in Loop: Header=BB6_9580 Depth=2
	v_bfe_u32 v3, v4, 23, 1
; %bb.10426:                            ;   in Loop: Header=BB6_9580 Depth=2
	s_or_b32 exec_lo, exec_lo, s13
	v_lshrrev_b32_e32 v1, 20, v4
	v_min_i32_e32 v2, 15, v3
	v_cmp_gt_i32_e32 vcc_lo, 16, v3
	v_and_b32_sdwa v0, v0, v81 dst_sel:DWORD dst_unused:UNUSED_PAD src0_sel:BYTE_3 src1_sel:DWORD
	v_lshlrev_b32_e32 v2, 3, v2
	v_cndmask_b32_e32 v1, 7, v1, vcc_lo
	v_and_b32_e32 v2, 0xf8, v2
	v_and_b32_e32 v4, 7, v1
	v_or_b32_e32 v1, v3, v1
	v_or3_b32 v0, v0, v2, v4
	v_cmp_ne_u32_e32 vcc_lo, 0, v1
	v_lshlrev_b32_e32 v0, 8, v0
	v_cndmask_b32_e32 v124, 0, v0, vcc_lo
.LBB6_10427:                            ;   in Loop: Header=BB6_9580 Depth=2
	s_or_b32 exec_lo, exec_lo, s40
.LBB6_10428:                            ;   in Loop: Header=BB6_9580 Depth=2
	s_or_b32 exec_lo, exec_lo, s29
	v_cmp_gt_i16_sdwa s29, v13, v80 src0_sel:BYTE_0 src1_sel:DWORD
	s_mov_b32 s13, 0
	s_and_saveexec_b32 s40, s29
	s_xor_b32 s29, exec_lo, s40
	s_cbranch_execz .LBB6_11498
; %bb.10429:                            ;   in Loop: Header=BB6_9580 Depth=2
	v_cmp_eq_u16_sdwa s41, v13, v81 src0_sel:BYTE_0 src1_sel:DWORD
	s_mov_b32 s13, -1
	s_and_saveexec_b32 s40, s41
; %bb.10430:                            ;   in Loop: Header=BB6_9580 Depth=2
	s_xor_b32 s13, exec_lo, -1
; %bb.10431:                            ;   in Loop: Header=BB6_9580 Depth=2
	s_or_b32 exec_lo, exec_lo, s40
	s_and_b32 s13, s13, exec_lo
	s_or_saveexec_b32 s29, s29
	v_mov_b32_e32 v0, 0x7f800001
	s_xor_b32 exec_lo, exec_lo, s29
	s_cbranch_execnz .LBB6_11499
.LBB6_10432:                            ;   in Loop: Header=BB6_9580 Depth=2
	s_or_b32 exec_lo, exec_lo, s29
	s_and_saveexec_b32 s29, s13
	s_cbranch_execz .LBB6_10434
.LBB6_10433:                            ;   in Loop: Header=BB6_9580 Depth=2
	v_and_b32_e32 v0, 7, v13
	v_bfe_u32 v3, v13, 3, 4
	v_lshlrev_b32_e32 v4, 24, v13
	v_ffbh_u32_e32 v1, v0
	v_cmp_eq_u32_e32 vcc_lo, 0, v3
	v_min_u32_e32 v1, 32, v1
	v_subrev_nc_u32_e32 v2, 28, v1
	v_sub_nc_u32_e32 v1, 29, v1
	v_lshlrev_b32_e32 v2, v2, v13
	v_cndmask_b32_e32 v1, v3, v1, vcc_lo
	v_and_b32_e32 v2, 7, v2
	v_lshl_add_u32 v1, v1, 23, 0x3b800000
	v_cndmask_b32_e32 v0, v0, v2, vcc_lo
	v_and_b32_e32 v2, 0x80000000, v4
	v_lshlrev_b32_e32 v0, 20, v0
	v_or3_b32 v0, v2, v1, v0
.LBB6_10434:                            ;   in Loop: Header=BB6_9580 Depth=2
	s_or_b32 exec_lo, exec_lo, s29
	v_mul_f32_e32 v0, s28, v0
	v_mov_b32_e32 v125, 0x80
	s_mov_b32 s29, exec_lo
	v_and_b32_e32 v1, 0x7f800000, v0
	v_cmpx_ne_u32_e32 0x7f800000, v1
	s_cbranch_execz .LBB6_10442
; %bb.10435:                            ;   in Loop: Header=BB6_9580 Depth=2
	v_mov_b32_e32 v125, 0
	s_mov_b32 s40, exec_lo
	v_cmpx_ne_u32_e32 0, v0
	s_cbranch_execz .LBB6_10441
; %bb.10436:                            ;   in Loop: Header=BB6_9580 Depth=2
	v_bfe_u32 v2, v0, 23, 8
	v_and_b32_e32 v1, 0x7fffff, v0
	v_cmp_gt_u32_e64 s13, 0x79, v2
	v_sub_nc_u32_e32 v3, 0x78, v2
	v_cmp_eq_u32_e32 vcc_lo, 0, v2
	v_or_b32_e32 v4, 0x800000, v1
	v_cndmask_b32_e64 v3, 0, v3, s13
	v_cndmask_b32_e32 v1, v4, v1, vcc_lo
	v_cndmask_b32_e64 v3, v3, 0x77, vcc_lo
	v_lshl_add_u32 v4, 0x100000, v3, -1
	v_lshlrev_b32_e64 v5, v3, 0x80000
	v_and_b32_e32 v4, v4, v1
	v_cmp_eq_u32_e64 s13, v4, v5
	v_lshrrev_b32_e32 v4, v3, v1
	v_add_nc_u32_e32 v1, 0xffffff89, v2
	v_lshrrev_b32_e32 v2, 23, v4
	v_cndmask_b32_e64 v1, v1, 0xffffff8a, vcc_lo
	v_xor_b32_e32 v2, 1, v2
	v_add_nc_u32_e32 v1, v3, v1
	v_bfe_u32 v3, v4, 20, 1
	v_add_nc_u32_e32 v3, -1, v3
	v_cndmask_b32_e64 v3, 0, v3, s13
	s_mov_b32 s13, exec_lo
	v_add_nc_u32_e32 v3, v3, v4
	v_and_b32_e32 v3, 0xfffff, v3
	v_add_nc_u32_e32 v4, v3, v4
                                        ; implicit-def: $vgpr3
	v_cmpx_ne_u32_e64 v1, v2
	s_xor_b32 s13, exec_lo, s13
; %bb.10437:                            ;   in Loop: Header=BB6_9580 Depth=2
	v_cmp_lt_u32_e32 vcc_lo, 0xffffff, v4
	v_sub_nc_u32_e32 v1, v1, v2
	v_cndmask_b32_e64 v2, 0, 1, vcc_lo
	v_add_co_ci_u32_e64 v3, null, 0, v1, vcc_lo
	v_lshrrev_b32_e32 v4, v2, v4
; %bb.10438:                            ;   in Loop: Header=BB6_9580 Depth=2
	s_andn2_saveexec_b32 s13, s13
; %bb.10439:                            ;   in Loop: Header=BB6_9580 Depth=2
	v_bfe_u32 v3, v4, 23, 1
; %bb.10440:                            ;   in Loop: Header=BB6_9580 Depth=2
	s_or_b32 exec_lo, exec_lo, s13
	v_lshrrev_b32_e32 v1, 20, v4
	v_min_i32_e32 v2, 15, v3
	v_cmp_gt_i32_e32 vcc_lo, 16, v3
	v_and_b32_sdwa v0, v0, v81 dst_sel:DWORD dst_unused:UNUSED_PAD src0_sel:BYTE_3 src1_sel:DWORD
	v_lshlrev_b32_e32 v2, 3, v2
	v_cndmask_b32_e32 v1, 7, v1, vcc_lo
	v_and_b32_e32 v2, 0xf8, v2
	v_and_b32_e32 v4, 7, v1
	v_or_b32_e32 v1, v3, v1
	v_or3_b32 v0, v2, v0, v4
	v_cmp_ne_u32_e32 vcc_lo, 0, v1
	v_cndmask_b32_e32 v125, 0, v0, vcc_lo
.LBB6_10441:                            ;   in Loop: Header=BB6_9580 Depth=2
	s_or_b32 exec_lo, exec_lo, s40
.LBB6_10442:                            ;   in Loop: Header=BB6_9580 Depth=2
	s_or_b32 exec_lo, exec_lo, s29
	v_cmp_gt_i16_sdwa s29, v13, v80 src0_sel:BYTE_1 src1_sel:DWORD
	s_mov_b32 s13, 0
	s_and_saveexec_b32 s40, s29
	s_xor_b32 s29, exec_lo, s40
	s_cbranch_execz .LBB6_11500
; %bb.10443:                            ;   in Loop: Header=BB6_9580 Depth=2
	v_cmp_eq_u16_sdwa s41, v13, v81 src0_sel:BYTE_1 src1_sel:DWORD
	s_mov_b32 s13, -1
	s_and_saveexec_b32 s40, s41
; %bb.10444:                            ;   in Loop: Header=BB6_9580 Depth=2
	s_xor_b32 s13, exec_lo, -1
; %bb.10445:                            ;   in Loop: Header=BB6_9580 Depth=2
	s_or_b32 exec_lo, exec_lo, s40
	s_and_b32 s13, s13, exec_lo
	s_or_saveexec_b32 s29, s29
	v_mov_b32_e32 v0, 0x7f800001
	s_xor_b32 exec_lo, exec_lo, s29
	s_cbranch_execnz .LBB6_11501
.LBB6_10446:                            ;   in Loop: Header=BB6_9580 Depth=2
	s_or_b32 exec_lo, exec_lo, s29
	s_and_saveexec_b32 s29, s13
	s_cbranch_execz .LBB6_10448
.LBB6_10447:                            ;   in Loop: Header=BB6_9580 Depth=2
	v_and_b32_sdwa v0, v82, v13 dst_sel:DWORD dst_unused:UNUSED_PAD src0_sel:DWORD src1_sel:BYTE_1
	v_and_b32_e32 v1, 7, v0
	v_bfe_u32 v4, v0, 3, 4
	v_ffbh_u32_e32 v2, v1
	v_cmp_eq_u32_e32 vcc_lo, 0, v4
	v_min_u32_e32 v2, 32, v2
	v_subrev_nc_u32_e32 v3, 28, v2
	v_sub_nc_u32_e32 v2, 29, v2
	v_lshlrev_b32_e32 v0, v3, v0
	v_lshlrev_b32_sdwa v3, v83, v13 dst_sel:DWORD dst_unused:UNUSED_PAD src0_sel:DWORD src1_sel:BYTE_1
	v_cndmask_b32_e32 v2, v4, v2, vcc_lo
	v_and_b32_e32 v0, 7, v0
	v_lshl_add_u32 v2, v2, 23, 0x3b800000
	v_cndmask_b32_e32 v0, v1, v0, vcc_lo
	v_and_b32_e32 v1, 0x80000000, v3
	v_lshlrev_b32_e32 v0, 20, v0
	v_or3_b32 v0, v1, v2, v0
.LBB6_10448:                            ;   in Loop: Header=BB6_9580 Depth=2
	s_or_b32 exec_lo, exec_lo, s29
	v_mul_f32_e32 v0, s28, v0
	v_mov_b32_e32 v126, 0x8000
	s_mov_b32 s29, exec_lo
	v_and_b32_e32 v1, 0x7f800000, v0
	v_cmpx_ne_u32_e32 0x7f800000, v1
	s_cbranch_execz .LBB6_10456
; %bb.10449:                            ;   in Loop: Header=BB6_9580 Depth=2
	v_mov_b32_e32 v126, 0
	s_mov_b32 s40, exec_lo
	v_cmpx_ne_u32_e32 0, v0
	s_cbranch_execz .LBB6_10455
; %bb.10450:                            ;   in Loop: Header=BB6_9580 Depth=2
	v_bfe_u32 v2, v0, 23, 8
	v_and_b32_e32 v1, 0x7fffff, v0
	v_cmp_gt_u32_e64 s13, 0x79, v2
	v_sub_nc_u32_e32 v3, 0x78, v2
	v_cmp_eq_u32_e32 vcc_lo, 0, v2
	v_or_b32_e32 v4, 0x800000, v1
	v_cndmask_b32_e64 v3, 0, v3, s13
	v_cndmask_b32_e32 v1, v4, v1, vcc_lo
	v_cndmask_b32_e64 v3, v3, 0x77, vcc_lo
	v_lshl_add_u32 v4, 0x100000, v3, -1
	v_lshlrev_b32_e64 v5, v3, 0x80000
	v_and_b32_e32 v4, v4, v1
	v_cmp_eq_u32_e64 s13, v4, v5
	v_lshrrev_b32_e32 v4, v3, v1
	v_add_nc_u32_e32 v1, 0xffffff89, v2
	v_lshrrev_b32_e32 v2, 23, v4
	v_cndmask_b32_e64 v1, v1, 0xffffff8a, vcc_lo
	v_xor_b32_e32 v2, 1, v2
	v_add_nc_u32_e32 v1, v3, v1
	v_bfe_u32 v3, v4, 20, 1
	v_add_nc_u32_e32 v3, -1, v3
	v_cndmask_b32_e64 v3, 0, v3, s13
	s_mov_b32 s13, exec_lo
	v_add_nc_u32_e32 v3, v3, v4
	v_and_b32_e32 v3, 0xfffff, v3
	v_add_nc_u32_e32 v3, v3, v4
                                        ; implicit-def: $vgpr4
	v_cmpx_ne_u32_e64 v1, v2
	s_xor_b32 s13, exec_lo, s13
; %bb.10451:                            ;   in Loop: Header=BB6_9580 Depth=2
	v_cmp_lt_u32_e32 vcc_lo, 0xffffff, v3
	v_sub_nc_u32_e32 v1, v1, v2
	v_cndmask_b32_e64 v2, 0, 1, vcc_lo
	v_add_co_ci_u32_e64 v4, null, 0, v1, vcc_lo
	v_lshrrev_b32_e32 v3, v2, v3
; %bb.10452:                            ;   in Loop: Header=BB6_9580 Depth=2
	s_andn2_saveexec_b32 s13, s13
; %bb.10453:                            ;   in Loop: Header=BB6_9580 Depth=2
	v_bfe_u32 v4, v3, 23, 1
; %bb.10454:                            ;   in Loop: Header=BB6_9580 Depth=2
	s_or_b32 exec_lo, exec_lo, s13
	v_lshrrev_b32_e32 v1, 20, v3
	v_min_i32_e32 v2, 15, v4
	v_cmp_gt_i32_e32 vcc_lo, 16, v4
	v_and_b32_sdwa v0, v0, v81 dst_sel:DWORD dst_unused:UNUSED_PAD src0_sel:BYTE_3 src1_sel:DWORD
	v_lshlrev_b32_e32 v2, 3, v2
	v_cndmask_b32_e32 v1, 7, v1, vcc_lo
	v_and_b32_e32 v2, 0xf8, v2
	v_or_b32_e32 v3, v4, v1
	v_and_b32_e32 v1, 7, v1
	v_cmp_ne_u32_e32 vcc_lo, 0, v3
	v_or3_b32 v0, v0, v2, v1
	v_lshlrev_b32_e32 v0, 8, v0
	v_cndmask_b32_e32 v126, 0, v0, vcc_lo
.LBB6_10455:                            ;   in Loop: Header=BB6_9580 Depth=2
	s_or_b32 exec_lo, exec_lo, s40
.LBB6_10456:                            ;   in Loop: Header=BB6_9580 Depth=2
	s_or_b32 exec_lo, exec_lo, s29
	v_and_b32_sdwa v1, v13, v86 dst_sel:DWORD dst_unused:UNUSED_PAD src0_sel:WORD_1 src1_sel:DWORD
	s_mov_b32 s29, 0
	s_mov_b32 s13, exec_lo
	v_cmpx_lt_i16_e32 0x7f, v1
	s_xor_b32 s13, exec_lo, s13
	s_cbranch_execz .LBB6_11502
; %bb.10457:                            ;   in Loop: Header=BB6_9580 Depth=2
	s_mov_b32 s29, -1
	s_mov_b32 s40, exec_lo
	v_cmpx_eq_u16_e32 0x80, v1
; %bb.10458:                            ;   in Loop: Header=BB6_9580 Depth=2
	s_xor_b32 s29, exec_lo, -1
; %bb.10459:                            ;   in Loop: Header=BB6_9580 Depth=2
	s_or_b32 exec_lo, exec_lo, s40
	s_and_b32 s29, s29, exec_lo
                                        ; implicit-def: $vgpr1
	s_or_saveexec_b32 s13, s13
	v_mov_b32_e32 v0, 0x7f800001
	s_xor_b32 exec_lo, exec_lo, s13
	s_cbranch_execnz .LBB6_11503
.LBB6_10460:                            ;   in Loop: Header=BB6_9580 Depth=2
	s_or_b32 exec_lo, exec_lo, s13
	s_and_saveexec_b32 s13, s29
	s_cbranch_execz .LBB6_10462
.LBB6_10461:                            ;   in Loop: Header=BB6_9580 Depth=2
	v_bfe_u32 v0, v13, 16, 3
	v_bfe_u32 v1, v13, 19, 4
	v_ffbh_u32_e32 v2, v0
	v_cmp_eq_u32_e32 vcc_lo, 0, v1
	v_min_u32_e32 v2, 32, v2
	v_subrev_nc_u32_e32 v3, 28, v2
	v_sub_nc_u32_e32 v2, 29, v2
	v_lshlrev_b32_sdwa v3, v3, v13 dst_sel:DWORD dst_unused:UNUSED_PAD src0_sel:DWORD src1_sel:WORD_1
	v_cndmask_b32_e32 v1, v1, v2, vcc_lo
	v_lshlrev_b32_e32 v2, 8, v13
	v_and_b32_e32 v3, 7, v3
	v_lshl_add_u32 v1, v1, 23, 0x3b800000
	v_and_b32_e32 v2, 0x80000000, v2
	v_cndmask_b32_e32 v0, v0, v3, vcc_lo
	v_lshlrev_b32_e32 v0, 20, v0
	v_or3_b32 v0, v2, v1, v0
.LBB6_10462:                            ;   in Loop: Header=BB6_9580 Depth=2
	s_or_b32 exec_lo, exec_lo, s13
	v_mul_f32_e32 v0, s28, v0
	v_mov_b32_e32 v2, 0x80
	s_mov_b32 s29, exec_lo
	v_and_b32_e32 v1, 0x7f800000, v0
	v_cmpx_ne_u32_e32 0x7f800000, v1
	s_cbranch_execz .LBB6_10470
; %bb.10463:                            ;   in Loop: Header=BB6_9580 Depth=2
	v_mov_b32_e32 v2, 0
	s_mov_b32 s40, exec_lo
	v_cmpx_ne_u32_e32 0, v0
	s_cbranch_execz .LBB6_10469
; %bb.10464:                            ;   in Loop: Header=BB6_9580 Depth=2
	v_bfe_u32 v2, v0, 23, 8
	v_and_b32_e32 v1, 0x7fffff, v0
	v_cmp_gt_u32_e64 s13, 0x79, v2
	v_sub_nc_u32_e32 v3, 0x78, v2
	v_cmp_eq_u32_e32 vcc_lo, 0, v2
	v_or_b32_e32 v4, 0x800000, v1
	v_cndmask_b32_e64 v3, 0, v3, s13
	v_cndmask_b32_e32 v1, v4, v1, vcc_lo
	v_cndmask_b32_e64 v3, v3, 0x77, vcc_lo
	v_lshl_add_u32 v4, 0x100000, v3, -1
	v_lshlrev_b32_e64 v5, v3, 0x80000
	v_and_b32_e32 v4, v4, v1
	v_cmp_eq_u32_e64 s13, v4, v5
	v_lshrrev_b32_e32 v4, v3, v1
	v_add_nc_u32_e32 v1, 0xffffff89, v2
	v_lshrrev_b32_e32 v2, 23, v4
	v_cndmask_b32_e64 v1, v1, 0xffffff8a, vcc_lo
	v_xor_b32_e32 v2, 1, v2
	v_add_nc_u32_e32 v1, v3, v1
	v_bfe_u32 v3, v4, 20, 1
	v_add_nc_u32_e32 v3, -1, v3
	v_cndmask_b32_e64 v3, 0, v3, s13
	s_mov_b32 s13, exec_lo
	v_add_nc_u32_e32 v3, v3, v4
	v_and_b32_e32 v3, 0xfffff, v3
	v_add_nc_u32_e32 v3, v3, v4
                                        ; implicit-def: $vgpr4
	v_cmpx_ne_u32_e64 v1, v2
	s_xor_b32 s13, exec_lo, s13
; %bb.10465:                            ;   in Loop: Header=BB6_9580 Depth=2
	v_cmp_lt_u32_e32 vcc_lo, 0xffffff, v3
	v_sub_nc_u32_e32 v1, v1, v2
	v_cndmask_b32_e64 v2, 0, 1, vcc_lo
	v_add_co_ci_u32_e64 v4, null, 0, v1, vcc_lo
	v_lshrrev_b32_e32 v3, v2, v3
; %bb.10466:                            ;   in Loop: Header=BB6_9580 Depth=2
	s_andn2_saveexec_b32 s13, s13
; %bb.10467:                            ;   in Loop: Header=BB6_9580 Depth=2
	v_bfe_u32 v4, v3, 23, 1
; %bb.10468:                            ;   in Loop: Header=BB6_9580 Depth=2
	s_or_b32 exec_lo, exec_lo, s13
	v_lshrrev_b32_e32 v1, 20, v3
	v_min_i32_e32 v2, 15, v4
	v_cmp_gt_i32_e32 vcc_lo, 16, v4
	v_and_b32_sdwa v0, v0, v81 dst_sel:DWORD dst_unused:UNUSED_PAD src0_sel:BYTE_3 src1_sel:DWORD
	v_lshlrev_b32_e32 v2, 3, v2
	v_cndmask_b32_e32 v1, 7, v1, vcc_lo
	v_and_b32_e32 v2, 0xf8, v2
	v_or_b32_e32 v3, v4, v1
	v_and_b32_e32 v1, 7, v1
	v_cmp_ne_u32_e32 vcc_lo, 0, v3
	v_or3_b32 v0, v2, v0, v1
	v_cndmask_b32_e32 v2, 0, v0, vcc_lo
.LBB6_10469:                            ;   in Loop: Header=BB6_9580 Depth=2
	s_or_b32 exec_lo, exec_lo, s40
.LBB6_10470:                            ;   in Loop: Header=BB6_9580 Depth=2
	s_or_b32 exec_lo, exec_lo, s29
	v_cmp_gt_i16_sdwa s29, v13, v80 src0_sel:BYTE_3 src1_sel:DWORD
	s_mov_b32 s13, 0
	s_and_saveexec_b32 s40, s29
	s_xor_b32 s29, exec_lo, s40
	s_cbranch_execz .LBB6_11504
; %bb.10471:                            ;   in Loop: Header=BB6_9580 Depth=2
	v_cmp_eq_u16_sdwa s41, v13, v81 src0_sel:BYTE_3 src1_sel:DWORD
	s_mov_b32 s13, -1
	s_and_saveexec_b32 s40, s41
; %bb.10472:                            ;   in Loop: Header=BB6_9580 Depth=2
	s_xor_b32 s13, exec_lo, -1
; %bb.10473:                            ;   in Loop: Header=BB6_9580 Depth=2
	s_or_b32 exec_lo, exec_lo, s40
	s_and_b32 s13, s13, exec_lo
	s_or_saveexec_b32 s29, s29
	v_mov_b32_e32 v0, 0x7f800001
	s_xor_b32 exec_lo, exec_lo, s29
	s_cbranch_execnz .LBB6_11505
.LBB6_10474:                            ;   in Loop: Header=BB6_9580 Depth=2
	s_or_b32 exec_lo, exec_lo, s29
	s_and_saveexec_b32 s29, s13
	s_cbranch_execz .LBB6_10476
.LBB6_10475:                            ;   in Loop: Header=BB6_9580 Depth=2
	v_bfe_u32 v0, v13, 24, 3
	v_bfe_u32 v4, v13, 27, 4
	v_ffbh_u32_e32 v1, v0
	v_cmp_eq_u32_e32 vcc_lo, 0, v4
	v_min_u32_e32 v1, 32, v1
	v_subrev_nc_u32_e32 v3, 28, v1
	v_sub_nc_u32_e32 v1, 29, v1
	v_lshlrev_b32_sdwa v3, v3, v13 dst_sel:DWORD dst_unused:UNUSED_PAD src0_sel:DWORD src1_sel:BYTE_3
	v_cndmask_b32_e32 v1, v4, v1, vcc_lo
	v_and_b32_e32 v3, 7, v3
	v_lshl_add_u32 v1, v1, 23, 0x3b800000
	v_cndmask_b32_e32 v0, v0, v3, vcc_lo
	v_and_b32_e32 v3, 0x80000000, v13
	v_lshlrev_b32_e32 v0, 20, v0
	v_or3_b32 v0, v3, v1, v0
.LBB6_10476:                            ;   in Loop: Header=BB6_9580 Depth=2
	s_or_b32 exec_lo, exec_lo, s29
	v_mul_f32_e32 v0, s28, v0
	v_mov_b32_e32 v3, 0x8000
	s_mov_b32 s29, exec_lo
	v_and_b32_e32 v1, 0x7f800000, v0
	v_cmpx_ne_u32_e32 0x7f800000, v1
	s_cbranch_execz .LBB6_10484
; %bb.10477:                            ;   in Loop: Header=BB6_9580 Depth=2
	v_mov_b32_e32 v3, 0
	s_mov_b32 s40, exec_lo
	v_cmpx_ne_u32_e32 0, v0
	s_cbranch_execz .LBB6_10483
; %bb.10478:                            ;   in Loop: Header=BB6_9580 Depth=2
	v_bfe_u32 v3, v0, 23, 8
	v_and_b32_e32 v1, 0x7fffff, v0
	v_cmp_gt_u32_e64 s13, 0x79, v3
	v_sub_nc_u32_e32 v4, 0x78, v3
	v_cmp_eq_u32_e32 vcc_lo, 0, v3
	v_or_b32_e32 v5, 0x800000, v1
	v_cndmask_b32_e64 v4, 0, v4, s13
	v_cndmask_b32_e32 v1, v5, v1, vcc_lo
	v_cndmask_b32_e64 v4, v4, 0x77, vcc_lo
	v_lshl_add_u32 v5, 0x100000, v4, -1
	v_lshlrev_b32_e64 v6, v4, 0x80000
	v_and_b32_e32 v5, v5, v1
	v_cmp_eq_u32_e64 s13, v5, v6
	v_lshrrev_b32_e32 v5, v4, v1
	v_add_nc_u32_e32 v1, 0xffffff89, v3
	v_lshrrev_b32_e32 v3, 23, v5
	v_cndmask_b32_e64 v1, v1, 0xffffff8a, vcc_lo
	v_xor_b32_e32 v3, 1, v3
	v_add_nc_u32_e32 v1, v4, v1
	v_bfe_u32 v4, v5, 20, 1
	v_add_nc_u32_e32 v4, -1, v4
	v_cndmask_b32_e64 v4, 0, v4, s13
	s_mov_b32 s13, exec_lo
	v_add_nc_u32_e32 v4, v4, v5
	v_and_b32_e32 v4, 0xfffff, v4
	v_add_nc_u32_e32 v4, v4, v5
                                        ; implicit-def: $vgpr5
	v_cmpx_ne_u32_e64 v1, v3
	s_xor_b32 s13, exec_lo, s13
; %bb.10479:                            ;   in Loop: Header=BB6_9580 Depth=2
	v_cmp_lt_u32_e32 vcc_lo, 0xffffff, v4
	v_sub_nc_u32_e32 v1, v1, v3
	v_cndmask_b32_e64 v3, 0, 1, vcc_lo
	v_add_co_ci_u32_e64 v5, null, 0, v1, vcc_lo
	v_lshrrev_b32_e32 v4, v3, v4
; %bb.10480:                            ;   in Loop: Header=BB6_9580 Depth=2
	s_andn2_saveexec_b32 s13, s13
; %bb.10481:                            ;   in Loop: Header=BB6_9580 Depth=2
	v_bfe_u32 v5, v4, 23, 1
; %bb.10482:                            ;   in Loop: Header=BB6_9580 Depth=2
	s_or_b32 exec_lo, exec_lo, s13
	v_lshrrev_b32_e32 v1, 20, v4
	v_min_i32_e32 v3, 15, v5
	v_cmp_gt_i32_e32 vcc_lo, 16, v5
	v_and_b32_sdwa v0, v0, v81 dst_sel:DWORD dst_unused:UNUSED_PAD src0_sel:BYTE_3 src1_sel:DWORD
	v_lshlrev_b32_e32 v3, 3, v3
	v_cndmask_b32_e32 v1, 7, v1, vcc_lo
	v_and_b32_e32 v3, 0xf8, v3
	v_or_b32_e32 v4, v5, v1
	v_and_b32_e32 v1, 7, v1
	v_cmp_ne_u32_e32 vcc_lo, 0, v4
	v_or3_b32 v0, v0, v3, v1
	v_lshlrev_b32_e32 v0, 8, v0
	v_cndmask_b32_e32 v3, 0, v0, vcc_lo
.LBB6_10483:                            ;   in Loop: Header=BB6_9580 Depth=2
	s_or_b32 exec_lo, exec_lo, s40
.LBB6_10484:                            ;   in Loop: Header=BB6_9580 Depth=2
	s_or_b32 exec_lo, exec_lo, s29
	v_add_co_u32 v54, vcc_lo, 0x800, v54
	v_add_co_ci_u32_e64 v55, null, 0, v55, vcc_lo
	s_mov_b32 s29, 0
	global_load_dwordx4 v[10:13], v[54:55], off slc
	s_waitcnt vmcnt(0)
	v_cmp_gt_i16_sdwa s13, v10, v80 src0_sel:BYTE_0 src1_sel:DWORD
	s_and_saveexec_b32 s40, s13
	s_xor_b32 s13, exec_lo, s40
	s_cbranch_execz .LBB6_11506
; %bb.10485:                            ;   in Loop: Header=BB6_9580 Depth=2
	v_cmp_eq_u16_sdwa s41, v10, v81 src0_sel:BYTE_0 src1_sel:DWORD
	s_mov_b32 s29, -1
	s_and_saveexec_b32 s40, s41
; %bb.10486:                            ;   in Loop: Header=BB6_9580 Depth=2
	s_xor_b32 s29, exec_lo, -1
; %bb.10487:                            ;   in Loop: Header=BB6_9580 Depth=2
	s_or_b32 exec_lo, exec_lo, s40
	s_and_b32 s29, s29, exec_lo
	s_or_saveexec_b32 s13, s13
	v_mov_b32_e32 v0, 0x7f800001
	s_xor_b32 exec_lo, exec_lo, s13
	s_cbranch_execnz .LBB6_11507
.LBB6_10488:                            ;   in Loop: Header=BB6_9580 Depth=2
	s_or_b32 exec_lo, exec_lo, s13
	s_and_saveexec_b32 s13, s29
	s_cbranch_execz .LBB6_10490
.LBB6_10489:                            ;   in Loop: Header=BB6_9580 Depth=2
	v_and_b32_e32 v0, 7, v10
	v_bfe_u32 v1, v10, 3, 4
	v_ffbh_u32_e32 v4, v0
	v_cmp_eq_u32_e32 vcc_lo, 0, v1
	v_min_u32_e32 v4, 32, v4
	v_subrev_nc_u32_e32 v5, 28, v4
	v_sub_nc_u32_e32 v4, 29, v4
	v_lshlrev_b32_e32 v5, v5, v10
	v_cndmask_b32_e32 v1, v1, v4, vcc_lo
	v_lshlrev_b32_e32 v4, 24, v10
	v_and_b32_e32 v5, 7, v5
	v_lshl_add_u32 v1, v1, 23, 0x3b800000
	v_and_b32_e32 v4, 0x80000000, v4
	v_cndmask_b32_e32 v0, v0, v5, vcc_lo
	v_lshlrev_b32_e32 v0, 20, v0
	v_or3_b32 v0, v4, v1, v0
.LBB6_10490:                            ;   in Loop: Header=BB6_9580 Depth=2
	s_or_b32 exec_lo, exec_lo, s13
	v_mul_f32_e32 v0, s28, v0
	v_mov_b32_e32 v30, 0x80
	s_mov_b32 s29, exec_lo
	v_and_b32_e32 v1, 0x7f800000, v0
	v_cmpx_ne_u32_e32 0x7f800000, v1
	s_cbranch_execz .LBB6_10498
; %bb.10491:                            ;   in Loop: Header=BB6_9580 Depth=2
	v_mov_b32_e32 v30, 0
	s_mov_b32 s40, exec_lo
	v_cmpx_ne_u32_e32 0, v0
	s_cbranch_execz .LBB6_10497
; %bb.10492:                            ;   in Loop: Header=BB6_9580 Depth=2
	v_bfe_u32 v4, v0, 23, 8
	v_and_b32_e32 v1, 0x7fffff, v0
	v_cmp_gt_u32_e64 s13, 0x79, v4
	v_sub_nc_u32_e32 v5, 0x78, v4
	v_cmp_eq_u32_e32 vcc_lo, 0, v4
	v_or_b32_e32 v6, 0x800000, v1
	v_cndmask_b32_e64 v5, 0, v5, s13
	v_cndmask_b32_e32 v1, v6, v1, vcc_lo
	v_cndmask_b32_e64 v5, v5, 0x77, vcc_lo
	v_lshl_add_u32 v6, 0x100000, v5, -1
	v_lshlrev_b32_e64 v7, v5, 0x80000
	v_and_b32_e32 v6, v6, v1
	v_cmp_eq_u32_e64 s13, v6, v7
	v_lshrrev_b32_e32 v6, v5, v1
	v_add_nc_u32_e32 v1, 0xffffff89, v4
	v_lshrrev_b32_e32 v4, 23, v6
	v_cndmask_b32_e64 v1, v1, 0xffffff8a, vcc_lo
	v_xor_b32_e32 v4, 1, v4
	v_add_nc_u32_e32 v1, v5, v1
	v_bfe_u32 v5, v6, 20, 1
	v_add_nc_u32_e32 v5, -1, v5
	v_cndmask_b32_e64 v5, 0, v5, s13
	s_mov_b32 s13, exec_lo
	v_add_nc_u32_e32 v5, v5, v6
	v_and_b32_e32 v5, 0xfffff, v5
	v_add_nc_u32_e32 v5, v5, v6
                                        ; implicit-def: $vgpr6
	v_cmpx_ne_u32_e64 v1, v4
	s_xor_b32 s13, exec_lo, s13
; %bb.10493:                            ;   in Loop: Header=BB6_9580 Depth=2
	v_cmp_lt_u32_e32 vcc_lo, 0xffffff, v5
	v_sub_nc_u32_e32 v1, v1, v4
	v_cndmask_b32_e64 v4, 0, 1, vcc_lo
	v_add_co_ci_u32_e64 v6, null, 0, v1, vcc_lo
	v_lshrrev_b32_e32 v5, v4, v5
; %bb.10494:                            ;   in Loop: Header=BB6_9580 Depth=2
	s_andn2_saveexec_b32 s13, s13
; %bb.10495:                            ;   in Loop: Header=BB6_9580 Depth=2
	v_bfe_u32 v6, v5, 23, 1
; %bb.10496:                            ;   in Loop: Header=BB6_9580 Depth=2
	s_or_b32 exec_lo, exec_lo, s13
	v_lshrrev_b32_e32 v1, 20, v5
	v_min_i32_e32 v4, 15, v6
	v_cmp_gt_i32_e32 vcc_lo, 16, v6
	v_and_b32_sdwa v0, v0, v81 dst_sel:DWORD dst_unused:UNUSED_PAD src0_sel:BYTE_3 src1_sel:DWORD
	v_lshlrev_b32_e32 v4, 3, v4
	v_cndmask_b32_e32 v1, 7, v1, vcc_lo
	v_and_b32_e32 v4, 0xf8, v4
	v_or_b32_e32 v5, v6, v1
	v_and_b32_e32 v1, 7, v1
	v_cmp_ne_u32_e32 vcc_lo, 0, v5
	v_or3_b32 v0, v4, v0, v1
	v_cndmask_b32_e32 v30, 0, v0, vcc_lo
.LBB6_10497:                            ;   in Loop: Header=BB6_9580 Depth=2
	s_or_b32 exec_lo, exec_lo, s40
.LBB6_10498:                            ;   in Loop: Header=BB6_9580 Depth=2
	s_or_b32 exec_lo, exec_lo, s29
	v_cmp_gt_i16_sdwa s29, v10, v80 src0_sel:BYTE_1 src1_sel:DWORD
	s_mov_b32 s13, 0
	s_and_saveexec_b32 s40, s29
	s_xor_b32 s29, exec_lo, s40
	s_cbranch_execz .LBB6_11508
; %bb.10499:                            ;   in Loop: Header=BB6_9580 Depth=2
	v_cmp_eq_u16_sdwa s41, v10, v81 src0_sel:BYTE_1 src1_sel:DWORD
	s_mov_b32 s13, -1
	s_and_saveexec_b32 s40, s41
; %bb.10500:                            ;   in Loop: Header=BB6_9580 Depth=2
	s_xor_b32 s13, exec_lo, -1
; %bb.10501:                            ;   in Loop: Header=BB6_9580 Depth=2
	s_or_b32 exec_lo, exec_lo, s40
	s_and_b32 s13, s13, exec_lo
	s_or_saveexec_b32 s29, s29
	v_mov_b32_e32 v0, 0x7f800001
	s_xor_b32 exec_lo, exec_lo, s29
	s_cbranch_execnz .LBB6_11509
.LBB6_10502:                            ;   in Loop: Header=BB6_9580 Depth=2
	s_or_b32 exec_lo, exec_lo, s29
	s_and_saveexec_b32 s29, s13
	s_cbranch_execz .LBB6_10504
.LBB6_10503:                            ;   in Loop: Header=BB6_9580 Depth=2
	v_and_b32_sdwa v0, v82, v10 dst_sel:DWORD dst_unused:UNUSED_PAD src0_sel:DWORD src1_sel:BYTE_1
	v_and_b32_e32 v1, 7, v0
	v_bfe_u32 v6, v0, 3, 4
	v_ffbh_u32_e32 v4, v1
	v_cmp_eq_u32_e32 vcc_lo, 0, v6
	v_min_u32_e32 v4, 32, v4
	v_subrev_nc_u32_e32 v5, 28, v4
	v_sub_nc_u32_e32 v4, 29, v4
	v_lshlrev_b32_e32 v0, v5, v0
	v_lshlrev_b32_sdwa v5, v83, v10 dst_sel:DWORD dst_unused:UNUSED_PAD src0_sel:DWORD src1_sel:BYTE_1
	v_cndmask_b32_e32 v4, v6, v4, vcc_lo
	v_and_b32_e32 v0, 7, v0
	v_lshl_add_u32 v4, v4, 23, 0x3b800000
	v_cndmask_b32_e32 v0, v1, v0, vcc_lo
	v_and_b32_e32 v1, 0x80000000, v5
	v_lshlrev_b32_e32 v0, 20, v0
	v_or3_b32 v0, v1, v4, v0
.LBB6_10504:                            ;   in Loop: Header=BB6_9580 Depth=2
	s_or_b32 exec_lo, exec_lo, s29
	v_mul_f32_e32 v0, s28, v0
	v_mov_b32_e32 v65, 0x8000
	s_mov_b32 s29, exec_lo
	v_and_b32_e32 v1, 0x7f800000, v0
	v_cmpx_ne_u32_e32 0x7f800000, v1
	s_cbranch_execz .LBB6_10512
; %bb.10505:                            ;   in Loop: Header=BB6_9580 Depth=2
	v_mov_b32_e32 v65, 0
	s_mov_b32 s40, exec_lo
	v_cmpx_ne_u32_e32 0, v0
	s_cbranch_execz .LBB6_10511
; %bb.10506:                            ;   in Loop: Header=BB6_9580 Depth=2
	v_bfe_u32 v4, v0, 23, 8
	v_and_b32_e32 v1, 0x7fffff, v0
	v_cmp_gt_u32_e64 s13, 0x79, v4
	v_sub_nc_u32_e32 v5, 0x78, v4
	v_cmp_eq_u32_e32 vcc_lo, 0, v4
	v_or_b32_e32 v6, 0x800000, v1
	v_cndmask_b32_e64 v5, 0, v5, s13
	v_cndmask_b32_e32 v1, v6, v1, vcc_lo
	v_cndmask_b32_e64 v5, v5, 0x77, vcc_lo
	v_lshl_add_u32 v6, 0x100000, v5, -1
	v_lshlrev_b32_e64 v7, v5, 0x80000
	v_and_b32_e32 v6, v6, v1
	v_cmp_eq_u32_e64 s13, v6, v7
	v_lshrrev_b32_e32 v6, v5, v1
	v_add_nc_u32_e32 v1, 0xffffff89, v4
	v_lshrrev_b32_e32 v4, 23, v6
	v_cndmask_b32_e64 v1, v1, 0xffffff8a, vcc_lo
	v_xor_b32_e32 v4, 1, v4
	v_add_nc_u32_e32 v1, v5, v1
	v_bfe_u32 v5, v6, 20, 1
	v_add_nc_u32_e32 v5, -1, v5
	v_cndmask_b32_e64 v5, 0, v5, s13
	s_mov_b32 s13, exec_lo
	v_add_nc_u32_e32 v5, v5, v6
	v_and_b32_e32 v5, 0xfffff, v5
	v_add_nc_u32_e32 v5, v5, v6
                                        ; implicit-def: $vgpr6
	v_cmpx_ne_u32_e64 v1, v4
	s_xor_b32 s13, exec_lo, s13
; %bb.10507:                            ;   in Loop: Header=BB6_9580 Depth=2
	v_cmp_lt_u32_e32 vcc_lo, 0xffffff, v5
	v_sub_nc_u32_e32 v1, v1, v4
	v_cndmask_b32_e64 v4, 0, 1, vcc_lo
	v_add_co_ci_u32_e64 v6, null, 0, v1, vcc_lo
	v_lshrrev_b32_e32 v5, v4, v5
; %bb.10508:                            ;   in Loop: Header=BB6_9580 Depth=2
	s_andn2_saveexec_b32 s13, s13
; %bb.10509:                            ;   in Loop: Header=BB6_9580 Depth=2
	v_bfe_u32 v6, v5, 23, 1
; %bb.10510:                            ;   in Loop: Header=BB6_9580 Depth=2
	s_or_b32 exec_lo, exec_lo, s13
	v_lshrrev_b32_e32 v1, 20, v5
	v_min_i32_e32 v4, 15, v6
	v_cmp_gt_i32_e32 vcc_lo, 16, v6
	v_and_b32_sdwa v0, v0, v81 dst_sel:DWORD dst_unused:UNUSED_PAD src0_sel:BYTE_3 src1_sel:DWORD
	v_lshlrev_b32_e32 v4, 3, v4
	v_cndmask_b32_e32 v1, 7, v1, vcc_lo
	v_and_b32_e32 v4, 0xf8, v4
	v_or_b32_e32 v5, v6, v1
	v_and_b32_e32 v1, 7, v1
	v_cmp_ne_u32_e32 vcc_lo, 0, v5
	v_or3_b32 v0, v0, v4, v1
	v_lshlrev_b32_e32 v0, 8, v0
	v_cndmask_b32_e32 v65, 0, v0, vcc_lo
.LBB6_10511:                            ;   in Loop: Header=BB6_9580 Depth=2
	s_or_b32 exec_lo, exec_lo, s40
.LBB6_10512:                            ;   in Loop: Header=BB6_9580 Depth=2
	s_or_b32 exec_lo, exec_lo, s29
	v_and_b32_sdwa v1, v10, v86 dst_sel:DWORD dst_unused:UNUSED_PAD src0_sel:WORD_1 src1_sel:DWORD
	s_mov_b32 s29, 0
	s_mov_b32 s13, exec_lo
	v_cmpx_lt_i16_e32 0x7f, v1
	s_xor_b32 s13, exec_lo, s13
	s_cbranch_execz .LBB6_11510
; %bb.10513:                            ;   in Loop: Header=BB6_9580 Depth=2
	s_mov_b32 s29, -1
	s_mov_b32 s40, exec_lo
	v_cmpx_eq_u16_e32 0x80, v1
; %bb.10514:                            ;   in Loop: Header=BB6_9580 Depth=2
	s_xor_b32 s29, exec_lo, -1
; %bb.10515:                            ;   in Loop: Header=BB6_9580 Depth=2
	s_or_b32 exec_lo, exec_lo, s40
	s_and_b32 s29, s29, exec_lo
                                        ; implicit-def: $vgpr1
	s_or_saveexec_b32 s13, s13
	v_mov_b32_e32 v0, 0x7f800001
	s_xor_b32 exec_lo, exec_lo, s13
	s_cbranch_execnz .LBB6_11511
.LBB6_10516:                            ;   in Loop: Header=BB6_9580 Depth=2
	s_or_b32 exec_lo, exec_lo, s13
	s_and_saveexec_b32 s13, s29
	s_cbranch_execz .LBB6_10518
.LBB6_10517:                            ;   in Loop: Header=BB6_9580 Depth=2
	v_bfe_u32 v0, v10, 16, 3
	v_bfe_u32 v1, v10, 19, 4
	v_ffbh_u32_e32 v4, v0
	v_cmp_eq_u32_e32 vcc_lo, 0, v1
	v_min_u32_e32 v4, 32, v4
	v_subrev_nc_u32_e32 v5, 28, v4
	v_sub_nc_u32_e32 v4, 29, v4
	v_lshlrev_b32_sdwa v5, v5, v10 dst_sel:DWORD dst_unused:UNUSED_PAD src0_sel:DWORD src1_sel:WORD_1
	v_cndmask_b32_e32 v1, v1, v4, vcc_lo
	v_lshlrev_b32_e32 v4, 8, v10
	v_and_b32_e32 v5, 7, v5
	v_lshl_add_u32 v1, v1, 23, 0x3b800000
	v_and_b32_e32 v4, 0x80000000, v4
	v_cndmask_b32_e32 v0, v0, v5, vcc_lo
	v_lshlrev_b32_e32 v0, 20, v0
	v_or3_b32 v0, v4, v1, v0
.LBB6_10518:                            ;   in Loop: Header=BB6_9580 Depth=2
	s_or_b32 exec_lo, exec_lo, s13
	v_mul_f32_e32 v0, s28, v0
	v_mov_b32_e32 v25, 0x80
	s_mov_b32 s29, exec_lo
	v_and_b32_e32 v1, 0x7f800000, v0
	v_cmpx_ne_u32_e32 0x7f800000, v1
	s_cbranch_execz .LBB6_10526
; %bb.10519:                            ;   in Loop: Header=BB6_9580 Depth=2
	v_mov_b32_e32 v25, 0
	s_mov_b32 s40, exec_lo
	v_cmpx_ne_u32_e32 0, v0
	s_cbranch_execz .LBB6_10525
; %bb.10520:                            ;   in Loop: Header=BB6_9580 Depth=2
	v_bfe_u32 v4, v0, 23, 8
	v_and_b32_e32 v1, 0x7fffff, v0
	v_cmp_gt_u32_e64 s13, 0x79, v4
	v_sub_nc_u32_e32 v5, 0x78, v4
	v_cmp_eq_u32_e32 vcc_lo, 0, v4
	v_or_b32_e32 v6, 0x800000, v1
	v_cndmask_b32_e64 v5, 0, v5, s13
	v_cndmask_b32_e32 v1, v6, v1, vcc_lo
	v_cndmask_b32_e64 v5, v5, 0x77, vcc_lo
	v_lshl_add_u32 v6, 0x100000, v5, -1
	v_lshlrev_b32_e64 v7, v5, 0x80000
	v_and_b32_e32 v6, v6, v1
	v_cmp_eq_u32_e64 s13, v6, v7
	v_lshrrev_b32_e32 v6, v5, v1
	v_add_nc_u32_e32 v1, 0xffffff89, v4
	v_lshrrev_b32_e32 v4, 23, v6
	v_cndmask_b32_e64 v1, v1, 0xffffff8a, vcc_lo
	v_xor_b32_e32 v4, 1, v4
	v_add_nc_u32_e32 v1, v5, v1
	v_bfe_u32 v5, v6, 20, 1
	v_add_nc_u32_e32 v5, -1, v5
	v_cndmask_b32_e64 v5, 0, v5, s13
	s_mov_b32 s13, exec_lo
	v_add_nc_u32_e32 v5, v5, v6
	v_and_b32_e32 v5, 0xfffff, v5
	v_add_nc_u32_e32 v5, v5, v6
                                        ; implicit-def: $vgpr6
	v_cmpx_ne_u32_e64 v1, v4
	s_xor_b32 s13, exec_lo, s13
; %bb.10521:                            ;   in Loop: Header=BB6_9580 Depth=2
	v_cmp_lt_u32_e32 vcc_lo, 0xffffff, v5
	v_sub_nc_u32_e32 v1, v1, v4
	v_cndmask_b32_e64 v4, 0, 1, vcc_lo
	v_add_co_ci_u32_e64 v6, null, 0, v1, vcc_lo
	v_lshrrev_b32_e32 v5, v4, v5
; %bb.10522:                            ;   in Loop: Header=BB6_9580 Depth=2
	s_andn2_saveexec_b32 s13, s13
; %bb.10523:                            ;   in Loop: Header=BB6_9580 Depth=2
	v_bfe_u32 v6, v5, 23, 1
; %bb.10524:                            ;   in Loop: Header=BB6_9580 Depth=2
	s_or_b32 exec_lo, exec_lo, s13
	v_lshrrev_b32_e32 v1, 20, v5
	v_min_i32_e32 v4, 15, v6
	v_cmp_gt_i32_e32 vcc_lo, 16, v6
	v_and_b32_sdwa v0, v0, v81 dst_sel:DWORD dst_unused:UNUSED_PAD src0_sel:BYTE_3 src1_sel:DWORD
	v_lshlrev_b32_e32 v4, 3, v4
	v_cndmask_b32_e32 v1, 7, v1, vcc_lo
	v_and_b32_e32 v4, 0xf8, v4
	v_or_b32_e32 v5, v6, v1
	v_and_b32_e32 v1, 7, v1
	v_cmp_ne_u32_e32 vcc_lo, 0, v5
	v_or3_b32 v0, v4, v0, v1
	v_cndmask_b32_e32 v25, 0, v0, vcc_lo
.LBB6_10525:                            ;   in Loop: Header=BB6_9580 Depth=2
	s_or_b32 exec_lo, exec_lo, s40
.LBB6_10526:                            ;   in Loop: Header=BB6_9580 Depth=2
	s_or_b32 exec_lo, exec_lo, s29
	v_cmp_gt_i16_sdwa s29, v10, v80 src0_sel:BYTE_3 src1_sel:DWORD
	s_mov_b32 s13, 0
	s_and_saveexec_b32 s40, s29
	s_xor_b32 s29, exec_lo, s40
	s_cbranch_execz .LBB6_11512
; %bb.10527:                            ;   in Loop: Header=BB6_9580 Depth=2
	v_cmp_eq_u16_sdwa s41, v10, v81 src0_sel:BYTE_3 src1_sel:DWORD
	s_mov_b32 s13, -1
	s_and_saveexec_b32 s40, s41
; %bb.10528:                            ;   in Loop: Header=BB6_9580 Depth=2
	s_xor_b32 s13, exec_lo, -1
; %bb.10529:                            ;   in Loop: Header=BB6_9580 Depth=2
	s_or_b32 exec_lo, exec_lo, s40
	s_and_b32 s13, s13, exec_lo
	s_or_saveexec_b32 s29, s29
	v_mov_b32_e32 v0, 0x7f800001
	s_xor_b32 exec_lo, exec_lo, s29
	s_cbranch_execnz .LBB6_11513
.LBB6_10530:                            ;   in Loop: Header=BB6_9580 Depth=2
	s_or_b32 exec_lo, exec_lo, s29
	s_and_saveexec_b32 s29, s13
	s_cbranch_execz .LBB6_10532
.LBB6_10531:                            ;   in Loop: Header=BB6_9580 Depth=2
	v_bfe_u32 v0, v10, 24, 3
	v_bfe_u32 v5, v10, 27, 4
	v_ffbh_u32_e32 v1, v0
	v_cmp_eq_u32_e32 vcc_lo, 0, v5
	v_min_u32_e32 v1, 32, v1
	v_subrev_nc_u32_e32 v4, 28, v1
	v_sub_nc_u32_e32 v1, 29, v1
	v_lshlrev_b32_sdwa v4, v4, v10 dst_sel:DWORD dst_unused:UNUSED_PAD src0_sel:DWORD src1_sel:BYTE_3
	v_cndmask_b32_e32 v1, v5, v1, vcc_lo
	v_and_b32_e32 v4, 7, v4
	v_lshl_add_u32 v1, v1, 23, 0x3b800000
	v_cndmask_b32_e32 v0, v0, v4, vcc_lo
	v_and_b32_e32 v4, 0x80000000, v10
	v_lshlrev_b32_e32 v0, 20, v0
	v_or3_b32 v0, v4, v1, v0
.LBB6_10532:                            ;   in Loop: Header=BB6_9580 Depth=2
	s_or_b32 exec_lo, exec_lo, s29
	v_mul_f32_e32 v0, s28, v0
	v_mov_b32_e32 v31, 0x8000
	s_mov_b32 s29, exec_lo
	v_and_b32_e32 v1, 0x7f800000, v0
	v_cmpx_ne_u32_e32 0x7f800000, v1
	s_cbranch_execz .LBB6_10540
; %bb.10533:                            ;   in Loop: Header=BB6_9580 Depth=2
	v_mov_b32_e32 v31, 0
	s_mov_b32 s40, exec_lo
	v_cmpx_ne_u32_e32 0, v0
	s_cbranch_execz .LBB6_10539
; %bb.10534:                            ;   in Loop: Header=BB6_9580 Depth=2
	v_bfe_u32 v4, v0, 23, 8
	v_and_b32_e32 v1, 0x7fffff, v0
	v_cmp_gt_u32_e64 s13, 0x79, v4
	v_sub_nc_u32_e32 v5, 0x78, v4
	v_cmp_eq_u32_e32 vcc_lo, 0, v4
	v_or_b32_e32 v6, 0x800000, v1
	v_cndmask_b32_e64 v5, 0, v5, s13
	v_cndmask_b32_e32 v1, v6, v1, vcc_lo
	v_cndmask_b32_e64 v5, v5, 0x77, vcc_lo
	v_lshl_add_u32 v6, 0x100000, v5, -1
	v_lshlrev_b32_e64 v7, v5, 0x80000
	v_and_b32_e32 v6, v6, v1
	v_cmp_eq_u32_e64 s13, v6, v7
	v_lshrrev_b32_e32 v6, v5, v1
	v_add_nc_u32_e32 v1, 0xffffff89, v4
	v_lshrrev_b32_e32 v4, 23, v6
	v_cndmask_b32_e64 v1, v1, 0xffffff8a, vcc_lo
	v_xor_b32_e32 v4, 1, v4
	v_add_nc_u32_e32 v1, v5, v1
	v_bfe_u32 v5, v6, 20, 1
	v_add_nc_u32_e32 v5, -1, v5
	v_cndmask_b32_e64 v5, 0, v5, s13
	s_mov_b32 s13, exec_lo
	v_add_nc_u32_e32 v5, v5, v6
	v_and_b32_e32 v5, 0xfffff, v5
	v_add_nc_u32_e32 v5, v5, v6
                                        ; implicit-def: $vgpr6
	v_cmpx_ne_u32_e64 v1, v4
	s_xor_b32 s13, exec_lo, s13
; %bb.10535:                            ;   in Loop: Header=BB6_9580 Depth=2
	v_cmp_lt_u32_e32 vcc_lo, 0xffffff, v5
	v_sub_nc_u32_e32 v1, v1, v4
	v_cndmask_b32_e64 v4, 0, 1, vcc_lo
	v_add_co_ci_u32_e64 v6, null, 0, v1, vcc_lo
	v_lshrrev_b32_e32 v5, v4, v5
; %bb.10536:                            ;   in Loop: Header=BB6_9580 Depth=2
	s_andn2_saveexec_b32 s13, s13
; %bb.10537:                            ;   in Loop: Header=BB6_9580 Depth=2
	v_bfe_u32 v6, v5, 23, 1
; %bb.10538:                            ;   in Loop: Header=BB6_9580 Depth=2
	s_or_b32 exec_lo, exec_lo, s13
	v_lshrrev_b32_e32 v1, 20, v5
	v_min_i32_e32 v4, 15, v6
	v_cmp_gt_i32_e32 vcc_lo, 16, v6
	v_and_b32_sdwa v0, v0, v81 dst_sel:DWORD dst_unused:UNUSED_PAD src0_sel:BYTE_3 src1_sel:DWORD
	v_lshlrev_b32_e32 v4, 3, v4
	v_cndmask_b32_e32 v1, 7, v1, vcc_lo
	v_and_b32_e32 v4, 0xf8, v4
	v_or_b32_e32 v5, v6, v1
	v_and_b32_e32 v1, 7, v1
	v_cmp_ne_u32_e32 vcc_lo, 0, v5
	v_or3_b32 v0, v0, v4, v1
	v_lshlrev_b32_e32 v0, 8, v0
	v_cndmask_b32_e32 v31, 0, v0, vcc_lo
.LBB6_10539:                            ;   in Loop: Header=BB6_9580 Depth=2
	s_or_b32 exec_lo, exec_lo, s40
.LBB6_10540:                            ;   in Loop: Header=BB6_9580 Depth=2
	s_or_b32 exec_lo, exec_lo, s29
	v_cmp_gt_i16_sdwa s13, v11, v80 src0_sel:BYTE_0 src1_sel:DWORD
	s_mov_b32 s29, 0
	s_and_saveexec_b32 s40, s13
	s_xor_b32 s13, exec_lo, s40
	s_cbranch_execz .LBB6_11514
; %bb.10541:                            ;   in Loop: Header=BB6_9580 Depth=2
	v_cmp_eq_u16_sdwa s41, v11, v81 src0_sel:BYTE_0 src1_sel:DWORD
	s_mov_b32 s29, -1
	s_and_saveexec_b32 s40, s41
; %bb.10542:                            ;   in Loop: Header=BB6_9580 Depth=2
	s_xor_b32 s29, exec_lo, -1
; %bb.10543:                            ;   in Loop: Header=BB6_9580 Depth=2
	s_or_b32 exec_lo, exec_lo, s40
	s_and_b32 s29, s29, exec_lo
	s_or_saveexec_b32 s13, s13
	v_mov_b32_e32 v0, 0x7f800001
	s_xor_b32 exec_lo, exec_lo, s13
	s_cbranch_execnz .LBB6_11515
.LBB6_10544:                            ;   in Loop: Header=BB6_9580 Depth=2
	s_or_b32 exec_lo, exec_lo, s13
	s_and_saveexec_b32 s13, s29
	s_cbranch_execz .LBB6_10546
.LBB6_10545:                            ;   in Loop: Header=BB6_9580 Depth=2
	v_and_b32_e32 v0, 7, v11
	v_bfe_u32 v1, v11, 3, 4
	v_ffbh_u32_e32 v4, v0
	v_cmp_eq_u32_e32 vcc_lo, 0, v1
	v_min_u32_e32 v4, 32, v4
	v_subrev_nc_u32_e32 v5, 28, v4
	v_sub_nc_u32_e32 v4, 29, v4
	v_lshlrev_b32_e32 v5, v5, v11
	v_cndmask_b32_e32 v1, v1, v4, vcc_lo
	v_lshlrev_b32_e32 v4, 24, v11
	v_and_b32_e32 v5, 7, v5
	v_lshl_add_u32 v1, v1, 23, 0x3b800000
	v_and_b32_e32 v4, 0x80000000, v4
	v_cndmask_b32_e32 v0, v0, v5, vcc_lo
	v_lshlrev_b32_e32 v0, 20, v0
	v_or3_b32 v0, v4, v1, v0
.LBB6_10546:                            ;   in Loop: Header=BB6_9580 Depth=2
	s_or_b32 exec_lo, exec_lo, s13
	v_mul_f32_e32 v0, s28, v0
	v_mov_b32_e32 v28, 0x80
	s_mov_b32 s29, exec_lo
	v_and_b32_e32 v1, 0x7f800000, v0
	v_cmpx_ne_u32_e32 0x7f800000, v1
	s_cbranch_execz .LBB6_10554
; %bb.10547:                            ;   in Loop: Header=BB6_9580 Depth=2
	v_mov_b32_e32 v28, 0
	s_mov_b32 s40, exec_lo
	v_cmpx_ne_u32_e32 0, v0
	s_cbranch_execz .LBB6_10553
; %bb.10548:                            ;   in Loop: Header=BB6_9580 Depth=2
	v_bfe_u32 v4, v0, 23, 8
	v_and_b32_e32 v1, 0x7fffff, v0
	v_cmp_gt_u32_e64 s13, 0x79, v4
	v_sub_nc_u32_e32 v5, 0x78, v4
	v_cmp_eq_u32_e32 vcc_lo, 0, v4
	v_or_b32_e32 v6, 0x800000, v1
	v_cndmask_b32_e64 v5, 0, v5, s13
	v_cndmask_b32_e32 v1, v6, v1, vcc_lo
	v_cndmask_b32_e64 v5, v5, 0x77, vcc_lo
	v_lshl_add_u32 v6, 0x100000, v5, -1
	v_lshlrev_b32_e64 v7, v5, 0x80000
	v_and_b32_e32 v6, v6, v1
	v_cmp_eq_u32_e64 s13, v6, v7
	v_lshrrev_b32_e32 v6, v5, v1
	v_add_nc_u32_e32 v1, 0xffffff89, v4
	v_lshrrev_b32_e32 v4, 23, v6
	v_cndmask_b32_e64 v1, v1, 0xffffff8a, vcc_lo
	v_xor_b32_e32 v4, 1, v4
	v_add_nc_u32_e32 v1, v5, v1
	v_bfe_u32 v5, v6, 20, 1
	v_add_nc_u32_e32 v5, -1, v5
	v_cndmask_b32_e64 v5, 0, v5, s13
	s_mov_b32 s13, exec_lo
	v_add_nc_u32_e32 v5, v5, v6
	v_and_b32_e32 v5, 0xfffff, v5
	v_add_nc_u32_e32 v5, v5, v6
                                        ; implicit-def: $vgpr6
	v_cmpx_ne_u32_e64 v1, v4
	s_xor_b32 s13, exec_lo, s13
; %bb.10549:                            ;   in Loop: Header=BB6_9580 Depth=2
	v_cmp_lt_u32_e32 vcc_lo, 0xffffff, v5
	v_sub_nc_u32_e32 v1, v1, v4
	v_cndmask_b32_e64 v4, 0, 1, vcc_lo
	v_add_co_ci_u32_e64 v6, null, 0, v1, vcc_lo
	v_lshrrev_b32_e32 v5, v4, v5
; %bb.10550:                            ;   in Loop: Header=BB6_9580 Depth=2
	s_andn2_saveexec_b32 s13, s13
; %bb.10551:                            ;   in Loop: Header=BB6_9580 Depth=2
	v_bfe_u32 v6, v5, 23, 1
; %bb.10552:                            ;   in Loop: Header=BB6_9580 Depth=2
	s_or_b32 exec_lo, exec_lo, s13
	v_lshrrev_b32_e32 v1, 20, v5
	v_min_i32_e32 v4, 15, v6
	v_cmp_gt_i32_e32 vcc_lo, 16, v6
	v_and_b32_sdwa v0, v0, v81 dst_sel:DWORD dst_unused:UNUSED_PAD src0_sel:BYTE_3 src1_sel:DWORD
	v_lshlrev_b32_e32 v4, 3, v4
	v_cndmask_b32_e32 v1, 7, v1, vcc_lo
	v_and_b32_e32 v4, 0xf8, v4
	v_or_b32_e32 v5, v6, v1
	v_and_b32_e32 v1, 7, v1
	v_cmp_ne_u32_e32 vcc_lo, 0, v5
	v_or3_b32 v0, v4, v0, v1
	v_cndmask_b32_e32 v28, 0, v0, vcc_lo
.LBB6_10553:                            ;   in Loop: Header=BB6_9580 Depth=2
	s_or_b32 exec_lo, exec_lo, s40
.LBB6_10554:                            ;   in Loop: Header=BB6_9580 Depth=2
	s_or_b32 exec_lo, exec_lo, s29
	v_cmp_gt_i16_sdwa s29, v11, v80 src0_sel:BYTE_1 src1_sel:DWORD
	s_mov_b32 s13, 0
	s_and_saveexec_b32 s40, s29
	s_xor_b32 s29, exec_lo, s40
	s_cbranch_execz .LBB6_11516
; %bb.10555:                            ;   in Loop: Header=BB6_9580 Depth=2
	v_cmp_eq_u16_sdwa s41, v11, v81 src0_sel:BYTE_1 src1_sel:DWORD
	s_mov_b32 s13, -1
	s_and_saveexec_b32 s40, s41
; %bb.10556:                            ;   in Loop: Header=BB6_9580 Depth=2
	s_xor_b32 s13, exec_lo, -1
; %bb.10557:                            ;   in Loop: Header=BB6_9580 Depth=2
	s_or_b32 exec_lo, exec_lo, s40
	s_and_b32 s13, s13, exec_lo
	s_or_saveexec_b32 s29, s29
	v_mov_b32_e32 v0, 0x7f800001
	s_xor_b32 exec_lo, exec_lo, s29
	s_cbranch_execnz .LBB6_11517
.LBB6_10558:                            ;   in Loop: Header=BB6_9580 Depth=2
	s_or_b32 exec_lo, exec_lo, s29
	s_and_saveexec_b32 s29, s13
	s_cbranch_execz .LBB6_10560
.LBB6_10559:                            ;   in Loop: Header=BB6_9580 Depth=2
	v_and_b32_sdwa v0, v82, v11 dst_sel:DWORD dst_unused:UNUSED_PAD src0_sel:DWORD src1_sel:BYTE_1
	v_and_b32_e32 v1, 7, v0
	v_bfe_u32 v6, v0, 3, 4
	v_ffbh_u32_e32 v4, v1
	v_cmp_eq_u32_e32 vcc_lo, 0, v6
	v_min_u32_e32 v4, 32, v4
	v_subrev_nc_u32_e32 v5, 28, v4
	v_sub_nc_u32_e32 v4, 29, v4
	v_lshlrev_b32_e32 v0, v5, v0
	v_lshlrev_b32_sdwa v5, v83, v11 dst_sel:DWORD dst_unused:UNUSED_PAD src0_sel:DWORD src1_sel:BYTE_1
	v_cndmask_b32_e32 v4, v6, v4, vcc_lo
	v_and_b32_e32 v0, 7, v0
	v_lshl_add_u32 v4, v4, 23, 0x3b800000
	v_cndmask_b32_e32 v0, v1, v0, vcc_lo
	v_and_b32_e32 v1, 0x80000000, v5
	v_lshlrev_b32_e32 v0, 20, v0
	v_or3_b32 v0, v1, v4, v0
.LBB6_10560:                            ;   in Loop: Header=BB6_9580 Depth=2
	s_or_b32 exec_lo, exec_lo, s29
	v_mul_f32_e32 v0, s28, v0
	v_mov_b32_e32 v29, 0x8000
	s_mov_b32 s29, exec_lo
	v_and_b32_e32 v1, 0x7f800000, v0
	v_cmpx_ne_u32_e32 0x7f800000, v1
	s_cbranch_execz .LBB6_10568
; %bb.10561:                            ;   in Loop: Header=BB6_9580 Depth=2
	v_mov_b32_e32 v29, 0
	s_mov_b32 s40, exec_lo
	v_cmpx_ne_u32_e32 0, v0
	s_cbranch_execz .LBB6_10567
; %bb.10562:                            ;   in Loop: Header=BB6_9580 Depth=2
	v_bfe_u32 v4, v0, 23, 8
	v_and_b32_e32 v1, 0x7fffff, v0
	v_cmp_gt_u32_e64 s13, 0x79, v4
	v_sub_nc_u32_e32 v5, 0x78, v4
	v_cmp_eq_u32_e32 vcc_lo, 0, v4
	v_or_b32_e32 v6, 0x800000, v1
	v_cndmask_b32_e64 v5, 0, v5, s13
	v_cndmask_b32_e32 v1, v6, v1, vcc_lo
	v_cndmask_b32_e64 v5, v5, 0x77, vcc_lo
	v_lshl_add_u32 v6, 0x100000, v5, -1
	v_lshlrev_b32_e64 v7, v5, 0x80000
	v_and_b32_e32 v6, v6, v1
	v_cmp_eq_u32_e64 s13, v6, v7
	v_lshrrev_b32_e32 v6, v5, v1
	v_add_nc_u32_e32 v1, 0xffffff89, v4
	v_lshrrev_b32_e32 v4, 23, v6
	v_cndmask_b32_e64 v1, v1, 0xffffff8a, vcc_lo
	v_xor_b32_e32 v4, 1, v4
	v_add_nc_u32_e32 v1, v5, v1
	v_bfe_u32 v5, v6, 20, 1
	v_add_nc_u32_e32 v5, -1, v5
	v_cndmask_b32_e64 v5, 0, v5, s13
	s_mov_b32 s13, exec_lo
	v_add_nc_u32_e32 v5, v5, v6
	v_and_b32_e32 v5, 0xfffff, v5
	v_add_nc_u32_e32 v5, v5, v6
                                        ; implicit-def: $vgpr6
	v_cmpx_ne_u32_e64 v1, v4
	s_xor_b32 s13, exec_lo, s13
; %bb.10563:                            ;   in Loop: Header=BB6_9580 Depth=2
	v_cmp_lt_u32_e32 vcc_lo, 0xffffff, v5
	v_sub_nc_u32_e32 v1, v1, v4
	v_cndmask_b32_e64 v4, 0, 1, vcc_lo
	v_add_co_ci_u32_e64 v6, null, 0, v1, vcc_lo
	v_lshrrev_b32_e32 v5, v4, v5
; %bb.10564:                            ;   in Loop: Header=BB6_9580 Depth=2
	s_andn2_saveexec_b32 s13, s13
; %bb.10565:                            ;   in Loop: Header=BB6_9580 Depth=2
	v_bfe_u32 v6, v5, 23, 1
; %bb.10566:                            ;   in Loop: Header=BB6_9580 Depth=2
	s_or_b32 exec_lo, exec_lo, s13
	v_lshrrev_b32_e32 v1, 20, v5
	v_min_i32_e32 v4, 15, v6
	v_cmp_gt_i32_e32 vcc_lo, 16, v6
	v_and_b32_sdwa v0, v0, v81 dst_sel:DWORD dst_unused:UNUSED_PAD src0_sel:BYTE_3 src1_sel:DWORD
	v_lshlrev_b32_e32 v4, 3, v4
	v_cndmask_b32_e32 v1, 7, v1, vcc_lo
	v_and_b32_e32 v4, 0xf8, v4
	v_or_b32_e32 v5, v6, v1
	v_and_b32_e32 v1, 7, v1
	v_cmp_ne_u32_e32 vcc_lo, 0, v5
	v_or3_b32 v0, v0, v4, v1
	v_lshlrev_b32_e32 v0, 8, v0
	v_cndmask_b32_e32 v29, 0, v0, vcc_lo
.LBB6_10567:                            ;   in Loop: Header=BB6_9580 Depth=2
	s_or_b32 exec_lo, exec_lo, s40
.LBB6_10568:                            ;   in Loop: Header=BB6_9580 Depth=2
	s_or_b32 exec_lo, exec_lo, s29
	v_and_b32_sdwa v1, v11, v86 dst_sel:DWORD dst_unused:UNUSED_PAD src0_sel:WORD_1 src1_sel:DWORD
	s_mov_b32 s29, 0
	s_mov_b32 s13, exec_lo
	v_cmpx_lt_i16_e32 0x7f, v1
	s_xor_b32 s13, exec_lo, s13
	s_cbranch_execz .LBB6_11518
; %bb.10569:                            ;   in Loop: Header=BB6_9580 Depth=2
	s_mov_b32 s29, -1
	s_mov_b32 s40, exec_lo
	v_cmpx_eq_u16_e32 0x80, v1
; %bb.10570:                            ;   in Loop: Header=BB6_9580 Depth=2
	s_xor_b32 s29, exec_lo, -1
; %bb.10571:                            ;   in Loop: Header=BB6_9580 Depth=2
	s_or_b32 exec_lo, exec_lo, s40
	s_and_b32 s29, s29, exec_lo
                                        ; implicit-def: $vgpr1
	s_or_saveexec_b32 s13, s13
	v_mov_b32_e32 v0, 0x7f800001
	s_xor_b32 exec_lo, exec_lo, s13
	s_cbranch_execnz .LBB6_11519
.LBB6_10572:                            ;   in Loop: Header=BB6_9580 Depth=2
	s_or_b32 exec_lo, exec_lo, s13
	s_and_saveexec_b32 s13, s29
	s_cbranch_execz .LBB6_10574
.LBB6_10573:                            ;   in Loop: Header=BB6_9580 Depth=2
	v_bfe_u32 v0, v11, 16, 3
	v_bfe_u32 v1, v11, 19, 4
	v_ffbh_u32_e32 v4, v0
	v_cmp_eq_u32_e32 vcc_lo, 0, v1
	v_min_u32_e32 v4, 32, v4
	v_subrev_nc_u32_e32 v5, 28, v4
	v_sub_nc_u32_e32 v4, 29, v4
	v_lshlrev_b32_sdwa v5, v5, v11 dst_sel:DWORD dst_unused:UNUSED_PAD src0_sel:DWORD src1_sel:WORD_1
	v_cndmask_b32_e32 v1, v1, v4, vcc_lo
	v_lshlrev_b32_e32 v4, 8, v11
	v_and_b32_e32 v5, 7, v5
	v_lshl_add_u32 v1, v1, 23, 0x3b800000
	v_and_b32_e32 v4, 0x80000000, v4
	v_cndmask_b32_e32 v0, v0, v5, vcc_lo
	v_lshlrev_b32_e32 v0, 20, v0
	v_or3_b32 v0, v4, v1, v0
.LBB6_10574:                            ;   in Loop: Header=BB6_9580 Depth=2
	s_or_b32 exec_lo, exec_lo, s13
	v_mul_f32_e32 v0, s28, v0
	v_mov_b32_e32 v85, 0x80
	s_mov_b32 s29, exec_lo
	v_and_b32_e32 v1, 0x7f800000, v0
	v_cmpx_ne_u32_e32 0x7f800000, v1
	s_cbranch_execz .LBB6_10582
; %bb.10575:                            ;   in Loop: Header=BB6_9580 Depth=2
	v_mov_b32_e32 v85, 0
	s_mov_b32 s40, exec_lo
	v_cmpx_ne_u32_e32 0, v0
	s_cbranch_execz .LBB6_10581
; %bb.10576:                            ;   in Loop: Header=BB6_9580 Depth=2
	v_bfe_u32 v4, v0, 23, 8
	v_and_b32_e32 v1, 0x7fffff, v0
	v_cmp_gt_u32_e64 s13, 0x79, v4
	v_sub_nc_u32_e32 v5, 0x78, v4
	v_cmp_eq_u32_e32 vcc_lo, 0, v4
	v_or_b32_e32 v6, 0x800000, v1
	v_cndmask_b32_e64 v5, 0, v5, s13
	v_cndmask_b32_e32 v1, v6, v1, vcc_lo
	v_cndmask_b32_e64 v5, v5, 0x77, vcc_lo
	v_lshl_add_u32 v6, 0x100000, v5, -1
	v_lshlrev_b32_e64 v7, v5, 0x80000
	v_and_b32_e32 v6, v6, v1
	v_cmp_eq_u32_e64 s13, v6, v7
	v_lshrrev_b32_e32 v6, v5, v1
	v_add_nc_u32_e32 v1, 0xffffff89, v4
	v_lshrrev_b32_e32 v4, 23, v6
	v_cndmask_b32_e64 v1, v1, 0xffffff8a, vcc_lo
	v_xor_b32_e32 v4, 1, v4
	v_add_nc_u32_e32 v1, v5, v1
	v_bfe_u32 v5, v6, 20, 1
	v_add_nc_u32_e32 v5, -1, v5
	v_cndmask_b32_e64 v5, 0, v5, s13
	s_mov_b32 s13, exec_lo
	v_add_nc_u32_e32 v5, v5, v6
	v_and_b32_e32 v5, 0xfffff, v5
	v_add_nc_u32_e32 v5, v5, v6
                                        ; implicit-def: $vgpr6
	v_cmpx_ne_u32_e64 v1, v4
	s_xor_b32 s13, exec_lo, s13
; %bb.10577:                            ;   in Loop: Header=BB6_9580 Depth=2
	v_cmp_lt_u32_e32 vcc_lo, 0xffffff, v5
	v_sub_nc_u32_e32 v1, v1, v4
	v_cndmask_b32_e64 v4, 0, 1, vcc_lo
	v_add_co_ci_u32_e64 v6, null, 0, v1, vcc_lo
	v_lshrrev_b32_e32 v5, v4, v5
; %bb.10578:                            ;   in Loop: Header=BB6_9580 Depth=2
	s_andn2_saveexec_b32 s13, s13
; %bb.10579:                            ;   in Loop: Header=BB6_9580 Depth=2
	v_bfe_u32 v6, v5, 23, 1
; %bb.10580:                            ;   in Loop: Header=BB6_9580 Depth=2
	s_or_b32 exec_lo, exec_lo, s13
	v_lshrrev_b32_e32 v1, 20, v5
	v_min_i32_e32 v4, 15, v6
	v_cmp_gt_i32_e32 vcc_lo, 16, v6
	v_and_b32_sdwa v0, v0, v81 dst_sel:DWORD dst_unused:UNUSED_PAD src0_sel:BYTE_3 src1_sel:DWORD
	v_lshlrev_b32_e32 v4, 3, v4
	v_cndmask_b32_e32 v1, 7, v1, vcc_lo
	v_and_b32_e32 v4, 0xf8, v4
	v_or_b32_e32 v5, v6, v1
	v_and_b32_e32 v1, 7, v1
	v_cmp_ne_u32_e32 vcc_lo, 0, v5
	v_or3_b32 v0, v4, v0, v1
	v_cndmask_b32_e32 v85, 0, v0, vcc_lo
.LBB6_10581:                            ;   in Loop: Header=BB6_9580 Depth=2
	s_or_b32 exec_lo, exec_lo, s40
.LBB6_10582:                            ;   in Loop: Header=BB6_9580 Depth=2
	s_or_b32 exec_lo, exec_lo, s29
	v_cmp_gt_i16_sdwa s29, v11, v80 src0_sel:BYTE_3 src1_sel:DWORD
	s_mov_b32 s13, 0
	s_and_saveexec_b32 s40, s29
	s_xor_b32 s29, exec_lo, s40
	s_cbranch_execz .LBB6_11520
; %bb.10583:                            ;   in Loop: Header=BB6_9580 Depth=2
	v_cmp_eq_u16_sdwa s41, v11, v81 src0_sel:BYTE_3 src1_sel:DWORD
	s_mov_b32 s13, -1
	s_and_saveexec_b32 s40, s41
; %bb.10584:                            ;   in Loop: Header=BB6_9580 Depth=2
	s_xor_b32 s13, exec_lo, -1
; %bb.10585:                            ;   in Loop: Header=BB6_9580 Depth=2
	s_or_b32 exec_lo, exec_lo, s40
	s_and_b32 s13, s13, exec_lo
	s_or_saveexec_b32 s29, s29
	v_mov_b32_e32 v0, 0x7f800001
	s_xor_b32 exec_lo, exec_lo, s29
	s_cbranch_execnz .LBB6_11521
.LBB6_10586:                            ;   in Loop: Header=BB6_9580 Depth=2
	s_or_b32 exec_lo, exec_lo, s29
	s_and_saveexec_b32 s29, s13
	s_cbranch_execz .LBB6_10588
.LBB6_10587:                            ;   in Loop: Header=BB6_9580 Depth=2
	v_bfe_u32 v0, v11, 24, 3
	v_bfe_u32 v5, v11, 27, 4
	v_ffbh_u32_e32 v1, v0
	v_cmp_eq_u32_e32 vcc_lo, 0, v5
	v_min_u32_e32 v1, 32, v1
	v_subrev_nc_u32_e32 v4, 28, v1
	v_sub_nc_u32_e32 v1, 29, v1
	v_lshlrev_b32_sdwa v4, v4, v11 dst_sel:DWORD dst_unused:UNUSED_PAD src0_sel:DWORD src1_sel:BYTE_3
	v_cndmask_b32_e32 v1, v5, v1, vcc_lo
	v_and_b32_e32 v4, 7, v4
	v_lshl_add_u32 v1, v1, 23, 0x3b800000
	v_cndmask_b32_e32 v0, v0, v4, vcc_lo
	v_and_b32_e32 v4, 0x80000000, v11
	v_lshlrev_b32_e32 v0, 20, v0
	v_or3_b32 v0, v4, v1, v0
.LBB6_10588:                            ;   in Loop: Header=BB6_9580 Depth=2
	s_or_b32 exec_lo, exec_lo, s29
	v_mul_f32_e32 v0, s28, v0
	v_mov_b32_e32 v71, 0x8000
	s_mov_b32 s29, exec_lo
	v_and_b32_e32 v1, 0x7f800000, v0
	v_cmpx_ne_u32_e32 0x7f800000, v1
	s_cbranch_execz .LBB6_10596
; %bb.10589:                            ;   in Loop: Header=BB6_9580 Depth=2
	v_mov_b32_e32 v71, 0
	s_mov_b32 s40, exec_lo
	v_cmpx_ne_u32_e32 0, v0
	s_cbranch_execz .LBB6_10595
; %bb.10590:                            ;   in Loop: Header=BB6_9580 Depth=2
	v_bfe_u32 v4, v0, 23, 8
	v_and_b32_e32 v1, 0x7fffff, v0
	v_cmp_gt_u32_e64 s13, 0x79, v4
	v_sub_nc_u32_e32 v5, 0x78, v4
	v_cmp_eq_u32_e32 vcc_lo, 0, v4
	v_or_b32_e32 v6, 0x800000, v1
	v_cndmask_b32_e64 v5, 0, v5, s13
	v_cndmask_b32_e32 v1, v6, v1, vcc_lo
	v_cndmask_b32_e64 v5, v5, 0x77, vcc_lo
	v_lshl_add_u32 v6, 0x100000, v5, -1
	v_lshlrev_b32_e64 v7, v5, 0x80000
	v_and_b32_e32 v6, v6, v1
	v_cmp_eq_u32_e64 s13, v6, v7
	v_lshrrev_b32_e32 v6, v5, v1
	v_add_nc_u32_e32 v1, 0xffffff89, v4
	v_lshrrev_b32_e32 v4, 23, v6
	v_cndmask_b32_e64 v1, v1, 0xffffff8a, vcc_lo
	v_xor_b32_e32 v4, 1, v4
	v_add_nc_u32_e32 v1, v5, v1
	v_bfe_u32 v5, v6, 20, 1
	v_add_nc_u32_e32 v5, -1, v5
	v_cndmask_b32_e64 v5, 0, v5, s13
	s_mov_b32 s13, exec_lo
	v_add_nc_u32_e32 v5, v5, v6
	v_and_b32_e32 v5, 0xfffff, v5
	v_add_nc_u32_e32 v5, v5, v6
                                        ; implicit-def: $vgpr6
	v_cmpx_ne_u32_e64 v1, v4
	s_xor_b32 s13, exec_lo, s13
; %bb.10591:                            ;   in Loop: Header=BB6_9580 Depth=2
	v_cmp_lt_u32_e32 vcc_lo, 0xffffff, v5
	v_sub_nc_u32_e32 v1, v1, v4
	v_cndmask_b32_e64 v4, 0, 1, vcc_lo
	v_add_co_ci_u32_e64 v6, null, 0, v1, vcc_lo
	v_lshrrev_b32_e32 v5, v4, v5
; %bb.10592:                            ;   in Loop: Header=BB6_9580 Depth=2
	s_andn2_saveexec_b32 s13, s13
; %bb.10593:                            ;   in Loop: Header=BB6_9580 Depth=2
	v_bfe_u32 v6, v5, 23, 1
; %bb.10594:                            ;   in Loop: Header=BB6_9580 Depth=2
	s_or_b32 exec_lo, exec_lo, s13
	v_lshrrev_b32_e32 v1, 20, v5
	v_min_i32_e32 v4, 15, v6
	v_cmp_gt_i32_e32 vcc_lo, 16, v6
	v_and_b32_sdwa v0, v0, v81 dst_sel:DWORD dst_unused:UNUSED_PAD src0_sel:BYTE_3 src1_sel:DWORD
	v_lshlrev_b32_e32 v4, 3, v4
	v_cndmask_b32_e32 v1, 7, v1, vcc_lo
	v_and_b32_e32 v4, 0xf8, v4
	v_or_b32_e32 v5, v6, v1
	v_and_b32_e32 v1, 7, v1
	v_cmp_ne_u32_e32 vcc_lo, 0, v5
	v_or3_b32 v0, v0, v4, v1
	v_lshlrev_b32_e32 v0, 8, v0
	v_cndmask_b32_e32 v71, 0, v0, vcc_lo
.LBB6_10595:                            ;   in Loop: Header=BB6_9580 Depth=2
	s_or_b32 exec_lo, exec_lo, s40
.LBB6_10596:                            ;   in Loop: Header=BB6_9580 Depth=2
	s_or_b32 exec_lo, exec_lo, s29
	v_cmp_gt_i16_sdwa s13, v12, v80 src0_sel:BYTE_0 src1_sel:DWORD
	s_mov_b32 s29, 0
	s_and_saveexec_b32 s40, s13
	s_xor_b32 s13, exec_lo, s40
	s_cbranch_execz .LBB6_11522
; %bb.10597:                            ;   in Loop: Header=BB6_9580 Depth=2
	v_cmp_eq_u16_sdwa s41, v12, v81 src0_sel:BYTE_0 src1_sel:DWORD
	s_mov_b32 s29, -1
	s_and_saveexec_b32 s40, s41
; %bb.10598:                            ;   in Loop: Header=BB6_9580 Depth=2
	s_xor_b32 s29, exec_lo, -1
; %bb.10599:                            ;   in Loop: Header=BB6_9580 Depth=2
	s_or_b32 exec_lo, exec_lo, s40
	s_and_b32 s29, s29, exec_lo
	s_or_saveexec_b32 s13, s13
	v_mov_b32_e32 v0, 0x7f800001
	s_xor_b32 exec_lo, exec_lo, s13
	s_cbranch_execnz .LBB6_11523
.LBB6_10600:                            ;   in Loop: Header=BB6_9580 Depth=2
	s_or_b32 exec_lo, exec_lo, s13
	s_and_saveexec_b32 s13, s29
	s_cbranch_execz .LBB6_10602
.LBB6_10601:                            ;   in Loop: Header=BB6_9580 Depth=2
	v_and_b32_e32 v0, 7, v12
	v_bfe_u32 v1, v12, 3, 4
	v_ffbh_u32_e32 v4, v0
	v_cmp_eq_u32_e32 vcc_lo, 0, v1
	v_min_u32_e32 v4, 32, v4
	v_subrev_nc_u32_e32 v5, 28, v4
	v_sub_nc_u32_e32 v4, 29, v4
	v_lshlrev_b32_e32 v5, v5, v12
	v_cndmask_b32_e32 v1, v1, v4, vcc_lo
	v_lshlrev_b32_e32 v4, 24, v12
	v_and_b32_e32 v5, 7, v5
	v_lshl_add_u32 v1, v1, 23, 0x3b800000
	v_and_b32_e32 v4, 0x80000000, v4
	v_cndmask_b32_e32 v0, v0, v5, vcc_lo
	v_lshlrev_b32_e32 v0, 20, v0
	v_or3_b32 v0, v4, v1, v0
.LBB6_10602:                            ;   in Loop: Header=BB6_9580 Depth=2
	s_or_b32 exec_lo, exec_lo, s13
	v_mul_f32_e32 v0, s28, v0
	v_mov_b32_e32 v50, 0x80
	s_mov_b32 s29, exec_lo
	v_and_b32_e32 v1, 0x7f800000, v0
	v_cmpx_ne_u32_e32 0x7f800000, v1
	s_cbranch_execz .LBB6_10610
; %bb.10603:                            ;   in Loop: Header=BB6_9580 Depth=2
	v_mov_b32_e32 v50, 0
	s_mov_b32 s40, exec_lo
	v_cmpx_ne_u32_e32 0, v0
	s_cbranch_execz .LBB6_10609
; %bb.10604:                            ;   in Loop: Header=BB6_9580 Depth=2
	v_bfe_u32 v4, v0, 23, 8
	v_and_b32_e32 v1, 0x7fffff, v0
	v_cmp_gt_u32_e64 s13, 0x79, v4
	v_sub_nc_u32_e32 v5, 0x78, v4
	v_cmp_eq_u32_e32 vcc_lo, 0, v4
	v_or_b32_e32 v6, 0x800000, v1
	v_cndmask_b32_e64 v5, 0, v5, s13
	v_cndmask_b32_e32 v1, v6, v1, vcc_lo
	v_cndmask_b32_e64 v5, v5, 0x77, vcc_lo
	v_lshl_add_u32 v6, 0x100000, v5, -1
	v_lshlrev_b32_e64 v7, v5, 0x80000
	v_and_b32_e32 v6, v6, v1
	v_cmp_eq_u32_e64 s13, v6, v7
	v_lshrrev_b32_e32 v6, v5, v1
	v_add_nc_u32_e32 v1, 0xffffff89, v4
	v_lshrrev_b32_e32 v4, 23, v6
	v_cndmask_b32_e64 v1, v1, 0xffffff8a, vcc_lo
	v_xor_b32_e32 v4, 1, v4
	v_add_nc_u32_e32 v1, v5, v1
	v_bfe_u32 v5, v6, 20, 1
	v_add_nc_u32_e32 v5, -1, v5
	v_cndmask_b32_e64 v5, 0, v5, s13
	s_mov_b32 s13, exec_lo
	v_add_nc_u32_e32 v5, v5, v6
	v_and_b32_e32 v5, 0xfffff, v5
	v_add_nc_u32_e32 v5, v5, v6
                                        ; implicit-def: $vgpr6
	v_cmpx_ne_u32_e64 v1, v4
	s_xor_b32 s13, exec_lo, s13
; %bb.10605:                            ;   in Loop: Header=BB6_9580 Depth=2
	v_cmp_lt_u32_e32 vcc_lo, 0xffffff, v5
	v_sub_nc_u32_e32 v1, v1, v4
	v_cndmask_b32_e64 v4, 0, 1, vcc_lo
	v_add_co_ci_u32_e64 v6, null, 0, v1, vcc_lo
	v_lshrrev_b32_e32 v5, v4, v5
; %bb.10606:                            ;   in Loop: Header=BB6_9580 Depth=2
	s_andn2_saveexec_b32 s13, s13
; %bb.10607:                            ;   in Loop: Header=BB6_9580 Depth=2
	v_bfe_u32 v6, v5, 23, 1
; %bb.10608:                            ;   in Loop: Header=BB6_9580 Depth=2
	s_or_b32 exec_lo, exec_lo, s13
	v_lshrrev_b32_e32 v1, 20, v5
	v_min_i32_e32 v4, 15, v6
	v_cmp_gt_i32_e32 vcc_lo, 16, v6
	v_and_b32_sdwa v0, v0, v81 dst_sel:DWORD dst_unused:UNUSED_PAD src0_sel:BYTE_3 src1_sel:DWORD
	v_lshlrev_b32_e32 v4, 3, v4
	v_cndmask_b32_e32 v1, 7, v1, vcc_lo
	v_and_b32_e32 v4, 0xf8, v4
	v_or_b32_e32 v5, v6, v1
	v_and_b32_e32 v1, 7, v1
	v_cmp_ne_u32_e32 vcc_lo, 0, v5
	v_or3_b32 v0, v4, v0, v1
	v_cndmask_b32_e32 v50, 0, v0, vcc_lo
.LBB6_10609:                            ;   in Loop: Header=BB6_9580 Depth=2
	s_or_b32 exec_lo, exec_lo, s40
.LBB6_10610:                            ;   in Loop: Header=BB6_9580 Depth=2
	s_or_b32 exec_lo, exec_lo, s29
	v_cmp_gt_i16_sdwa s29, v12, v80 src0_sel:BYTE_1 src1_sel:DWORD
	s_mov_b32 s13, 0
	s_and_saveexec_b32 s40, s29
	s_xor_b32 s29, exec_lo, s40
	s_cbranch_execz .LBB6_11524
; %bb.10611:                            ;   in Loop: Header=BB6_9580 Depth=2
	v_cmp_eq_u16_sdwa s41, v12, v81 src0_sel:BYTE_1 src1_sel:DWORD
	s_mov_b32 s13, -1
	s_and_saveexec_b32 s40, s41
; %bb.10612:                            ;   in Loop: Header=BB6_9580 Depth=2
	s_xor_b32 s13, exec_lo, -1
; %bb.10613:                            ;   in Loop: Header=BB6_9580 Depth=2
	s_or_b32 exec_lo, exec_lo, s40
	s_and_b32 s13, s13, exec_lo
	s_or_saveexec_b32 s29, s29
	v_mov_b32_e32 v0, 0x7f800001
	s_xor_b32 exec_lo, exec_lo, s29
	s_cbranch_execnz .LBB6_11525
.LBB6_10614:                            ;   in Loop: Header=BB6_9580 Depth=2
	s_or_b32 exec_lo, exec_lo, s29
	s_and_saveexec_b32 s29, s13
	s_cbranch_execz .LBB6_10616
.LBB6_10615:                            ;   in Loop: Header=BB6_9580 Depth=2
	v_and_b32_sdwa v0, v82, v12 dst_sel:DWORD dst_unused:UNUSED_PAD src0_sel:DWORD src1_sel:BYTE_1
	v_and_b32_e32 v1, 7, v0
	v_bfe_u32 v6, v0, 3, 4
	v_ffbh_u32_e32 v4, v1
	v_cmp_eq_u32_e32 vcc_lo, 0, v6
	v_min_u32_e32 v4, 32, v4
	v_subrev_nc_u32_e32 v5, 28, v4
	v_sub_nc_u32_e32 v4, 29, v4
	v_lshlrev_b32_e32 v0, v5, v0
	v_lshlrev_b32_sdwa v5, v83, v12 dst_sel:DWORD dst_unused:UNUSED_PAD src0_sel:DWORD src1_sel:BYTE_1
	v_cndmask_b32_e32 v4, v6, v4, vcc_lo
	v_and_b32_e32 v0, 7, v0
	v_lshl_add_u32 v4, v4, 23, 0x3b800000
	v_cndmask_b32_e32 v0, v1, v0, vcc_lo
	v_and_b32_e32 v1, 0x80000000, v5
	v_lshlrev_b32_e32 v0, 20, v0
	v_or3_b32 v0, v1, v4, v0
.LBB6_10616:                            ;   in Loop: Header=BB6_9580 Depth=2
	s_or_b32 exec_lo, exec_lo, s29
	v_mul_f32_e32 v0, s28, v0
	v_mov_b32_e32 v51, 0x8000
	s_mov_b32 s29, exec_lo
	v_and_b32_e32 v1, 0x7f800000, v0
	v_cmpx_ne_u32_e32 0x7f800000, v1
	s_cbranch_execz .LBB6_10624
; %bb.10617:                            ;   in Loop: Header=BB6_9580 Depth=2
	v_mov_b32_e32 v51, 0
	s_mov_b32 s40, exec_lo
	v_cmpx_ne_u32_e32 0, v0
	s_cbranch_execz .LBB6_10623
; %bb.10618:                            ;   in Loop: Header=BB6_9580 Depth=2
	v_bfe_u32 v4, v0, 23, 8
	v_and_b32_e32 v1, 0x7fffff, v0
	v_cmp_gt_u32_e64 s13, 0x79, v4
	v_sub_nc_u32_e32 v5, 0x78, v4
	v_cmp_eq_u32_e32 vcc_lo, 0, v4
	v_or_b32_e32 v6, 0x800000, v1
	v_cndmask_b32_e64 v5, 0, v5, s13
	v_cndmask_b32_e32 v1, v6, v1, vcc_lo
	v_cndmask_b32_e64 v5, v5, 0x77, vcc_lo
	v_lshl_add_u32 v6, 0x100000, v5, -1
	v_lshlrev_b32_e64 v7, v5, 0x80000
	v_and_b32_e32 v6, v6, v1
	v_cmp_eq_u32_e64 s13, v6, v7
	v_lshrrev_b32_e32 v6, v5, v1
	v_add_nc_u32_e32 v1, 0xffffff89, v4
	v_lshrrev_b32_e32 v4, 23, v6
	v_cndmask_b32_e64 v1, v1, 0xffffff8a, vcc_lo
	v_xor_b32_e32 v4, 1, v4
	v_add_nc_u32_e32 v1, v5, v1
	v_bfe_u32 v5, v6, 20, 1
	v_add_nc_u32_e32 v5, -1, v5
	v_cndmask_b32_e64 v5, 0, v5, s13
	s_mov_b32 s13, exec_lo
	v_add_nc_u32_e32 v5, v5, v6
	v_and_b32_e32 v5, 0xfffff, v5
	v_add_nc_u32_e32 v5, v5, v6
                                        ; implicit-def: $vgpr6
	v_cmpx_ne_u32_e64 v1, v4
	s_xor_b32 s13, exec_lo, s13
; %bb.10619:                            ;   in Loop: Header=BB6_9580 Depth=2
	v_cmp_lt_u32_e32 vcc_lo, 0xffffff, v5
	v_sub_nc_u32_e32 v1, v1, v4
	v_cndmask_b32_e64 v4, 0, 1, vcc_lo
	v_add_co_ci_u32_e64 v6, null, 0, v1, vcc_lo
	v_lshrrev_b32_e32 v5, v4, v5
; %bb.10620:                            ;   in Loop: Header=BB6_9580 Depth=2
	s_andn2_saveexec_b32 s13, s13
; %bb.10621:                            ;   in Loop: Header=BB6_9580 Depth=2
	v_bfe_u32 v6, v5, 23, 1
; %bb.10622:                            ;   in Loop: Header=BB6_9580 Depth=2
	s_or_b32 exec_lo, exec_lo, s13
	v_lshrrev_b32_e32 v1, 20, v5
	v_min_i32_e32 v4, 15, v6
	v_cmp_gt_i32_e32 vcc_lo, 16, v6
	v_and_b32_sdwa v0, v0, v81 dst_sel:DWORD dst_unused:UNUSED_PAD src0_sel:BYTE_3 src1_sel:DWORD
	v_lshlrev_b32_e32 v4, 3, v4
	v_cndmask_b32_e32 v1, 7, v1, vcc_lo
	v_and_b32_e32 v4, 0xf8, v4
	v_or_b32_e32 v5, v6, v1
	v_and_b32_e32 v1, 7, v1
	v_cmp_ne_u32_e32 vcc_lo, 0, v5
	v_or3_b32 v0, v0, v4, v1
	v_lshlrev_b32_e32 v0, 8, v0
	v_cndmask_b32_e32 v51, 0, v0, vcc_lo
.LBB6_10623:                            ;   in Loop: Header=BB6_9580 Depth=2
	s_or_b32 exec_lo, exec_lo, s40
.LBB6_10624:                            ;   in Loop: Header=BB6_9580 Depth=2
	s_or_b32 exec_lo, exec_lo, s29
	v_and_b32_sdwa v1, v12, v86 dst_sel:DWORD dst_unused:UNUSED_PAD src0_sel:WORD_1 src1_sel:DWORD
	s_mov_b32 s29, 0
	s_mov_b32 s13, exec_lo
	v_cmpx_lt_i16_e32 0x7f, v1
	s_xor_b32 s13, exec_lo, s13
	s_cbranch_execz .LBB6_11526
; %bb.10625:                            ;   in Loop: Header=BB6_9580 Depth=2
	s_mov_b32 s29, -1
	s_mov_b32 s40, exec_lo
	v_cmpx_eq_u16_e32 0x80, v1
; %bb.10626:                            ;   in Loop: Header=BB6_9580 Depth=2
	s_xor_b32 s29, exec_lo, -1
; %bb.10627:                            ;   in Loop: Header=BB6_9580 Depth=2
	s_or_b32 exec_lo, exec_lo, s40
	s_and_b32 s29, s29, exec_lo
                                        ; implicit-def: $vgpr1
	s_or_saveexec_b32 s13, s13
	v_mov_b32_e32 v0, 0x7f800001
	s_xor_b32 exec_lo, exec_lo, s13
	s_cbranch_execnz .LBB6_11527
.LBB6_10628:                            ;   in Loop: Header=BB6_9580 Depth=2
	s_or_b32 exec_lo, exec_lo, s13
	s_and_saveexec_b32 s13, s29
	s_cbranch_execz .LBB6_10630
.LBB6_10629:                            ;   in Loop: Header=BB6_9580 Depth=2
	v_bfe_u32 v0, v12, 16, 3
	v_bfe_u32 v1, v12, 19, 4
	v_ffbh_u32_e32 v4, v0
	v_cmp_eq_u32_e32 vcc_lo, 0, v1
	v_min_u32_e32 v4, 32, v4
	v_subrev_nc_u32_e32 v5, 28, v4
	v_sub_nc_u32_e32 v4, 29, v4
	v_lshlrev_b32_sdwa v5, v5, v12 dst_sel:DWORD dst_unused:UNUSED_PAD src0_sel:DWORD src1_sel:WORD_1
	v_cndmask_b32_e32 v1, v1, v4, vcc_lo
	v_lshlrev_b32_e32 v4, 8, v12
	v_and_b32_e32 v5, 7, v5
	v_lshl_add_u32 v1, v1, 23, 0x3b800000
	v_and_b32_e32 v4, 0x80000000, v4
	v_cndmask_b32_e32 v0, v0, v5, vcc_lo
	v_lshlrev_b32_e32 v0, 20, v0
	v_or3_b32 v0, v4, v1, v0
.LBB6_10630:                            ;   in Loop: Header=BB6_9580 Depth=2
	s_or_b32 exec_lo, exec_lo, s13
	v_mul_f32_e32 v0, s28, v0
	v_mov_b32_e32 v26, 0x80
	s_mov_b32 s29, exec_lo
	v_and_b32_e32 v1, 0x7f800000, v0
	v_cmpx_ne_u32_e32 0x7f800000, v1
	s_cbranch_execz .LBB6_10638
; %bb.10631:                            ;   in Loop: Header=BB6_9580 Depth=2
	v_mov_b32_e32 v26, 0
	s_mov_b32 s40, exec_lo
	v_cmpx_ne_u32_e32 0, v0
	s_cbranch_execz .LBB6_10637
; %bb.10632:                            ;   in Loop: Header=BB6_9580 Depth=2
	v_bfe_u32 v4, v0, 23, 8
	v_and_b32_e32 v1, 0x7fffff, v0
	v_cmp_gt_u32_e64 s13, 0x79, v4
	v_sub_nc_u32_e32 v5, 0x78, v4
	v_cmp_eq_u32_e32 vcc_lo, 0, v4
	v_or_b32_e32 v6, 0x800000, v1
	v_cndmask_b32_e64 v5, 0, v5, s13
	v_cndmask_b32_e32 v1, v6, v1, vcc_lo
	v_cndmask_b32_e64 v5, v5, 0x77, vcc_lo
	v_lshl_add_u32 v6, 0x100000, v5, -1
	v_lshlrev_b32_e64 v7, v5, 0x80000
	v_and_b32_e32 v6, v6, v1
	v_cmp_eq_u32_e64 s13, v6, v7
	v_lshrrev_b32_e32 v6, v5, v1
	v_add_nc_u32_e32 v1, 0xffffff89, v4
	v_lshrrev_b32_e32 v4, 23, v6
	v_cndmask_b32_e64 v1, v1, 0xffffff8a, vcc_lo
	v_xor_b32_e32 v4, 1, v4
	v_add_nc_u32_e32 v1, v5, v1
	v_bfe_u32 v5, v6, 20, 1
	v_add_nc_u32_e32 v5, -1, v5
	v_cndmask_b32_e64 v5, 0, v5, s13
	s_mov_b32 s13, exec_lo
	v_add_nc_u32_e32 v5, v5, v6
	v_and_b32_e32 v5, 0xfffff, v5
	v_add_nc_u32_e32 v5, v5, v6
                                        ; implicit-def: $vgpr6
	v_cmpx_ne_u32_e64 v1, v4
	s_xor_b32 s13, exec_lo, s13
; %bb.10633:                            ;   in Loop: Header=BB6_9580 Depth=2
	v_cmp_lt_u32_e32 vcc_lo, 0xffffff, v5
	v_sub_nc_u32_e32 v1, v1, v4
	v_cndmask_b32_e64 v4, 0, 1, vcc_lo
	v_add_co_ci_u32_e64 v6, null, 0, v1, vcc_lo
	v_lshrrev_b32_e32 v5, v4, v5
; %bb.10634:                            ;   in Loop: Header=BB6_9580 Depth=2
	s_andn2_saveexec_b32 s13, s13
; %bb.10635:                            ;   in Loop: Header=BB6_9580 Depth=2
	v_bfe_u32 v6, v5, 23, 1
; %bb.10636:                            ;   in Loop: Header=BB6_9580 Depth=2
	s_or_b32 exec_lo, exec_lo, s13
	v_lshrrev_b32_e32 v1, 20, v5
	v_min_i32_e32 v4, 15, v6
	v_cmp_gt_i32_e32 vcc_lo, 16, v6
	v_and_b32_sdwa v0, v0, v81 dst_sel:DWORD dst_unused:UNUSED_PAD src0_sel:BYTE_3 src1_sel:DWORD
	v_lshlrev_b32_e32 v4, 3, v4
	v_cndmask_b32_e32 v1, 7, v1, vcc_lo
	v_and_b32_e32 v4, 0xf8, v4
	v_or_b32_e32 v5, v6, v1
	v_and_b32_e32 v1, 7, v1
	v_cmp_ne_u32_e32 vcc_lo, 0, v5
	v_or3_b32 v0, v4, v0, v1
	v_cndmask_b32_e32 v26, 0, v0, vcc_lo
.LBB6_10637:                            ;   in Loop: Header=BB6_9580 Depth=2
	s_or_b32 exec_lo, exec_lo, s40
.LBB6_10638:                            ;   in Loop: Header=BB6_9580 Depth=2
	s_or_b32 exec_lo, exec_lo, s29
	v_cmp_gt_i16_sdwa s29, v12, v80 src0_sel:BYTE_3 src1_sel:DWORD
	s_mov_b32 s13, 0
	s_and_saveexec_b32 s40, s29
	s_xor_b32 s29, exec_lo, s40
	s_cbranch_execz .LBB6_11528
; %bb.10639:                            ;   in Loop: Header=BB6_9580 Depth=2
	v_cmp_eq_u16_sdwa s41, v12, v81 src0_sel:BYTE_3 src1_sel:DWORD
	s_mov_b32 s13, -1
	s_and_saveexec_b32 s40, s41
; %bb.10640:                            ;   in Loop: Header=BB6_9580 Depth=2
	s_xor_b32 s13, exec_lo, -1
; %bb.10641:                            ;   in Loop: Header=BB6_9580 Depth=2
	s_or_b32 exec_lo, exec_lo, s40
	s_and_b32 s13, s13, exec_lo
	s_or_saveexec_b32 s29, s29
	v_mov_b32_e32 v0, 0x7f800001
	s_xor_b32 exec_lo, exec_lo, s29
	s_cbranch_execnz .LBB6_11529
.LBB6_10642:                            ;   in Loop: Header=BB6_9580 Depth=2
	s_or_b32 exec_lo, exec_lo, s29
	s_and_saveexec_b32 s29, s13
	s_cbranch_execz .LBB6_10644
.LBB6_10643:                            ;   in Loop: Header=BB6_9580 Depth=2
	v_bfe_u32 v0, v12, 24, 3
	v_bfe_u32 v5, v12, 27, 4
	v_ffbh_u32_e32 v1, v0
	v_cmp_eq_u32_e32 vcc_lo, 0, v5
	v_min_u32_e32 v1, 32, v1
	v_subrev_nc_u32_e32 v4, 28, v1
	v_sub_nc_u32_e32 v1, 29, v1
	v_lshlrev_b32_sdwa v4, v4, v12 dst_sel:DWORD dst_unused:UNUSED_PAD src0_sel:DWORD src1_sel:BYTE_3
	v_cndmask_b32_e32 v1, v5, v1, vcc_lo
	v_and_b32_e32 v4, 7, v4
	v_lshl_add_u32 v1, v1, 23, 0x3b800000
	v_cndmask_b32_e32 v0, v0, v4, vcc_lo
	v_and_b32_e32 v4, 0x80000000, v12
	v_lshlrev_b32_e32 v0, 20, v0
	v_or3_b32 v0, v4, v1, v0
.LBB6_10644:                            ;   in Loop: Header=BB6_9580 Depth=2
	s_or_b32 exec_lo, exec_lo, s29
	v_mul_f32_e32 v0, s28, v0
	v_mov_b32_e32 v27, 0x8000
	s_mov_b32 s29, exec_lo
	v_and_b32_e32 v1, 0x7f800000, v0
	v_cmpx_ne_u32_e32 0x7f800000, v1
	s_cbranch_execz .LBB6_10652
; %bb.10645:                            ;   in Loop: Header=BB6_9580 Depth=2
	v_mov_b32_e32 v27, 0
	s_mov_b32 s40, exec_lo
	v_cmpx_ne_u32_e32 0, v0
	s_cbranch_execz .LBB6_10651
; %bb.10646:                            ;   in Loop: Header=BB6_9580 Depth=2
	v_bfe_u32 v4, v0, 23, 8
	v_and_b32_e32 v1, 0x7fffff, v0
	v_cmp_gt_u32_e64 s13, 0x79, v4
	v_sub_nc_u32_e32 v5, 0x78, v4
	v_cmp_eq_u32_e32 vcc_lo, 0, v4
	v_or_b32_e32 v6, 0x800000, v1
	v_cndmask_b32_e64 v5, 0, v5, s13
	v_cndmask_b32_e32 v1, v6, v1, vcc_lo
	v_cndmask_b32_e64 v5, v5, 0x77, vcc_lo
	v_lshl_add_u32 v6, 0x100000, v5, -1
	v_lshlrev_b32_e64 v7, v5, 0x80000
	v_and_b32_e32 v6, v6, v1
	v_cmp_eq_u32_e64 s13, v6, v7
	v_lshrrev_b32_e32 v6, v5, v1
	v_add_nc_u32_e32 v1, 0xffffff89, v4
	v_lshrrev_b32_e32 v4, 23, v6
	v_cndmask_b32_e64 v1, v1, 0xffffff8a, vcc_lo
	v_xor_b32_e32 v4, 1, v4
	v_add_nc_u32_e32 v1, v5, v1
	v_bfe_u32 v5, v6, 20, 1
	v_add_nc_u32_e32 v5, -1, v5
	v_cndmask_b32_e64 v5, 0, v5, s13
	s_mov_b32 s13, exec_lo
	v_add_nc_u32_e32 v5, v5, v6
	v_and_b32_e32 v5, 0xfffff, v5
	v_add_nc_u32_e32 v5, v5, v6
                                        ; implicit-def: $vgpr6
	v_cmpx_ne_u32_e64 v1, v4
	s_xor_b32 s13, exec_lo, s13
; %bb.10647:                            ;   in Loop: Header=BB6_9580 Depth=2
	v_cmp_lt_u32_e32 vcc_lo, 0xffffff, v5
	v_sub_nc_u32_e32 v1, v1, v4
	v_cndmask_b32_e64 v4, 0, 1, vcc_lo
	v_add_co_ci_u32_e64 v6, null, 0, v1, vcc_lo
	v_lshrrev_b32_e32 v5, v4, v5
; %bb.10648:                            ;   in Loop: Header=BB6_9580 Depth=2
	s_andn2_saveexec_b32 s13, s13
; %bb.10649:                            ;   in Loop: Header=BB6_9580 Depth=2
	v_bfe_u32 v6, v5, 23, 1
; %bb.10650:                            ;   in Loop: Header=BB6_9580 Depth=2
	s_or_b32 exec_lo, exec_lo, s13
	v_lshrrev_b32_e32 v1, 20, v5
	v_min_i32_e32 v4, 15, v6
	v_cmp_gt_i32_e32 vcc_lo, 16, v6
	v_and_b32_sdwa v0, v0, v81 dst_sel:DWORD dst_unused:UNUSED_PAD src0_sel:BYTE_3 src1_sel:DWORD
	v_lshlrev_b32_e32 v4, 3, v4
	v_cndmask_b32_e32 v1, 7, v1, vcc_lo
	v_and_b32_e32 v4, 0xf8, v4
	v_or_b32_e32 v5, v6, v1
	v_and_b32_e32 v1, 7, v1
	v_cmp_ne_u32_e32 vcc_lo, 0, v5
	v_or3_b32 v0, v0, v4, v1
	v_lshlrev_b32_e32 v0, 8, v0
	v_cndmask_b32_e32 v27, 0, v0, vcc_lo
.LBB6_10651:                            ;   in Loop: Header=BB6_9580 Depth=2
	s_or_b32 exec_lo, exec_lo, s40
.LBB6_10652:                            ;   in Loop: Header=BB6_9580 Depth=2
	s_or_b32 exec_lo, exec_lo, s29
	v_cmp_gt_i16_sdwa s13, v13, v80 src0_sel:BYTE_0 src1_sel:DWORD
	s_mov_b32 s29, 0
	s_and_saveexec_b32 s40, s13
	s_xor_b32 s13, exec_lo, s40
	s_cbranch_execz .LBB6_11530
; %bb.10653:                            ;   in Loop: Header=BB6_9580 Depth=2
	v_cmp_eq_u16_sdwa s41, v13, v81 src0_sel:BYTE_0 src1_sel:DWORD
	s_mov_b32 s29, -1
	s_and_saveexec_b32 s40, s41
; %bb.10654:                            ;   in Loop: Header=BB6_9580 Depth=2
	s_xor_b32 s29, exec_lo, -1
; %bb.10655:                            ;   in Loop: Header=BB6_9580 Depth=2
	s_or_b32 exec_lo, exec_lo, s40
	s_and_b32 s29, s29, exec_lo
	s_or_saveexec_b32 s13, s13
	v_mov_b32_e32 v0, 0x7f800001
	s_xor_b32 exec_lo, exec_lo, s13
	s_cbranch_execnz .LBB6_11531
.LBB6_10656:                            ;   in Loop: Header=BB6_9580 Depth=2
	s_or_b32 exec_lo, exec_lo, s13
	s_and_saveexec_b32 s13, s29
	s_cbranch_execz .LBB6_10658
.LBB6_10657:                            ;   in Loop: Header=BB6_9580 Depth=2
	v_and_b32_e32 v0, 7, v13
	v_bfe_u32 v1, v13, 3, 4
	v_ffbh_u32_e32 v4, v0
	v_cmp_eq_u32_e32 vcc_lo, 0, v1
	v_min_u32_e32 v4, 32, v4
	v_subrev_nc_u32_e32 v5, 28, v4
	v_sub_nc_u32_e32 v4, 29, v4
	v_lshlrev_b32_e32 v5, v5, v13
	v_cndmask_b32_e32 v1, v1, v4, vcc_lo
	v_lshlrev_b32_e32 v4, 24, v13
	v_and_b32_e32 v5, 7, v5
	v_lshl_add_u32 v1, v1, 23, 0x3b800000
	v_and_b32_e32 v4, 0x80000000, v4
	v_cndmask_b32_e32 v0, v0, v5, vcc_lo
	v_lshlrev_b32_e32 v0, 20, v0
	v_or3_b32 v0, v4, v1, v0
.LBB6_10658:                            ;   in Loop: Header=BB6_9580 Depth=2
	s_or_b32 exec_lo, exec_lo, s13
	v_mul_f32_e32 v1, s28, v0
	v_and_b32_e32 v0, 0x7f800000, v1
	v_cmp_ne_u32_e32 vcc_lo, 0x7f800000, v0
	v_mov_b32_e32 v0, 0x80
	s_and_saveexec_b32 s29, vcc_lo
	s_cbranch_execz .LBB6_10666
; %bb.10659:                            ;   in Loop: Header=BB6_9580 Depth=2
	v_mov_b32_e32 v0, 0
	s_mov_b32 s40, exec_lo
	v_cmpx_ne_u32_e32 0, v1
	s_cbranch_execz .LBB6_10665
; %bb.10660:                            ;   in Loop: Header=BB6_9580 Depth=2
	v_bfe_u32 v4, v1, 23, 8
	v_and_b32_e32 v0, 0x7fffff, v1
	v_cmp_gt_u32_e64 s13, 0x79, v4
	v_sub_nc_u32_e32 v5, 0x78, v4
	v_cmp_eq_u32_e32 vcc_lo, 0, v4
	v_or_b32_e32 v6, 0x800000, v0
	v_cndmask_b32_e64 v5, 0, v5, s13
	v_cndmask_b32_e32 v0, v6, v0, vcc_lo
	v_cndmask_b32_e64 v5, v5, 0x77, vcc_lo
	v_lshl_add_u32 v6, 0x100000, v5, -1
	v_lshlrev_b32_e64 v7, v5, 0x80000
	v_and_b32_e32 v6, v6, v0
	v_cmp_eq_u32_e64 s13, v6, v7
	v_lshrrev_b32_e32 v6, v5, v0
	v_add_nc_u32_e32 v0, 0xffffff89, v4
	v_lshrrev_b32_e32 v4, 23, v6
	v_cndmask_b32_e64 v0, v0, 0xffffff8a, vcc_lo
	v_xor_b32_e32 v4, 1, v4
	v_add_nc_u32_e32 v0, v5, v0
	v_bfe_u32 v5, v6, 20, 1
	v_add_nc_u32_e32 v5, -1, v5
	v_cndmask_b32_e64 v5, 0, v5, s13
	s_mov_b32 s13, exec_lo
	v_add_nc_u32_e32 v5, v5, v6
	v_and_b32_e32 v5, 0xfffff, v5
	v_add_nc_u32_e32 v5, v5, v6
                                        ; implicit-def: $vgpr6
	v_cmpx_ne_u32_e64 v0, v4
	s_xor_b32 s13, exec_lo, s13
; %bb.10661:                            ;   in Loop: Header=BB6_9580 Depth=2
	v_cmp_lt_u32_e32 vcc_lo, 0xffffff, v5
	v_sub_nc_u32_e32 v0, v0, v4
	v_cndmask_b32_e64 v4, 0, 1, vcc_lo
	v_add_co_ci_u32_e64 v6, null, 0, v0, vcc_lo
	v_lshrrev_b32_e32 v5, v4, v5
; %bb.10662:                            ;   in Loop: Header=BB6_9580 Depth=2
	s_andn2_saveexec_b32 s13, s13
; %bb.10663:                            ;   in Loop: Header=BB6_9580 Depth=2
	v_bfe_u32 v6, v5, 23, 1
; %bb.10664:                            ;   in Loop: Header=BB6_9580 Depth=2
	s_or_b32 exec_lo, exec_lo, s13
	v_and_b32_sdwa v0, v1, v81 dst_sel:DWORD dst_unused:UNUSED_PAD src0_sel:BYTE_3 src1_sel:DWORD
	v_lshrrev_b32_e32 v1, 20, v5
	v_min_i32_e32 v4, 15, v6
	v_cmp_gt_i32_e32 vcc_lo, 16, v6
	v_lshlrev_b32_e32 v4, 3, v4
	v_cndmask_b32_e32 v1, 7, v1, vcc_lo
	v_and_b32_e32 v4, 0xf8, v4
	v_or_b32_e32 v5, v6, v1
	v_and_b32_e32 v1, 7, v1
	v_cmp_ne_u32_e32 vcc_lo, 0, v5
	v_or3_b32 v0, v4, v0, v1
	v_cndmask_b32_e32 v0, 0, v0, vcc_lo
.LBB6_10665:                            ;   in Loop: Header=BB6_9580 Depth=2
	s_or_b32 exec_lo, exec_lo, s40
.LBB6_10666:                            ;   in Loop: Header=BB6_9580 Depth=2
	s_or_b32 exec_lo, exec_lo, s29
	v_cmp_gt_i16_sdwa s29, v13, v80 src0_sel:BYTE_1 src1_sel:DWORD
	s_mov_b32 s13, 0
	s_and_saveexec_b32 s40, s29
	s_xor_b32 s29, exec_lo, s40
	s_cbranch_execz .LBB6_11532
; %bb.10667:                            ;   in Loop: Header=BB6_9580 Depth=2
	v_cmp_eq_u16_sdwa s41, v13, v81 src0_sel:BYTE_1 src1_sel:DWORD
	s_mov_b32 s13, -1
	s_and_saveexec_b32 s40, s41
; %bb.10668:                            ;   in Loop: Header=BB6_9580 Depth=2
	s_xor_b32 s13, exec_lo, -1
; %bb.10669:                            ;   in Loop: Header=BB6_9580 Depth=2
	s_or_b32 exec_lo, exec_lo, s40
	s_and_b32 s13, s13, exec_lo
	s_or_saveexec_b32 s29, s29
	v_mov_b32_e32 v1, 0x7f800001
	s_xor_b32 exec_lo, exec_lo, s29
	s_cbranch_execnz .LBB6_11533
.LBB6_10670:                            ;   in Loop: Header=BB6_9580 Depth=2
	s_or_b32 exec_lo, exec_lo, s29
	s_and_saveexec_b32 s29, s13
	s_cbranch_execz .LBB6_10672
.LBB6_10671:                            ;   in Loop: Header=BB6_9580 Depth=2
	v_and_b32_sdwa v1, v82, v13 dst_sel:DWORD dst_unused:UNUSED_PAD src0_sel:DWORD src1_sel:BYTE_1
	v_and_b32_e32 v4, 7, v1
	v_bfe_u32 v7, v1, 3, 4
	v_ffbh_u32_e32 v5, v4
	v_cmp_eq_u32_e32 vcc_lo, 0, v7
	v_min_u32_e32 v5, 32, v5
	v_subrev_nc_u32_e32 v6, 28, v5
	v_sub_nc_u32_e32 v5, 29, v5
	v_lshlrev_b32_e32 v1, v6, v1
	v_lshlrev_b32_sdwa v6, v83, v13 dst_sel:DWORD dst_unused:UNUSED_PAD src0_sel:DWORD src1_sel:BYTE_1
	v_cndmask_b32_e32 v5, v7, v5, vcc_lo
	v_and_b32_e32 v1, 7, v1
	v_lshl_add_u32 v5, v5, 23, 0x3b800000
	v_cndmask_b32_e32 v1, v4, v1, vcc_lo
	v_and_b32_e32 v4, 0x80000000, v6
	v_lshlrev_b32_e32 v1, 20, v1
	v_or3_b32 v1, v4, v5, v1
.LBB6_10672:                            ;   in Loop: Header=BB6_9580 Depth=2
	s_or_b32 exec_lo, exec_lo, s29
	v_mul_f32_e32 v4, s28, v1
	v_and_b32_e32 v1, 0x7f800000, v4
	v_cmp_ne_u32_e32 vcc_lo, 0x7f800000, v1
	v_mov_b32_e32 v1, 0x8000
	s_and_saveexec_b32 s29, vcc_lo
	s_cbranch_execz .LBB6_10680
; %bb.10673:                            ;   in Loop: Header=BB6_9580 Depth=2
	v_mov_b32_e32 v1, 0
	s_mov_b32 s40, exec_lo
	v_cmpx_ne_u32_e32 0, v4
	s_cbranch_execz .LBB6_10679
; %bb.10674:                            ;   in Loop: Header=BB6_9580 Depth=2
	v_bfe_u32 v5, v4, 23, 8
	v_and_b32_e32 v1, 0x7fffff, v4
	v_cmp_gt_u32_e64 s13, 0x79, v5
	v_sub_nc_u32_e32 v6, 0x78, v5
	v_cmp_eq_u32_e32 vcc_lo, 0, v5
	v_or_b32_e32 v7, 0x800000, v1
	v_cndmask_b32_e64 v6, 0, v6, s13
	v_cndmask_b32_e32 v1, v7, v1, vcc_lo
	v_cndmask_b32_e64 v6, v6, 0x77, vcc_lo
	v_lshl_add_u32 v7, 0x100000, v6, -1
	v_lshlrev_b32_e64 v8, v6, 0x80000
	v_and_b32_e32 v7, v7, v1
	v_cmp_eq_u32_e64 s13, v7, v8
	v_lshrrev_b32_e32 v7, v6, v1
	v_add_nc_u32_e32 v1, 0xffffff89, v5
	v_lshrrev_b32_e32 v5, 23, v7
	v_cndmask_b32_e64 v1, v1, 0xffffff8a, vcc_lo
	v_xor_b32_e32 v5, 1, v5
	v_add_nc_u32_e32 v1, v6, v1
	v_bfe_u32 v6, v7, 20, 1
	v_add_nc_u32_e32 v6, -1, v6
	v_cndmask_b32_e64 v6, 0, v6, s13
	s_mov_b32 s13, exec_lo
	v_add_nc_u32_e32 v6, v6, v7
	v_and_b32_e32 v6, 0xfffff, v6
	v_add_nc_u32_e32 v6, v6, v7
                                        ; implicit-def: $vgpr7
	v_cmpx_ne_u32_e64 v1, v5
	s_xor_b32 s13, exec_lo, s13
; %bb.10675:                            ;   in Loop: Header=BB6_9580 Depth=2
	v_cmp_lt_u32_e32 vcc_lo, 0xffffff, v6
	v_sub_nc_u32_e32 v1, v1, v5
	v_cndmask_b32_e64 v5, 0, 1, vcc_lo
	v_add_co_ci_u32_e64 v7, null, 0, v1, vcc_lo
	v_lshrrev_b32_e32 v6, v5, v6
; %bb.10676:                            ;   in Loop: Header=BB6_9580 Depth=2
	s_andn2_saveexec_b32 s13, s13
; %bb.10677:                            ;   in Loop: Header=BB6_9580 Depth=2
	v_bfe_u32 v7, v6, 23, 1
; %bb.10678:                            ;   in Loop: Header=BB6_9580 Depth=2
	s_or_b32 exec_lo, exec_lo, s13
	v_and_b32_sdwa v1, v4, v81 dst_sel:DWORD dst_unused:UNUSED_PAD src0_sel:BYTE_3 src1_sel:DWORD
	v_lshrrev_b32_e32 v4, 20, v6
	v_min_i32_e32 v5, 15, v7
	v_cmp_gt_i32_e32 vcc_lo, 16, v7
	v_lshlrev_b32_e32 v5, 3, v5
	v_cndmask_b32_e32 v4, 7, v4, vcc_lo
	v_and_b32_e32 v5, 0xf8, v5
	v_or_b32_e32 v6, v7, v4
	v_and_b32_e32 v4, 7, v4
	v_cmp_ne_u32_e32 vcc_lo, 0, v6
	v_or3_b32 v1, v1, v5, v4
	v_lshlrev_b32_e32 v1, 8, v1
	v_cndmask_b32_e32 v1, 0, v1, vcc_lo
.LBB6_10679:                            ;   in Loop: Header=BB6_9580 Depth=2
	s_or_b32 exec_lo, exec_lo, s40
.LBB6_10680:                            ;   in Loop: Header=BB6_9580 Depth=2
	s_or_b32 exec_lo, exec_lo, s29
	v_and_b32_sdwa v5, v13, v86 dst_sel:DWORD dst_unused:UNUSED_PAD src0_sel:WORD_1 src1_sel:DWORD
	s_mov_b32 s29, 0
	s_mov_b32 s13, exec_lo
	v_cmpx_lt_i16_e32 0x7f, v5
	s_xor_b32 s13, exec_lo, s13
	s_cbranch_execz .LBB6_11534
; %bb.10681:                            ;   in Loop: Header=BB6_9580 Depth=2
	s_mov_b32 s29, -1
	s_mov_b32 s40, exec_lo
	v_cmpx_eq_u16_e32 0x80, v5
; %bb.10682:                            ;   in Loop: Header=BB6_9580 Depth=2
	s_xor_b32 s29, exec_lo, -1
; %bb.10683:                            ;   in Loop: Header=BB6_9580 Depth=2
	s_or_b32 exec_lo, exec_lo, s40
	s_and_b32 s29, s29, exec_lo
                                        ; implicit-def: $vgpr5
	s_or_saveexec_b32 s13, s13
	v_mov_b32_e32 v4, 0x7f800001
	s_xor_b32 exec_lo, exec_lo, s13
	s_cbranch_execnz .LBB6_11535
.LBB6_10684:                            ;   in Loop: Header=BB6_9580 Depth=2
	s_or_b32 exec_lo, exec_lo, s13
	s_and_saveexec_b32 s13, s29
	s_cbranch_execz .LBB6_10686
.LBB6_10685:                            ;   in Loop: Header=BB6_9580 Depth=2
	v_bfe_u32 v4, v13, 16, 3
	v_bfe_u32 v5, v13, 19, 4
	v_ffbh_u32_e32 v6, v4
	v_cmp_eq_u32_e32 vcc_lo, 0, v5
	v_min_u32_e32 v6, 32, v6
	v_subrev_nc_u32_e32 v7, 28, v6
	v_sub_nc_u32_e32 v6, 29, v6
	v_lshlrev_b32_sdwa v7, v7, v13 dst_sel:DWORD dst_unused:UNUSED_PAD src0_sel:DWORD src1_sel:WORD_1
	v_cndmask_b32_e32 v5, v5, v6, vcc_lo
	v_lshlrev_b32_e32 v6, 8, v13
	v_and_b32_e32 v7, 7, v7
	v_lshl_add_u32 v5, v5, 23, 0x3b800000
	v_and_b32_e32 v6, 0x80000000, v6
	v_cndmask_b32_e32 v4, v4, v7, vcc_lo
	v_lshlrev_b32_e32 v4, 20, v4
	v_or3_b32 v4, v6, v5, v4
.LBB6_10686:                            ;   in Loop: Header=BB6_9580 Depth=2
	s_or_b32 exec_lo, exec_lo, s13
	v_mul_f32_e32 v4, s28, v4
	v_mov_b32_e32 v34, 0x80
	s_mov_b32 s29, exec_lo
	v_and_b32_e32 v5, 0x7f800000, v4
	v_cmpx_ne_u32_e32 0x7f800000, v5
	s_cbranch_execz .LBB6_10694
; %bb.10687:                            ;   in Loop: Header=BB6_9580 Depth=2
	v_mov_b32_e32 v34, 0
	s_mov_b32 s40, exec_lo
	v_cmpx_ne_u32_e32 0, v4
	s_cbranch_execz .LBB6_10693
; %bb.10688:                            ;   in Loop: Header=BB6_9580 Depth=2
	v_bfe_u32 v6, v4, 23, 8
	v_and_b32_e32 v5, 0x7fffff, v4
	v_cmp_gt_u32_e64 s13, 0x79, v6
	v_sub_nc_u32_e32 v7, 0x78, v6
	v_cmp_eq_u32_e32 vcc_lo, 0, v6
	v_or_b32_e32 v8, 0x800000, v5
	v_cndmask_b32_e64 v7, 0, v7, s13
	v_cndmask_b32_e32 v5, v8, v5, vcc_lo
	v_cndmask_b32_e64 v7, v7, 0x77, vcc_lo
	v_lshl_add_u32 v8, 0x100000, v7, -1
	v_lshlrev_b32_e64 v9, v7, 0x80000
	v_and_b32_e32 v8, v8, v5
	v_cmp_eq_u32_e64 s13, v8, v9
	v_lshrrev_b32_e32 v8, v7, v5
	v_add_nc_u32_e32 v5, 0xffffff89, v6
	v_lshrrev_b32_e32 v6, 23, v8
	v_cndmask_b32_e64 v5, v5, 0xffffff8a, vcc_lo
	v_xor_b32_e32 v6, 1, v6
	v_add_nc_u32_e32 v5, v7, v5
	v_bfe_u32 v7, v8, 20, 1
	v_add_nc_u32_e32 v7, -1, v7
	v_cndmask_b32_e64 v7, 0, v7, s13
	s_mov_b32 s13, exec_lo
	v_add_nc_u32_e32 v7, v7, v8
	v_and_b32_e32 v7, 0xfffff, v7
	v_add_nc_u32_e32 v7, v7, v8
                                        ; implicit-def: $vgpr8
	v_cmpx_ne_u32_e64 v5, v6
	s_xor_b32 s13, exec_lo, s13
; %bb.10689:                            ;   in Loop: Header=BB6_9580 Depth=2
	v_cmp_lt_u32_e32 vcc_lo, 0xffffff, v7
	v_sub_nc_u32_e32 v5, v5, v6
	v_cndmask_b32_e64 v6, 0, 1, vcc_lo
	v_add_co_ci_u32_e64 v8, null, 0, v5, vcc_lo
	v_lshrrev_b32_e32 v7, v6, v7
; %bb.10690:                            ;   in Loop: Header=BB6_9580 Depth=2
	s_andn2_saveexec_b32 s13, s13
; %bb.10691:                            ;   in Loop: Header=BB6_9580 Depth=2
	v_bfe_u32 v8, v7, 23, 1
; %bb.10692:                            ;   in Loop: Header=BB6_9580 Depth=2
	s_or_b32 exec_lo, exec_lo, s13
	v_lshrrev_b32_e32 v5, 20, v7
	v_min_i32_e32 v6, 15, v8
	v_cmp_gt_i32_e32 vcc_lo, 16, v8
	v_and_b32_sdwa v4, v4, v81 dst_sel:DWORD dst_unused:UNUSED_PAD src0_sel:BYTE_3 src1_sel:DWORD
	v_lshlrev_b32_e32 v6, 3, v6
	v_cndmask_b32_e32 v5, 7, v5, vcc_lo
	v_and_b32_e32 v6, 0xf8, v6
	v_or_b32_e32 v7, v8, v5
	v_and_b32_e32 v5, 7, v5
	v_cmp_ne_u32_e32 vcc_lo, 0, v7
	v_or3_b32 v4, v6, v4, v5
	v_cndmask_b32_e32 v34, 0, v4, vcc_lo
.LBB6_10693:                            ;   in Loop: Header=BB6_9580 Depth=2
	s_or_b32 exec_lo, exec_lo, s40
.LBB6_10694:                            ;   in Loop: Header=BB6_9580 Depth=2
	s_or_b32 exec_lo, exec_lo, s29
	v_cmp_gt_i16_sdwa s29, v13, v80 src0_sel:BYTE_3 src1_sel:DWORD
	s_mov_b32 s13, 0
	s_and_saveexec_b32 s40, s29
	s_xor_b32 s29, exec_lo, s40
	s_cbranch_execz .LBB6_11536
; %bb.10695:                            ;   in Loop: Header=BB6_9580 Depth=2
	v_cmp_eq_u16_sdwa s41, v13, v81 src0_sel:BYTE_3 src1_sel:DWORD
	s_mov_b32 s13, -1
	s_and_saveexec_b32 s40, s41
; %bb.10696:                            ;   in Loop: Header=BB6_9580 Depth=2
	s_xor_b32 s13, exec_lo, -1
; %bb.10697:                            ;   in Loop: Header=BB6_9580 Depth=2
	s_or_b32 exec_lo, exec_lo, s40
	s_and_b32 s13, s13, exec_lo
	s_or_saveexec_b32 s29, s29
	v_mov_b32_e32 v4, 0x7f800001
	s_xor_b32 exec_lo, exec_lo, s29
	s_cbranch_execnz .LBB6_11537
.LBB6_10698:                            ;   in Loop: Header=BB6_9580 Depth=2
	s_or_b32 exec_lo, exec_lo, s29
	s_and_saveexec_b32 s29, s13
	s_cbranch_execz .LBB6_10700
.LBB6_10699:                            ;   in Loop: Header=BB6_9580 Depth=2
	v_bfe_u32 v4, v13, 24, 3
	v_bfe_u32 v7, v13, 27, 4
	v_ffbh_u32_e32 v5, v4
	v_cmp_eq_u32_e32 vcc_lo, 0, v7
	v_min_u32_e32 v5, 32, v5
	v_subrev_nc_u32_e32 v6, 28, v5
	v_sub_nc_u32_e32 v5, 29, v5
	v_lshlrev_b32_sdwa v6, v6, v13 dst_sel:DWORD dst_unused:UNUSED_PAD src0_sel:DWORD src1_sel:BYTE_3
	v_cndmask_b32_e32 v5, v7, v5, vcc_lo
	v_and_b32_e32 v6, 7, v6
	v_lshl_add_u32 v5, v5, 23, 0x3b800000
	v_cndmask_b32_e32 v4, v4, v6, vcc_lo
	v_and_b32_e32 v6, 0x80000000, v13
	v_lshlrev_b32_e32 v4, 20, v4
	v_or3_b32 v4, v6, v5, v4
.LBB6_10700:                            ;   in Loop: Header=BB6_9580 Depth=2
	s_or_b32 exec_lo, exec_lo, s29
	v_mul_f32_e32 v4, s28, v4
	v_mov_b32_e32 v35, 0x8000
	s_mov_b32 s29, exec_lo
	v_and_b32_e32 v5, 0x7f800000, v4
	v_cmpx_ne_u32_e32 0x7f800000, v5
	s_cbranch_execz .LBB6_10708
; %bb.10701:                            ;   in Loop: Header=BB6_9580 Depth=2
	v_mov_b32_e32 v35, 0
	s_mov_b32 s40, exec_lo
	v_cmpx_ne_u32_e32 0, v4
	s_cbranch_execz .LBB6_10707
; %bb.10702:                            ;   in Loop: Header=BB6_9580 Depth=2
	v_bfe_u32 v6, v4, 23, 8
	v_and_b32_e32 v5, 0x7fffff, v4
	v_cmp_gt_u32_e64 s13, 0x79, v6
	v_sub_nc_u32_e32 v7, 0x78, v6
	v_cmp_eq_u32_e32 vcc_lo, 0, v6
	v_or_b32_e32 v8, 0x800000, v5
	v_cndmask_b32_e64 v7, 0, v7, s13
	v_cndmask_b32_e32 v5, v8, v5, vcc_lo
	v_cndmask_b32_e64 v7, v7, 0x77, vcc_lo
	v_lshl_add_u32 v8, 0x100000, v7, -1
	v_lshlrev_b32_e64 v9, v7, 0x80000
	v_and_b32_e32 v8, v8, v5
	v_cmp_eq_u32_e64 s13, v8, v9
	v_lshrrev_b32_e32 v8, v7, v5
	v_add_nc_u32_e32 v5, 0xffffff89, v6
	v_lshrrev_b32_e32 v6, 23, v8
	v_cndmask_b32_e64 v5, v5, 0xffffff8a, vcc_lo
	v_xor_b32_e32 v6, 1, v6
	v_add_nc_u32_e32 v5, v7, v5
	v_bfe_u32 v7, v8, 20, 1
	v_add_nc_u32_e32 v7, -1, v7
	v_cndmask_b32_e64 v7, 0, v7, s13
	s_mov_b32 s13, exec_lo
	v_add_nc_u32_e32 v7, v7, v8
	v_and_b32_e32 v7, 0xfffff, v7
	v_add_nc_u32_e32 v7, v7, v8
                                        ; implicit-def: $vgpr8
	v_cmpx_ne_u32_e64 v5, v6
	s_xor_b32 s13, exec_lo, s13
; %bb.10703:                            ;   in Loop: Header=BB6_9580 Depth=2
	v_cmp_lt_u32_e32 vcc_lo, 0xffffff, v7
	v_sub_nc_u32_e32 v5, v5, v6
	v_cndmask_b32_e64 v6, 0, 1, vcc_lo
	v_add_co_ci_u32_e64 v8, null, 0, v5, vcc_lo
	v_lshrrev_b32_e32 v7, v6, v7
; %bb.10704:                            ;   in Loop: Header=BB6_9580 Depth=2
	s_andn2_saveexec_b32 s13, s13
; %bb.10705:                            ;   in Loop: Header=BB6_9580 Depth=2
	v_bfe_u32 v8, v7, 23, 1
; %bb.10706:                            ;   in Loop: Header=BB6_9580 Depth=2
	s_or_b32 exec_lo, exec_lo, s13
	v_lshrrev_b32_e32 v5, 20, v7
	v_min_i32_e32 v6, 15, v8
	v_cmp_gt_i32_e32 vcc_lo, 16, v8
	v_and_b32_sdwa v4, v4, v81 dst_sel:DWORD dst_unused:UNUSED_PAD src0_sel:BYTE_3 src1_sel:DWORD
	v_lshlrev_b32_e32 v6, 3, v6
	v_cndmask_b32_e32 v5, 7, v5, vcc_lo
	v_and_b32_e32 v6, 0xf8, v6
	v_or_b32_e32 v7, v8, v5
	v_and_b32_e32 v5, 7, v5
	v_cmp_ne_u32_e32 vcc_lo, 0, v7
	v_or3_b32 v4, v4, v6, v5
	v_lshlrev_b32_e32 v4, 8, v4
	v_cndmask_b32_e32 v35, 0, v4, vcc_lo
.LBB6_10707:                            ;   in Loop: Header=BB6_9580 Depth=2
	s_or_b32 exec_lo, exec_lo, s40
.LBB6_10708:                            ;   in Loop: Header=BB6_9580 Depth=2
	s_or_b32 exec_lo, exec_lo, s29
	global_load_dwordx4 v[10:13], v[54:55], off offset:512 slc
	s_mov_b32 s29, 0
	s_waitcnt vmcnt(0)
	v_cmp_gt_i16_sdwa s13, v10, v80 src0_sel:BYTE_0 src1_sel:DWORD
	s_and_saveexec_b32 s40, s13
	s_xor_b32 s13, exec_lo, s40
	s_cbranch_execz .LBB6_11538
; %bb.10709:                            ;   in Loop: Header=BB6_9580 Depth=2
	v_cmp_eq_u16_sdwa s41, v10, v81 src0_sel:BYTE_0 src1_sel:DWORD
	s_mov_b32 s29, -1
	s_and_saveexec_b32 s40, s41
; %bb.10710:                            ;   in Loop: Header=BB6_9580 Depth=2
	s_xor_b32 s29, exec_lo, -1
; %bb.10711:                            ;   in Loop: Header=BB6_9580 Depth=2
	s_or_b32 exec_lo, exec_lo, s40
	s_and_b32 s29, s29, exec_lo
	s_or_saveexec_b32 s13, s13
	v_mov_b32_e32 v4, 0x7f800001
	s_xor_b32 exec_lo, exec_lo, s13
	s_cbranch_execnz .LBB6_11539
.LBB6_10712:                            ;   in Loop: Header=BB6_9580 Depth=2
	s_or_b32 exec_lo, exec_lo, s13
	s_and_saveexec_b32 s13, s29
	s_cbranch_execz .LBB6_10714
.LBB6_10713:                            ;   in Loop: Header=BB6_9580 Depth=2
	v_and_b32_e32 v4, 7, v10
	v_bfe_u32 v5, v10, 3, 4
	v_ffbh_u32_e32 v6, v4
	v_cmp_eq_u32_e32 vcc_lo, 0, v5
	v_min_u32_e32 v6, 32, v6
	v_subrev_nc_u32_e32 v7, 28, v6
	v_sub_nc_u32_e32 v6, 29, v6
	v_lshlrev_b32_e32 v7, v7, v10
	v_cndmask_b32_e32 v5, v5, v6, vcc_lo
	v_lshlrev_b32_e32 v6, 24, v10
	v_and_b32_e32 v7, 7, v7
	v_lshl_add_u32 v5, v5, 23, 0x3b800000
	v_and_b32_e32 v6, 0x80000000, v6
	v_cndmask_b32_e32 v4, v4, v7, vcc_lo
	v_lshlrev_b32_e32 v4, 20, v4
	v_or3_b32 v4, v6, v5, v4
.LBB6_10714:                            ;   in Loop: Header=BB6_9580 Depth=2
	s_or_b32 exec_lo, exec_lo, s13
	v_mul_f32_e32 v4, s28, v4
	v_mov_b32_e32 v67, 0x80
	s_mov_b32 s29, exec_lo
	v_and_b32_e32 v5, 0x7f800000, v4
	v_cmpx_ne_u32_e32 0x7f800000, v5
	s_cbranch_execz .LBB6_10722
; %bb.10715:                            ;   in Loop: Header=BB6_9580 Depth=2
	v_mov_b32_e32 v67, 0
	s_mov_b32 s40, exec_lo
	v_cmpx_ne_u32_e32 0, v4
	s_cbranch_execz .LBB6_10721
; %bb.10716:                            ;   in Loop: Header=BB6_9580 Depth=2
	v_bfe_u32 v6, v4, 23, 8
	v_and_b32_e32 v5, 0x7fffff, v4
	v_cmp_gt_u32_e64 s13, 0x79, v6
	v_sub_nc_u32_e32 v7, 0x78, v6
	v_cmp_eq_u32_e32 vcc_lo, 0, v6
	v_or_b32_e32 v8, 0x800000, v5
	v_cndmask_b32_e64 v7, 0, v7, s13
	v_cndmask_b32_e32 v5, v8, v5, vcc_lo
	v_cndmask_b32_e64 v7, v7, 0x77, vcc_lo
	v_lshl_add_u32 v8, 0x100000, v7, -1
	v_lshlrev_b32_e64 v9, v7, 0x80000
	v_and_b32_e32 v8, v8, v5
	v_cmp_eq_u32_e64 s13, v8, v9
	v_lshrrev_b32_e32 v8, v7, v5
	v_add_nc_u32_e32 v5, 0xffffff89, v6
	v_lshrrev_b32_e32 v6, 23, v8
	v_cndmask_b32_e64 v5, v5, 0xffffff8a, vcc_lo
	v_xor_b32_e32 v6, 1, v6
	v_add_nc_u32_e32 v5, v7, v5
	v_bfe_u32 v7, v8, 20, 1
	v_add_nc_u32_e32 v7, -1, v7
	v_cndmask_b32_e64 v7, 0, v7, s13
	s_mov_b32 s13, exec_lo
	v_add_nc_u32_e32 v7, v7, v8
	v_and_b32_e32 v7, 0xfffff, v7
	v_add_nc_u32_e32 v7, v7, v8
                                        ; implicit-def: $vgpr8
	v_cmpx_ne_u32_e64 v5, v6
	s_xor_b32 s13, exec_lo, s13
; %bb.10717:                            ;   in Loop: Header=BB6_9580 Depth=2
	v_cmp_lt_u32_e32 vcc_lo, 0xffffff, v7
	v_sub_nc_u32_e32 v5, v5, v6
	v_cndmask_b32_e64 v6, 0, 1, vcc_lo
	v_add_co_ci_u32_e64 v8, null, 0, v5, vcc_lo
	v_lshrrev_b32_e32 v7, v6, v7
; %bb.10718:                            ;   in Loop: Header=BB6_9580 Depth=2
	s_andn2_saveexec_b32 s13, s13
; %bb.10719:                            ;   in Loop: Header=BB6_9580 Depth=2
	v_bfe_u32 v8, v7, 23, 1
; %bb.10720:                            ;   in Loop: Header=BB6_9580 Depth=2
	s_or_b32 exec_lo, exec_lo, s13
	v_lshrrev_b32_e32 v5, 20, v7
	v_min_i32_e32 v6, 15, v8
	v_cmp_gt_i32_e32 vcc_lo, 16, v8
	v_and_b32_sdwa v4, v4, v81 dst_sel:DWORD dst_unused:UNUSED_PAD src0_sel:BYTE_3 src1_sel:DWORD
	v_lshlrev_b32_e32 v6, 3, v6
	v_cndmask_b32_e32 v5, 7, v5, vcc_lo
	v_and_b32_e32 v6, 0xf8, v6
	v_or_b32_e32 v7, v8, v5
	v_and_b32_e32 v5, 7, v5
	v_cmp_ne_u32_e32 vcc_lo, 0, v7
	v_or3_b32 v4, v6, v4, v5
	v_cndmask_b32_e32 v67, 0, v4, vcc_lo
.LBB6_10721:                            ;   in Loop: Header=BB6_9580 Depth=2
	s_or_b32 exec_lo, exec_lo, s40
.LBB6_10722:                            ;   in Loop: Header=BB6_9580 Depth=2
	s_or_b32 exec_lo, exec_lo, s29
	v_cmp_gt_i16_sdwa s29, v10, v80 src0_sel:BYTE_1 src1_sel:DWORD
	s_mov_b32 s13, 0
	s_and_saveexec_b32 s40, s29
	s_xor_b32 s29, exec_lo, s40
	s_cbranch_execz .LBB6_11540
; %bb.10723:                            ;   in Loop: Header=BB6_9580 Depth=2
	v_cmp_eq_u16_sdwa s41, v10, v81 src0_sel:BYTE_1 src1_sel:DWORD
	s_mov_b32 s13, -1
	s_and_saveexec_b32 s40, s41
; %bb.10724:                            ;   in Loop: Header=BB6_9580 Depth=2
	s_xor_b32 s13, exec_lo, -1
; %bb.10725:                            ;   in Loop: Header=BB6_9580 Depth=2
	s_or_b32 exec_lo, exec_lo, s40
	s_and_b32 s13, s13, exec_lo
	s_or_saveexec_b32 s29, s29
	v_mov_b32_e32 v4, 0x7f800001
	s_xor_b32 exec_lo, exec_lo, s29
	s_cbranch_execnz .LBB6_11541
.LBB6_10726:                            ;   in Loop: Header=BB6_9580 Depth=2
	s_or_b32 exec_lo, exec_lo, s29
	s_and_saveexec_b32 s29, s13
	s_cbranch_execz .LBB6_10728
.LBB6_10727:                            ;   in Loop: Header=BB6_9580 Depth=2
	v_and_b32_sdwa v4, v82, v10 dst_sel:DWORD dst_unused:UNUSED_PAD src0_sel:DWORD src1_sel:BYTE_1
	v_and_b32_e32 v5, 7, v4
	v_bfe_u32 v8, v4, 3, 4
	v_ffbh_u32_e32 v6, v5
	v_cmp_eq_u32_e32 vcc_lo, 0, v8
	v_min_u32_e32 v6, 32, v6
	v_subrev_nc_u32_e32 v7, 28, v6
	v_sub_nc_u32_e32 v6, 29, v6
	v_lshlrev_b32_e32 v4, v7, v4
	v_lshlrev_b32_sdwa v7, v83, v10 dst_sel:DWORD dst_unused:UNUSED_PAD src0_sel:DWORD src1_sel:BYTE_1
	v_cndmask_b32_e32 v6, v8, v6, vcc_lo
	v_and_b32_e32 v4, 7, v4
	v_lshl_add_u32 v6, v6, 23, 0x3b800000
	v_cndmask_b32_e32 v4, v5, v4, vcc_lo
	v_and_b32_e32 v5, 0x80000000, v7
	v_lshlrev_b32_e32 v4, 20, v4
	v_or3_b32 v4, v5, v6, v4
.LBB6_10728:                            ;   in Loop: Header=BB6_9580 Depth=2
	s_or_b32 exec_lo, exec_lo, s29
	v_mul_f32_e32 v4, s28, v4
	v_mov_b32_e32 v69, 0x8000
	s_mov_b32 s29, exec_lo
	v_and_b32_e32 v5, 0x7f800000, v4
	v_cmpx_ne_u32_e32 0x7f800000, v5
	s_cbranch_execz .LBB6_10736
; %bb.10729:                            ;   in Loop: Header=BB6_9580 Depth=2
	v_mov_b32_e32 v69, 0
	s_mov_b32 s40, exec_lo
	v_cmpx_ne_u32_e32 0, v4
	s_cbranch_execz .LBB6_10735
; %bb.10730:                            ;   in Loop: Header=BB6_9580 Depth=2
	v_bfe_u32 v6, v4, 23, 8
	v_and_b32_e32 v5, 0x7fffff, v4
	v_cmp_gt_u32_e64 s13, 0x79, v6
	v_sub_nc_u32_e32 v7, 0x78, v6
	v_cmp_eq_u32_e32 vcc_lo, 0, v6
	v_or_b32_e32 v8, 0x800000, v5
	v_cndmask_b32_e64 v7, 0, v7, s13
	v_cndmask_b32_e32 v5, v8, v5, vcc_lo
	v_cndmask_b32_e64 v7, v7, 0x77, vcc_lo
	v_lshl_add_u32 v8, 0x100000, v7, -1
	v_lshlrev_b32_e64 v9, v7, 0x80000
	v_and_b32_e32 v8, v8, v5
	v_cmp_eq_u32_e64 s13, v8, v9
	v_lshrrev_b32_e32 v8, v7, v5
	v_add_nc_u32_e32 v5, 0xffffff89, v6
	v_lshrrev_b32_e32 v6, 23, v8
	v_cndmask_b32_e64 v5, v5, 0xffffff8a, vcc_lo
	v_xor_b32_e32 v6, 1, v6
	v_add_nc_u32_e32 v5, v7, v5
	v_bfe_u32 v7, v8, 20, 1
	v_add_nc_u32_e32 v7, -1, v7
	v_cndmask_b32_e64 v7, 0, v7, s13
	s_mov_b32 s13, exec_lo
	v_add_nc_u32_e32 v7, v7, v8
	v_and_b32_e32 v7, 0xfffff, v7
	v_add_nc_u32_e32 v7, v7, v8
                                        ; implicit-def: $vgpr8
	v_cmpx_ne_u32_e64 v5, v6
	s_xor_b32 s13, exec_lo, s13
; %bb.10731:                            ;   in Loop: Header=BB6_9580 Depth=2
	v_cmp_lt_u32_e32 vcc_lo, 0xffffff, v7
	v_sub_nc_u32_e32 v5, v5, v6
	v_cndmask_b32_e64 v6, 0, 1, vcc_lo
	v_add_co_ci_u32_e64 v8, null, 0, v5, vcc_lo
	v_lshrrev_b32_e32 v7, v6, v7
; %bb.10732:                            ;   in Loop: Header=BB6_9580 Depth=2
	s_andn2_saveexec_b32 s13, s13
; %bb.10733:                            ;   in Loop: Header=BB6_9580 Depth=2
	v_bfe_u32 v8, v7, 23, 1
; %bb.10734:                            ;   in Loop: Header=BB6_9580 Depth=2
	s_or_b32 exec_lo, exec_lo, s13
	v_lshrrev_b32_e32 v5, 20, v7
	v_min_i32_e32 v6, 15, v8
	v_cmp_gt_i32_e32 vcc_lo, 16, v8
	v_and_b32_sdwa v4, v4, v81 dst_sel:DWORD dst_unused:UNUSED_PAD src0_sel:BYTE_3 src1_sel:DWORD
	v_lshlrev_b32_e32 v6, 3, v6
	v_cndmask_b32_e32 v5, 7, v5, vcc_lo
	v_and_b32_e32 v6, 0xf8, v6
	v_or_b32_e32 v7, v8, v5
	v_and_b32_e32 v5, 7, v5
	v_cmp_ne_u32_e32 vcc_lo, 0, v7
	v_or3_b32 v4, v4, v6, v5
	v_lshlrev_b32_e32 v4, 8, v4
	v_cndmask_b32_e32 v69, 0, v4, vcc_lo
.LBB6_10735:                            ;   in Loop: Header=BB6_9580 Depth=2
	s_or_b32 exec_lo, exec_lo, s40
.LBB6_10736:                            ;   in Loop: Header=BB6_9580 Depth=2
	s_or_b32 exec_lo, exec_lo, s29
	v_and_b32_sdwa v5, v10, v86 dst_sel:DWORD dst_unused:UNUSED_PAD src0_sel:WORD_1 src1_sel:DWORD
	s_mov_b32 s29, 0
	s_mov_b32 s13, exec_lo
	v_cmpx_lt_i16_e32 0x7f, v5
	s_xor_b32 s13, exec_lo, s13
	s_cbranch_execz .LBB6_11542
; %bb.10737:                            ;   in Loop: Header=BB6_9580 Depth=2
	s_mov_b32 s29, -1
	s_mov_b32 s40, exec_lo
	v_cmpx_eq_u16_e32 0x80, v5
; %bb.10738:                            ;   in Loop: Header=BB6_9580 Depth=2
	s_xor_b32 s29, exec_lo, -1
; %bb.10739:                            ;   in Loop: Header=BB6_9580 Depth=2
	s_or_b32 exec_lo, exec_lo, s40
	s_and_b32 s29, s29, exec_lo
                                        ; implicit-def: $vgpr5
	s_or_saveexec_b32 s13, s13
	v_mov_b32_e32 v4, 0x7f800001
	s_xor_b32 exec_lo, exec_lo, s13
	s_cbranch_execnz .LBB6_11543
.LBB6_10740:                            ;   in Loop: Header=BB6_9580 Depth=2
	s_or_b32 exec_lo, exec_lo, s13
	s_and_saveexec_b32 s13, s29
	s_cbranch_execz .LBB6_10742
.LBB6_10741:                            ;   in Loop: Header=BB6_9580 Depth=2
	v_bfe_u32 v4, v10, 16, 3
	v_bfe_u32 v5, v10, 19, 4
	v_ffbh_u32_e32 v6, v4
	v_cmp_eq_u32_e32 vcc_lo, 0, v5
	v_min_u32_e32 v6, 32, v6
	v_subrev_nc_u32_e32 v7, 28, v6
	v_sub_nc_u32_e32 v6, 29, v6
	v_lshlrev_b32_sdwa v7, v7, v10 dst_sel:DWORD dst_unused:UNUSED_PAD src0_sel:DWORD src1_sel:WORD_1
	v_cndmask_b32_e32 v5, v5, v6, vcc_lo
	v_lshlrev_b32_e32 v6, 8, v10
	v_and_b32_e32 v7, 7, v7
	v_lshl_add_u32 v5, v5, 23, 0x3b800000
	v_and_b32_e32 v6, 0x80000000, v6
	v_cndmask_b32_e32 v4, v4, v7, vcc_lo
	v_lshlrev_b32_e32 v4, 20, v4
	v_or3_b32 v4, v6, v5, v4
.LBB6_10742:                            ;   in Loop: Header=BB6_9580 Depth=2
	s_or_b32 exec_lo, exec_lo, s13
	v_mul_f32_e32 v4, s28, v4
	v_mov_b32_e32 v87, 0x80
	s_mov_b32 s29, exec_lo
	v_and_b32_e32 v5, 0x7f800000, v4
	v_cmpx_ne_u32_e32 0x7f800000, v5
	s_cbranch_execz .LBB6_10750
; %bb.10743:                            ;   in Loop: Header=BB6_9580 Depth=2
	v_mov_b32_e32 v87, 0
	s_mov_b32 s40, exec_lo
	v_cmpx_ne_u32_e32 0, v4
	s_cbranch_execz .LBB6_10749
; %bb.10744:                            ;   in Loop: Header=BB6_9580 Depth=2
	v_bfe_u32 v6, v4, 23, 8
	v_and_b32_e32 v5, 0x7fffff, v4
	v_cmp_gt_u32_e64 s13, 0x79, v6
	v_sub_nc_u32_e32 v7, 0x78, v6
	v_cmp_eq_u32_e32 vcc_lo, 0, v6
	v_or_b32_e32 v8, 0x800000, v5
	v_cndmask_b32_e64 v7, 0, v7, s13
	v_cndmask_b32_e32 v5, v8, v5, vcc_lo
	v_cndmask_b32_e64 v7, v7, 0x77, vcc_lo
	v_lshl_add_u32 v8, 0x100000, v7, -1
	v_lshlrev_b32_e64 v9, v7, 0x80000
	v_and_b32_e32 v8, v8, v5
	v_cmp_eq_u32_e64 s13, v8, v9
	v_lshrrev_b32_e32 v8, v7, v5
	v_add_nc_u32_e32 v5, 0xffffff89, v6
	v_lshrrev_b32_e32 v6, 23, v8
	v_cndmask_b32_e64 v5, v5, 0xffffff8a, vcc_lo
	v_xor_b32_e32 v6, 1, v6
	v_add_nc_u32_e32 v5, v7, v5
	v_bfe_u32 v7, v8, 20, 1
	v_add_nc_u32_e32 v7, -1, v7
	v_cndmask_b32_e64 v7, 0, v7, s13
	s_mov_b32 s13, exec_lo
	v_add_nc_u32_e32 v7, v7, v8
	v_and_b32_e32 v7, 0xfffff, v7
	v_add_nc_u32_e32 v7, v7, v8
                                        ; implicit-def: $vgpr8
	v_cmpx_ne_u32_e64 v5, v6
	s_xor_b32 s13, exec_lo, s13
; %bb.10745:                            ;   in Loop: Header=BB6_9580 Depth=2
	v_cmp_lt_u32_e32 vcc_lo, 0xffffff, v7
	v_sub_nc_u32_e32 v5, v5, v6
	v_cndmask_b32_e64 v6, 0, 1, vcc_lo
	v_add_co_ci_u32_e64 v8, null, 0, v5, vcc_lo
	v_lshrrev_b32_e32 v7, v6, v7
; %bb.10746:                            ;   in Loop: Header=BB6_9580 Depth=2
	s_andn2_saveexec_b32 s13, s13
; %bb.10747:                            ;   in Loop: Header=BB6_9580 Depth=2
	v_bfe_u32 v8, v7, 23, 1
; %bb.10748:                            ;   in Loop: Header=BB6_9580 Depth=2
	s_or_b32 exec_lo, exec_lo, s13
	v_lshrrev_b32_e32 v5, 20, v7
	v_min_i32_e32 v6, 15, v8
	v_cmp_gt_i32_e32 vcc_lo, 16, v8
	v_and_b32_sdwa v4, v4, v81 dst_sel:DWORD dst_unused:UNUSED_PAD src0_sel:BYTE_3 src1_sel:DWORD
	v_lshlrev_b32_e32 v6, 3, v6
	v_cndmask_b32_e32 v5, 7, v5, vcc_lo
	v_and_b32_e32 v6, 0xf8, v6
	v_or_b32_e32 v7, v8, v5
	v_and_b32_e32 v5, 7, v5
	v_cmp_ne_u32_e32 vcc_lo, 0, v7
	v_or3_b32 v4, v6, v4, v5
	v_cndmask_b32_e32 v87, 0, v4, vcc_lo
.LBB6_10749:                            ;   in Loop: Header=BB6_9580 Depth=2
	s_or_b32 exec_lo, exec_lo, s40
.LBB6_10750:                            ;   in Loop: Header=BB6_9580 Depth=2
	s_or_b32 exec_lo, exec_lo, s29
	v_cmp_gt_i16_sdwa s29, v10, v80 src0_sel:BYTE_3 src1_sel:DWORD
	s_mov_b32 s13, 0
	s_and_saveexec_b32 s40, s29
	s_xor_b32 s29, exec_lo, s40
	s_cbranch_execz .LBB6_11544
; %bb.10751:                            ;   in Loop: Header=BB6_9580 Depth=2
	v_cmp_eq_u16_sdwa s41, v10, v81 src0_sel:BYTE_3 src1_sel:DWORD
	s_mov_b32 s13, -1
	s_and_saveexec_b32 s40, s41
; %bb.10752:                            ;   in Loop: Header=BB6_9580 Depth=2
	s_xor_b32 s13, exec_lo, -1
; %bb.10753:                            ;   in Loop: Header=BB6_9580 Depth=2
	s_or_b32 exec_lo, exec_lo, s40
	s_and_b32 s13, s13, exec_lo
	s_or_saveexec_b32 s29, s29
	v_mov_b32_e32 v4, 0x7f800001
	s_xor_b32 exec_lo, exec_lo, s29
	s_cbranch_execnz .LBB6_11545
.LBB6_10754:                            ;   in Loop: Header=BB6_9580 Depth=2
	s_or_b32 exec_lo, exec_lo, s29
	s_and_saveexec_b32 s29, s13
	s_cbranch_execz .LBB6_10756
.LBB6_10755:                            ;   in Loop: Header=BB6_9580 Depth=2
	v_bfe_u32 v4, v10, 24, 3
	v_bfe_u32 v7, v10, 27, 4
	v_ffbh_u32_e32 v5, v4
	v_cmp_eq_u32_e32 vcc_lo, 0, v7
	v_min_u32_e32 v5, 32, v5
	v_subrev_nc_u32_e32 v6, 28, v5
	v_sub_nc_u32_e32 v5, 29, v5
	v_lshlrev_b32_sdwa v6, v6, v10 dst_sel:DWORD dst_unused:UNUSED_PAD src0_sel:DWORD src1_sel:BYTE_3
	v_cndmask_b32_e32 v5, v7, v5, vcc_lo
	v_and_b32_e32 v6, 7, v6
	v_lshl_add_u32 v5, v5, 23, 0x3b800000
	v_cndmask_b32_e32 v4, v4, v6, vcc_lo
	v_and_b32_e32 v6, 0x80000000, v10
	v_lshlrev_b32_e32 v4, 20, v4
	v_or3_b32 v4, v6, v5, v4
.LBB6_10756:                            ;   in Loop: Header=BB6_9580 Depth=2
	s_or_b32 exec_lo, exec_lo, s29
	v_mul_f32_e32 v4, s28, v4
	v_mov_b32_e32 v66, 0x8000
	s_mov_b32 s29, exec_lo
	v_and_b32_e32 v5, 0x7f800000, v4
	v_cmpx_ne_u32_e32 0x7f800000, v5
	s_cbranch_execz .LBB6_10764
; %bb.10757:                            ;   in Loop: Header=BB6_9580 Depth=2
	v_mov_b32_e32 v66, 0
	s_mov_b32 s40, exec_lo
	v_cmpx_ne_u32_e32 0, v4
	s_cbranch_execz .LBB6_10763
; %bb.10758:                            ;   in Loop: Header=BB6_9580 Depth=2
	v_bfe_u32 v6, v4, 23, 8
	v_and_b32_e32 v5, 0x7fffff, v4
	v_cmp_gt_u32_e64 s13, 0x79, v6
	v_sub_nc_u32_e32 v7, 0x78, v6
	v_cmp_eq_u32_e32 vcc_lo, 0, v6
	v_or_b32_e32 v8, 0x800000, v5
	v_cndmask_b32_e64 v7, 0, v7, s13
	v_cndmask_b32_e32 v5, v8, v5, vcc_lo
	v_cndmask_b32_e64 v7, v7, 0x77, vcc_lo
	v_lshl_add_u32 v8, 0x100000, v7, -1
	v_lshlrev_b32_e64 v9, v7, 0x80000
	v_and_b32_e32 v8, v8, v5
	v_cmp_eq_u32_e64 s13, v8, v9
	v_lshrrev_b32_e32 v8, v7, v5
	v_add_nc_u32_e32 v5, 0xffffff89, v6
	v_lshrrev_b32_e32 v6, 23, v8
	v_cndmask_b32_e64 v5, v5, 0xffffff8a, vcc_lo
	v_xor_b32_e32 v6, 1, v6
	v_add_nc_u32_e32 v5, v7, v5
	v_bfe_u32 v7, v8, 20, 1
	v_add_nc_u32_e32 v7, -1, v7
	v_cndmask_b32_e64 v7, 0, v7, s13
	s_mov_b32 s13, exec_lo
	v_add_nc_u32_e32 v7, v7, v8
	v_and_b32_e32 v7, 0xfffff, v7
	v_add_nc_u32_e32 v7, v7, v8
                                        ; implicit-def: $vgpr8
	v_cmpx_ne_u32_e64 v5, v6
	s_xor_b32 s13, exec_lo, s13
; %bb.10759:                            ;   in Loop: Header=BB6_9580 Depth=2
	v_cmp_lt_u32_e32 vcc_lo, 0xffffff, v7
	v_sub_nc_u32_e32 v5, v5, v6
	v_cndmask_b32_e64 v6, 0, 1, vcc_lo
	v_add_co_ci_u32_e64 v8, null, 0, v5, vcc_lo
	v_lshrrev_b32_e32 v7, v6, v7
; %bb.10760:                            ;   in Loop: Header=BB6_9580 Depth=2
	s_andn2_saveexec_b32 s13, s13
; %bb.10761:                            ;   in Loop: Header=BB6_9580 Depth=2
	v_bfe_u32 v8, v7, 23, 1
; %bb.10762:                            ;   in Loop: Header=BB6_9580 Depth=2
	s_or_b32 exec_lo, exec_lo, s13
	v_lshrrev_b32_e32 v5, 20, v7
	v_min_i32_e32 v6, 15, v8
	v_cmp_gt_i32_e32 vcc_lo, 16, v8
	v_and_b32_sdwa v4, v4, v81 dst_sel:DWORD dst_unused:UNUSED_PAD src0_sel:BYTE_3 src1_sel:DWORD
	v_lshlrev_b32_e32 v6, 3, v6
	v_cndmask_b32_e32 v5, 7, v5, vcc_lo
	v_and_b32_e32 v6, 0xf8, v6
	v_or_b32_e32 v7, v8, v5
	v_and_b32_e32 v5, 7, v5
	v_cmp_ne_u32_e32 vcc_lo, 0, v7
	v_or3_b32 v4, v4, v6, v5
	v_lshlrev_b32_e32 v4, 8, v4
	v_cndmask_b32_e32 v66, 0, v4, vcc_lo
.LBB6_10763:                            ;   in Loop: Header=BB6_9580 Depth=2
	s_or_b32 exec_lo, exec_lo, s40
.LBB6_10764:                            ;   in Loop: Header=BB6_9580 Depth=2
	s_or_b32 exec_lo, exec_lo, s29
	v_cmp_gt_i16_sdwa s13, v11, v80 src0_sel:BYTE_0 src1_sel:DWORD
	s_mov_b32 s29, 0
	s_and_saveexec_b32 s40, s13
	s_xor_b32 s13, exec_lo, s40
	s_cbranch_execz .LBB6_11546
; %bb.10765:                            ;   in Loop: Header=BB6_9580 Depth=2
	v_cmp_eq_u16_sdwa s41, v11, v81 src0_sel:BYTE_0 src1_sel:DWORD
	s_mov_b32 s29, -1
	s_and_saveexec_b32 s40, s41
; %bb.10766:                            ;   in Loop: Header=BB6_9580 Depth=2
	s_xor_b32 s29, exec_lo, -1
; %bb.10767:                            ;   in Loop: Header=BB6_9580 Depth=2
	s_or_b32 exec_lo, exec_lo, s40
	s_and_b32 s29, s29, exec_lo
	s_or_saveexec_b32 s13, s13
	v_mov_b32_e32 v4, 0x7f800001
	s_xor_b32 exec_lo, exec_lo, s13
	s_cbranch_execnz .LBB6_11547
.LBB6_10768:                            ;   in Loop: Header=BB6_9580 Depth=2
	s_or_b32 exec_lo, exec_lo, s13
	s_and_saveexec_b32 s13, s29
	s_cbranch_execz .LBB6_10770
.LBB6_10769:                            ;   in Loop: Header=BB6_9580 Depth=2
	v_and_b32_e32 v4, 7, v11
	v_bfe_u32 v5, v11, 3, 4
	v_ffbh_u32_e32 v6, v4
	v_cmp_eq_u32_e32 vcc_lo, 0, v5
	v_min_u32_e32 v6, 32, v6
	v_subrev_nc_u32_e32 v7, 28, v6
	v_sub_nc_u32_e32 v6, 29, v6
	v_lshlrev_b32_e32 v7, v7, v11
	v_cndmask_b32_e32 v5, v5, v6, vcc_lo
	v_lshlrev_b32_e32 v6, 24, v11
	v_and_b32_e32 v7, 7, v7
	v_lshl_add_u32 v5, v5, 23, 0x3b800000
	v_and_b32_e32 v6, 0x80000000, v6
	v_cndmask_b32_e32 v4, v4, v7, vcc_lo
	v_lshlrev_b32_e32 v4, 20, v4
	v_or3_b32 v4, v6, v5, v4
.LBB6_10770:                            ;   in Loop: Header=BB6_9580 Depth=2
	s_or_b32 exec_lo, exec_lo, s13
	v_mul_f32_e32 v4, s28, v4
	v_mov_b32_e32 v68, 0x80
	s_mov_b32 s29, exec_lo
	v_and_b32_e32 v5, 0x7f800000, v4
	v_cmpx_ne_u32_e32 0x7f800000, v5
	s_cbranch_execz .LBB6_10778
; %bb.10771:                            ;   in Loop: Header=BB6_9580 Depth=2
	v_mov_b32_e32 v68, 0
	s_mov_b32 s40, exec_lo
	v_cmpx_ne_u32_e32 0, v4
	s_cbranch_execz .LBB6_10777
; %bb.10772:                            ;   in Loop: Header=BB6_9580 Depth=2
	v_bfe_u32 v6, v4, 23, 8
	v_and_b32_e32 v5, 0x7fffff, v4
	v_cmp_gt_u32_e64 s13, 0x79, v6
	v_sub_nc_u32_e32 v7, 0x78, v6
	v_cmp_eq_u32_e32 vcc_lo, 0, v6
	v_or_b32_e32 v8, 0x800000, v5
	v_cndmask_b32_e64 v7, 0, v7, s13
	v_cndmask_b32_e32 v5, v8, v5, vcc_lo
	v_cndmask_b32_e64 v7, v7, 0x77, vcc_lo
	v_lshl_add_u32 v8, 0x100000, v7, -1
	v_lshlrev_b32_e64 v9, v7, 0x80000
	v_and_b32_e32 v8, v8, v5
	v_cmp_eq_u32_e64 s13, v8, v9
	v_lshrrev_b32_e32 v8, v7, v5
	v_add_nc_u32_e32 v5, 0xffffff89, v6
	v_lshrrev_b32_e32 v6, 23, v8
	v_cndmask_b32_e64 v5, v5, 0xffffff8a, vcc_lo
	v_xor_b32_e32 v6, 1, v6
	v_add_nc_u32_e32 v5, v7, v5
	v_bfe_u32 v7, v8, 20, 1
	v_add_nc_u32_e32 v7, -1, v7
	v_cndmask_b32_e64 v7, 0, v7, s13
	s_mov_b32 s13, exec_lo
	v_add_nc_u32_e32 v7, v7, v8
	v_and_b32_e32 v7, 0xfffff, v7
	v_add_nc_u32_e32 v7, v7, v8
                                        ; implicit-def: $vgpr8
	v_cmpx_ne_u32_e64 v5, v6
	s_xor_b32 s13, exec_lo, s13
; %bb.10773:                            ;   in Loop: Header=BB6_9580 Depth=2
	v_cmp_lt_u32_e32 vcc_lo, 0xffffff, v7
	v_sub_nc_u32_e32 v5, v5, v6
	v_cndmask_b32_e64 v6, 0, 1, vcc_lo
	v_add_co_ci_u32_e64 v8, null, 0, v5, vcc_lo
	v_lshrrev_b32_e32 v7, v6, v7
; %bb.10774:                            ;   in Loop: Header=BB6_9580 Depth=2
	s_andn2_saveexec_b32 s13, s13
; %bb.10775:                            ;   in Loop: Header=BB6_9580 Depth=2
	v_bfe_u32 v8, v7, 23, 1
; %bb.10776:                            ;   in Loop: Header=BB6_9580 Depth=2
	s_or_b32 exec_lo, exec_lo, s13
	v_lshrrev_b32_e32 v5, 20, v7
	v_min_i32_e32 v6, 15, v8
	v_cmp_gt_i32_e32 vcc_lo, 16, v8
	v_and_b32_sdwa v4, v4, v81 dst_sel:DWORD dst_unused:UNUSED_PAD src0_sel:BYTE_3 src1_sel:DWORD
	v_lshlrev_b32_e32 v6, 3, v6
	v_cndmask_b32_e32 v5, 7, v5, vcc_lo
	v_and_b32_e32 v6, 0xf8, v6
	v_or_b32_e32 v7, v8, v5
	v_and_b32_e32 v5, 7, v5
	v_cmp_ne_u32_e32 vcc_lo, 0, v7
	v_or3_b32 v4, v6, v4, v5
	v_cndmask_b32_e32 v68, 0, v4, vcc_lo
.LBB6_10777:                            ;   in Loop: Header=BB6_9580 Depth=2
	s_or_b32 exec_lo, exec_lo, s40
.LBB6_10778:                            ;   in Loop: Header=BB6_9580 Depth=2
	s_or_b32 exec_lo, exec_lo, s29
	v_cmp_gt_i16_sdwa s29, v11, v80 src0_sel:BYTE_1 src1_sel:DWORD
	s_mov_b32 s13, 0
	s_and_saveexec_b32 s40, s29
	s_xor_b32 s29, exec_lo, s40
	s_cbranch_execz .LBB6_11548
; %bb.10779:                            ;   in Loop: Header=BB6_9580 Depth=2
	v_cmp_eq_u16_sdwa s41, v11, v81 src0_sel:BYTE_1 src1_sel:DWORD
	s_mov_b32 s13, -1
	s_and_saveexec_b32 s40, s41
; %bb.10780:                            ;   in Loop: Header=BB6_9580 Depth=2
	s_xor_b32 s13, exec_lo, -1
; %bb.10781:                            ;   in Loop: Header=BB6_9580 Depth=2
	s_or_b32 exec_lo, exec_lo, s40
	s_and_b32 s13, s13, exec_lo
	s_or_saveexec_b32 s29, s29
	v_mov_b32_e32 v4, 0x7f800001
	s_xor_b32 exec_lo, exec_lo, s29
	s_cbranch_execnz .LBB6_11549
.LBB6_10782:                            ;   in Loop: Header=BB6_9580 Depth=2
	s_or_b32 exec_lo, exec_lo, s29
	s_and_saveexec_b32 s29, s13
	s_cbranch_execz .LBB6_10784
.LBB6_10783:                            ;   in Loop: Header=BB6_9580 Depth=2
	v_and_b32_sdwa v4, v82, v11 dst_sel:DWORD dst_unused:UNUSED_PAD src0_sel:DWORD src1_sel:BYTE_1
	v_and_b32_e32 v5, 7, v4
	v_bfe_u32 v8, v4, 3, 4
	v_ffbh_u32_e32 v6, v5
	v_cmp_eq_u32_e32 vcc_lo, 0, v8
	v_min_u32_e32 v6, 32, v6
	v_subrev_nc_u32_e32 v7, 28, v6
	v_sub_nc_u32_e32 v6, 29, v6
	v_lshlrev_b32_e32 v4, v7, v4
	v_lshlrev_b32_sdwa v7, v83, v11 dst_sel:DWORD dst_unused:UNUSED_PAD src0_sel:DWORD src1_sel:BYTE_1
	v_cndmask_b32_e32 v6, v8, v6, vcc_lo
	v_and_b32_e32 v4, 7, v4
	v_lshl_add_u32 v6, v6, 23, 0x3b800000
	v_cndmask_b32_e32 v4, v5, v4, vcc_lo
	v_and_b32_e32 v5, 0x80000000, v7
	v_lshlrev_b32_e32 v4, 20, v4
	v_or3_b32 v4, v5, v6, v4
.LBB6_10784:                            ;   in Loop: Header=BB6_9580 Depth=2
	s_or_b32 exec_lo, exec_lo, s29
	v_mul_f32_e32 v4, s28, v4
	v_mov_b32_e32 v48, 0x8000
	s_mov_b32 s29, exec_lo
	v_and_b32_e32 v5, 0x7f800000, v4
	v_cmpx_ne_u32_e32 0x7f800000, v5
	s_cbranch_execz .LBB6_10792
; %bb.10785:                            ;   in Loop: Header=BB6_9580 Depth=2
	v_mov_b32_e32 v48, 0
	s_mov_b32 s40, exec_lo
	v_cmpx_ne_u32_e32 0, v4
	s_cbranch_execz .LBB6_10791
; %bb.10786:                            ;   in Loop: Header=BB6_9580 Depth=2
	v_bfe_u32 v6, v4, 23, 8
	v_and_b32_e32 v5, 0x7fffff, v4
	v_cmp_gt_u32_e64 s13, 0x79, v6
	v_sub_nc_u32_e32 v7, 0x78, v6
	v_cmp_eq_u32_e32 vcc_lo, 0, v6
	v_or_b32_e32 v8, 0x800000, v5
	v_cndmask_b32_e64 v7, 0, v7, s13
	v_cndmask_b32_e32 v5, v8, v5, vcc_lo
	v_cndmask_b32_e64 v7, v7, 0x77, vcc_lo
	v_lshl_add_u32 v8, 0x100000, v7, -1
	v_lshlrev_b32_e64 v9, v7, 0x80000
	v_and_b32_e32 v8, v8, v5
	v_cmp_eq_u32_e64 s13, v8, v9
	v_lshrrev_b32_e32 v8, v7, v5
	v_add_nc_u32_e32 v5, 0xffffff89, v6
	v_lshrrev_b32_e32 v6, 23, v8
	v_cndmask_b32_e64 v5, v5, 0xffffff8a, vcc_lo
	v_xor_b32_e32 v6, 1, v6
	v_add_nc_u32_e32 v5, v7, v5
	v_bfe_u32 v7, v8, 20, 1
	v_add_nc_u32_e32 v7, -1, v7
	v_cndmask_b32_e64 v7, 0, v7, s13
	s_mov_b32 s13, exec_lo
	v_add_nc_u32_e32 v7, v7, v8
	v_and_b32_e32 v7, 0xfffff, v7
	v_add_nc_u32_e32 v7, v7, v8
                                        ; implicit-def: $vgpr8
	v_cmpx_ne_u32_e64 v5, v6
	s_xor_b32 s13, exec_lo, s13
; %bb.10787:                            ;   in Loop: Header=BB6_9580 Depth=2
	v_cmp_lt_u32_e32 vcc_lo, 0xffffff, v7
	v_sub_nc_u32_e32 v5, v5, v6
	v_cndmask_b32_e64 v6, 0, 1, vcc_lo
	v_add_co_ci_u32_e64 v8, null, 0, v5, vcc_lo
	v_lshrrev_b32_e32 v7, v6, v7
; %bb.10788:                            ;   in Loop: Header=BB6_9580 Depth=2
	s_andn2_saveexec_b32 s13, s13
; %bb.10789:                            ;   in Loop: Header=BB6_9580 Depth=2
	v_bfe_u32 v8, v7, 23, 1
; %bb.10790:                            ;   in Loop: Header=BB6_9580 Depth=2
	s_or_b32 exec_lo, exec_lo, s13
	v_lshrrev_b32_e32 v5, 20, v7
	v_min_i32_e32 v6, 15, v8
	v_cmp_gt_i32_e32 vcc_lo, 16, v8
	v_and_b32_sdwa v4, v4, v81 dst_sel:DWORD dst_unused:UNUSED_PAD src0_sel:BYTE_3 src1_sel:DWORD
	v_lshlrev_b32_e32 v6, 3, v6
	v_cndmask_b32_e32 v5, 7, v5, vcc_lo
	v_and_b32_e32 v6, 0xf8, v6
	v_or_b32_e32 v7, v8, v5
	v_and_b32_e32 v5, 7, v5
	v_cmp_ne_u32_e32 vcc_lo, 0, v7
	v_or3_b32 v4, v4, v6, v5
	v_lshlrev_b32_e32 v4, 8, v4
	v_cndmask_b32_e32 v48, 0, v4, vcc_lo
.LBB6_10791:                            ;   in Loop: Header=BB6_9580 Depth=2
	s_or_b32 exec_lo, exec_lo, s40
.LBB6_10792:                            ;   in Loop: Header=BB6_9580 Depth=2
	s_or_b32 exec_lo, exec_lo, s29
	v_and_b32_sdwa v5, v11, v86 dst_sel:DWORD dst_unused:UNUSED_PAD src0_sel:WORD_1 src1_sel:DWORD
	s_mov_b32 s29, 0
	s_mov_b32 s13, exec_lo
	v_cmpx_lt_i16_e32 0x7f, v5
	s_xor_b32 s13, exec_lo, s13
	s_cbranch_execz .LBB6_11550
; %bb.10793:                            ;   in Loop: Header=BB6_9580 Depth=2
	s_mov_b32 s29, -1
	s_mov_b32 s40, exec_lo
	v_cmpx_eq_u16_e32 0x80, v5
; %bb.10794:                            ;   in Loop: Header=BB6_9580 Depth=2
	s_xor_b32 s29, exec_lo, -1
; %bb.10795:                            ;   in Loop: Header=BB6_9580 Depth=2
	s_or_b32 exec_lo, exec_lo, s40
	s_and_b32 s29, s29, exec_lo
                                        ; implicit-def: $vgpr5
	s_or_saveexec_b32 s13, s13
	v_mov_b32_e32 v4, 0x7f800001
	s_xor_b32 exec_lo, exec_lo, s13
	s_cbranch_execnz .LBB6_11551
.LBB6_10796:                            ;   in Loop: Header=BB6_9580 Depth=2
	s_or_b32 exec_lo, exec_lo, s13
	s_and_saveexec_b32 s13, s29
	s_cbranch_execz .LBB6_10798
.LBB6_10797:                            ;   in Loop: Header=BB6_9580 Depth=2
	v_bfe_u32 v4, v11, 16, 3
	v_bfe_u32 v5, v11, 19, 4
	v_ffbh_u32_e32 v6, v4
	v_cmp_eq_u32_e32 vcc_lo, 0, v5
	v_min_u32_e32 v6, 32, v6
	v_subrev_nc_u32_e32 v7, 28, v6
	v_sub_nc_u32_e32 v6, 29, v6
	v_lshlrev_b32_sdwa v7, v7, v11 dst_sel:DWORD dst_unused:UNUSED_PAD src0_sel:DWORD src1_sel:WORD_1
	v_cndmask_b32_e32 v5, v5, v6, vcc_lo
	v_lshlrev_b32_e32 v6, 8, v11
	v_and_b32_e32 v7, 7, v7
	v_lshl_add_u32 v5, v5, 23, 0x3b800000
	v_and_b32_e32 v6, 0x80000000, v6
	v_cndmask_b32_e32 v4, v4, v7, vcc_lo
	v_lshlrev_b32_e32 v4, 20, v4
	v_or3_b32 v4, v6, v5, v4
.LBB6_10798:                            ;   in Loop: Header=BB6_9580 Depth=2
	s_or_b32 exec_lo, exec_lo, s13
	v_mul_f32_e32 v4, s28, v4
	v_mov_b32_e32 v49, 0x80
	s_mov_b32 s29, exec_lo
	v_and_b32_e32 v5, 0x7f800000, v4
	v_cmpx_ne_u32_e32 0x7f800000, v5
	s_cbranch_execz .LBB6_10806
; %bb.10799:                            ;   in Loop: Header=BB6_9580 Depth=2
	v_mov_b32_e32 v49, 0
	s_mov_b32 s40, exec_lo
	v_cmpx_ne_u32_e32 0, v4
	s_cbranch_execz .LBB6_10805
; %bb.10800:                            ;   in Loop: Header=BB6_9580 Depth=2
	v_bfe_u32 v6, v4, 23, 8
	v_and_b32_e32 v5, 0x7fffff, v4
	v_cmp_gt_u32_e64 s13, 0x79, v6
	v_sub_nc_u32_e32 v7, 0x78, v6
	v_cmp_eq_u32_e32 vcc_lo, 0, v6
	v_or_b32_e32 v8, 0x800000, v5
	v_cndmask_b32_e64 v7, 0, v7, s13
	v_cndmask_b32_e32 v5, v8, v5, vcc_lo
	v_cndmask_b32_e64 v7, v7, 0x77, vcc_lo
	v_lshl_add_u32 v8, 0x100000, v7, -1
	v_lshlrev_b32_e64 v9, v7, 0x80000
	v_and_b32_e32 v8, v8, v5
	v_cmp_eq_u32_e64 s13, v8, v9
	v_lshrrev_b32_e32 v8, v7, v5
	v_add_nc_u32_e32 v5, 0xffffff89, v6
	v_lshrrev_b32_e32 v6, 23, v8
	v_cndmask_b32_e64 v5, v5, 0xffffff8a, vcc_lo
	v_xor_b32_e32 v6, 1, v6
	v_add_nc_u32_e32 v5, v7, v5
	v_bfe_u32 v7, v8, 20, 1
	v_add_nc_u32_e32 v7, -1, v7
	v_cndmask_b32_e64 v7, 0, v7, s13
	s_mov_b32 s13, exec_lo
	v_add_nc_u32_e32 v7, v7, v8
	v_and_b32_e32 v7, 0xfffff, v7
	v_add_nc_u32_e32 v7, v7, v8
                                        ; implicit-def: $vgpr8
	v_cmpx_ne_u32_e64 v5, v6
	s_xor_b32 s13, exec_lo, s13
; %bb.10801:                            ;   in Loop: Header=BB6_9580 Depth=2
	v_cmp_lt_u32_e32 vcc_lo, 0xffffff, v7
	v_sub_nc_u32_e32 v5, v5, v6
	v_cndmask_b32_e64 v6, 0, 1, vcc_lo
	v_add_co_ci_u32_e64 v8, null, 0, v5, vcc_lo
	v_lshrrev_b32_e32 v7, v6, v7
; %bb.10802:                            ;   in Loop: Header=BB6_9580 Depth=2
	s_andn2_saveexec_b32 s13, s13
; %bb.10803:                            ;   in Loop: Header=BB6_9580 Depth=2
	v_bfe_u32 v8, v7, 23, 1
; %bb.10804:                            ;   in Loop: Header=BB6_9580 Depth=2
	s_or_b32 exec_lo, exec_lo, s13
	v_lshrrev_b32_e32 v5, 20, v7
	v_min_i32_e32 v6, 15, v8
	v_cmp_gt_i32_e32 vcc_lo, 16, v8
	v_and_b32_sdwa v4, v4, v81 dst_sel:DWORD dst_unused:UNUSED_PAD src0_sel:BYTE_3 src1_sel:DWORD
	v_lshlrev_b32_e32 v6, 3, v6
	v_cndmask_b32_e32 v5, 7, v5, vcc_lo
	v_and_b32_e32 v6, 0xf8, v6
	v_or_b32_e32 v7, v8, v5
	v_and_b32_e32 v5, 7, v5
	v_cmp_ne_u32_e32 vcc_lo, 0, v7
	v_or3_b32 v4, v6, v4, v5
	v_cndmask_b32_e32 v49, 0, v4, vcc_lo
.LBB6_10805:                            ;   in Loop: Header=BB6_9580 Depth=2
	s_or_b32 exec_lo, exec_lo, s40
.LBB6_10806:                            ;   in Loop: Header=BB6_9580 Depth=2
	s_or_b32 exec_lo, exec_lo, s29
	v_cmp_gt_i16_sdwa s29, v11, v80 src0_sel:BYTE_3 src1_sel:DWORD
	s_mov_b32 s13, 0
	s_and_saveexec_b32 s40, s29
	s_xor_b32 s29, exec_lo, s40
	s_cbranch_execz .LBB6_11552
; %bb.10807:                            ;   in Loop: Header=BB6_9580 Depth=2
	v_cmp_eq_u16_sdwa s41, v11, v81 src0_sel:BYTE_3 src1_sel:DWORD
	s_mov_b32 s13, -1
	s_and_saveexec_b32 s40, s41
; %bb.10808:                            ;   in Loop: Header=BB6_9580 Depth=2
	s_xor_b32 s13, exec_lo, -1
; %bb.10809:                            ;   in Loop: Header=BB6_9580 Depth=2
	s_or_b32 exec_lo, exec_lo, s40
	s_and_b32 s13, s13, exec_lo
	s_or_saveexec_b32 s29, s29
	v_mov_b32_e32 v4, 0x7f800001
	s_xor_b32 exec_lo, exec_lo, s29
	s_cbranch_execnz .LBB6_11553
.LBB6_10810:                            ;   in Loop: Header=BB6_9580 Depth=2
	s_or_b32 exec_lo, exec_lo, s29
	s_and_saveexec_b32 s29, s13
	s_cbranch_execz .LBB6_10812
.LBB6_10811:                            ;   in Loop: Header=BB6_9580 Depth=2
	v_bfe_u32 v4, v11, 24, 3
	v_bfe_u32 v7, v11, 27, 4
	v_ffbh_u32_e32 v5, v4
	v_cmp_eq_u32_e32 vcc_lo, 0, v7
	v_min_u32_e32 v5, 32, v5
	v_subrev_nc_u32_e32 v6, 28, v5
	v_sub_nc_u32_e32 v5, 29, v5
	v_lshlrev_b32_sdwa v6, v6, v11 dst_sel:DWORD dst_unused:UNUSED_PAD src0_sel:DWORD src1_sel:BYTE_3
	v_cndmask_b32_e32 v5, v7, v5, vcc_lo
	v_and_b32_e32 v6, 7, v6
	v_lshl_add_u32 v5, v5, 23, 0x3b800000
	v_cndmask_b32_e32 v4, v4, v6, vcc_lo
	v_and_b32_e32 v6, 0x80000000, v11
	v_lshlrev_b32_e32 v4, 20, v4
	v_or3_b32 v4, v6, v5, v4
.LBB6_10812:                            ;   in Loop: Header=BB6_9580 Depth=2
	s_or_b32 exec_lo, exec_lo, s29
	v_mul_f32_e32 v5, s28, v4
	v_and_b32_e32 v4, 0x7f800000, v5
	v_cmp_ne_u32_e32 vcc_lo, 0x7f800000, v4
	v_mov_b32_e32 v4, 0x8000
	s_and_saveexec_b32 s29, vcc_lo
	s_cbranch_execz .LBB6_10820
; %bb.10813:                            ;   in Loop: Header=BB6_9580 Depth=2
	v_mov_b32_e32 v4, 0
	s_mov_b32 s40, exec_lo
	v_cmpx_ne_u32_e32 0, v5
	s_cbranch_execz .LBB6_10819
; %bb.10814:                            ;   in Loop: Header=BB6_9580 Depth=2
	v_bfe_u32 v6, v5, 23, 8
	v_and_b32_e32 v4, 0x7fffff, v5
	v_cmp_gt_u32_e64 s13, 0x79, v6
	v_sub_nc_u32_e32 v7, 0x78, v6
	v_cmp_eq_u32_e32 vcc_lo, 0, v6
	v_or_b32_e32 v8, 0x800000, v4
	v_cndmask_b32_e64 v7, 0, v7, s13
	v_cndmask_b32_e32 v4, v8, v4, vcc_lo
	v_cndmask_b32_e64 v7, v7, 0x77, vcc_lo
	v_lshl_add_u32 v8, 0x100000, v7, -1
	v_lshlrev_b32_e64 v9, v7, 0x80000
	v_and_b32_e32 v8, v8, v4
	v_cmp_eq_u32_e64 s13, v8, v9
	v_lshrrev_b32_e32 v8, v7, v4
	v_add_nc_u32_e32 v4, 0xffffff89, v6
	v_lshrrev_b32_e32 v6, 23, v8
	v_cndmask_b32_e64 v4, v4, 0xffffff8a, vcc_lo
	v_xor_b32_e32 v6, 1, v6
	v_add_nc_u32_e32 v4, v7, v4
	v_bfe_u32 v7, v8, 20, 1
	v_add_nc_u32_e32 v7, -1, v7
	v_cndmask_b32_e64 v7, 0, v7, s13
	s_mov_b32 s13, exec_lo
	v_add_nc_u32_e32 v7, v7, v8
	v_and_b32_e32 v7, 0xfffff, v7
	v_add_nc_u32_e32 v7, v7, v8
                                        ; implicit-def: $vgpr8
	v_cmpx_ne_u32_e64 v4, v6
	s_xor_b32 s13, exec_lo, s13
; %bb.10815:                            ;   in Loop: Header=BB6_9580 Depth=2
	v_cmp_lt_u32_e32 vcc_lo, 0xffffff, v7
	v_sub_nc_u32_e32 v4, v4, v6
	v_cndmask_b32_e64 v6, 0, 1, vcc_lo
	v_add_co_ci_u32_e64 v8, null, 0, v4, vcc_lo
	v_lshrrev_b32_e32 v7, v6, v7
; %bb.10816:                            ;   in Loop: Header=BB6_9580 Depth=2
	s_andn2_saveexec_b32 s13, s13
; %bb.10817:                            ;   in Loop: Header=BB6_9580 Depth=2
	v_bfe_u32 v8, v7, 23, 1
; %bb.10818:                            ;   in Loop: Header=BB6_9580 Depth=2
	s_or_b32 exec_lo, exec_lo, s13
	v_and_b32_sdwa v4, v5, v81 dst_sel:DWORD dst_unused:UNUSED_PAD src0_sel:BYTE_3 src1_sel:DWORD
	v_lshrrev_b32_e32 v5, 20, v7
	v_min_i32_e32 v6, 15, v8
	v_cmp_gt_i32_e32 vcc_lo, 16, v8
	v_lshlrev_b32_e32 v6, 3, v6
	v_cndmask_b32_e32 v5, 7, v5, vcc_lo
	v_and_b32_e32 v6, 0xf8, v6
	v_or_b32_e32 v7, v8, v5
	v_and_b32_e32 v5, 7, v5
	v_cmp_ne_u32_e32 vcc_lo, 0, v7
	v_or3_b32 v4, v4, v6, v5
	v_lshlrev_b32_e32 v4, 8, v4
	v_cndmask_b32_e32 v4, 0, v4, vcc_lo
.LBB6_10819:                            ;   in Loop: Header=BB6_9580 Depth=2
	s_or_b32 exec_lo, exec_lo, s40
.LBB6_10820:                            ;   in Loop: Header=BB6_9580 Depth=2
	s_or_b32 exec_lo, exec_lo, s29
	v_cmp_gt_i16_sdwa s13, v12, v80 src0_sel:BYTE_0 src1_sel:DWORD
	s_mov_b32 s29, 0
	s_and_saveexec_b32 s40, s13
	s_xor_b32 s13, exec_lo, s40
	s_cbranch_execz .LBB6_11554
; %bb.10821:                            ;   in Loop: Header=BB6_9580 Depth=2
	v_cmp_eq_u16_sdwa s41, v12, v81 src0_sel:BYTE_0 src1_sel:DWORD
	s_mov_b32 s29, -1
	s_and_saveexec_b32 s40, s41
; %bb.10822:                            ;   in Loop: Header=BB6_9580 Depth=2
	s_xor_b32 s29, exec_lo, -1
; %bb.10823:                            ;   in Loop: Header=BB6_9580 Depth=2
	s_or_b32 exec_lo, exec_lo, s40
	s_and_b32 s29, s29, exec_lo
	s_or_saveexec_b32 s13, s13
	v_mov_b32_e32 v5, 0x7f800001
	s_xor_b32 exec_lo, exec_lo, s13
	s_cbranch_execnz .LBB6_11555
.LBB6_10824:                            ;   in Loop: Header=BB6_9580 Depth=2
	s_or_b32 exec_lo, exec_lo, s13
	s_and_saveexec_b32 s13, s29
	s_cbranch_execz .LBB6_10826
.LBB6_10825:                            ;   in Loop: Header=BB6_9580 Depth=2
	v_and_b32_e32 v5, 7, v12
	v_bfe_u32 v6, v12, 3, 4
	v_ffbh_u32_e32 v7, v5
	v_cmp_eq_u32_e32 vcc_lo, 0, v6
	v_min_u32_e32 v7, 32, v7
	v_subrev_nc_u32_e32 v8, 28, v7
	v_sub_nc_u32_e32 v7, 29, v7
	v_lshlrev_b32_e32 v8, v8, v12
	v_cndmask_b32_e32 v6, v6, v7, vcc_lo
	v_lshlrev_b32_e32 v7, 24, v12
	v_and_b32_e32 v8, 7, v8
	v_lshl_add_u32 v6, v6, 23, 0x3b800000
	v_and_b32_e32 v7, 0x80000000, v7
	v_cndmask_b32_e32 v5, v5, v8, vcc_lo
	v_lshlrev_b32_e32 v5, 20, v5
	v_or3_b32 v5, v7, v6, v5
.LBB6_10826:                            ;   in Loop: Header=BB6_9580 Depth=2
	s_or_b32 exec_lo, exec_lo, s13
	v_mul_f32_e32 v6, s28, v5
	v_and_b32_e32 v5, 0x7f800000, v6
	v_cmp_ne_u32_e32 vcc_lo, 0x7f800000, v5
	v_mov_b32_e32 v5, 0x80
	s_and_saveexec_b32 s29, vcc_lo
	s_cbranch_execz .LBB6_10834
; %bb.10827:                            ;   in Loop: Header=BB6_9580 Depth=2
	v_mov_b32_e32 v5, 0
	s_mov_b32 s40, exec_lo
	v_cmpx_ne_u32_e32 0, v6
	s_cbranch_execz .LBB6_10833
; %bb.10828:                            ;   in Loop: Header=BB6_9580 Depth=2
	v_bfe_u32 v7, v6, 23, 8
	v_and_b32_e32 v5, 0x7fffff, v6
	v_cmp_gt_u32_e64 s13, 0x79, v7
	v_sub_nc_u32_e32 v8, 0x78, v7
	v_cmp_eq_u32_e32 vcc_lo, 0, v7
	v_or_b32_e32 v9, 0x800000, v5
	v_cndmask_b32_e64 v8, 0, v8, s13
	v_cndmask_b32_e32 v5, v9, v5, vcc_lo
	v_cndmask_b32_e64 v8, v8, 0x77, vcc_lo
	v_lshl_add_u32 v9, 0x100000, v8, -1
	v_lshlrev_b32_e64 v10, v8, 0x80000
	v_and_b32_e32 v9, v9, v5
	v_cmp_eq_u32_e64 s13, v9, v10
	v_lshrrev_b32_e32 v9, v8, v5
	v_add_nc_u32_e32 v5, 0xffffff89, v7
	v_lshrrev_b32_e32 v7, 23, v9
	v_cndmask_b32_e64 v5, v5, 0xffffff8a, vcc_lo
	v_xor_b32_e32 v7, 1, v7
	v_add_nc_u32_e32 v5, v8, v5
	v_bfe_u32 v8, v9, 20, 1
	v_add_nc_u32_e32 v8, -1, v8
	v_cndmask_b32_e64 v8, 0, v8, s13
	s_mov_b32 s13, exec_lo
	v_add_nc_u32_e32 v8, v8, v9
	v_and_b32_e32 v8, 0xfffff, v8
	v_add_nc_u32_e32 v8, v8, v9
                                        ; implicit-def: $vgpr9
	v_cmpx_ne_u32_e64 v5, v7
	s_xor_b32 s13, exec_lo, s13
; %bb.10829:                            ;   in Loop: Header=BB6_9580 Depth=2
	v_cmp_lt_u32_e32 vcc_lo, 0xffffff, v8
	v_sub_nc_u32_e32 v5, v5, v7
	v_cndmask_b32_e64 v7, 0, 1, vcc_lo
	v_add_co_ci_u32_e64 v9, null, 0, v5, vcc_lo
	v_lshrrev_b32_e32 v8, v7, v8
; %bb.10830:                            ;   in Loop: Header=BB6_9580 Depth=2
	s_andn2_saveexec_b32 s13, s13
; %bb.10831:                            ;   in Loop: Header=BB6_9580 Depth=2
	v_bfe_u32 v9, v8, 23, 1
; %bb.10832:                            ;   in Loop: Header=BB6_9580 Depth=2
	s_or_b32 exec_lo, exec_lo, s13
	v_and_b32_sdwa v5, v6, v81 dst_sel:DWORD dst_unused:UNUSED_PAD src0_sel:BYTE_3 src1_sel:DWORD
	v_lshrrev_b32_e32 v6, 20, v8
	v_min_i32_e32 v7, 15, v9
	v_cmp_gt_i32_e32 vcc_lo, 16, v9
	v_lshlrev_b32_e32 v7, 3, v7
	v_cndmask_b32_e32 v6, 7, v6, vcc_lo
	v_and_b32_e32 v7, 0xf8, v7
	v_or_b32_e32 v8, v9, v6
	v_and_b32_e32 v6, 7, v6
	v_cmp_ne_u32_e32 vcc_lo, 0, v8
	v_or3_b32 v5, v7, v5, v6
	v_cndmask_b32_e32 v5, 0, v5, vcc_lo
.LBB6_10833:                            ;   in Loop: Header=BB6_9580 Depth=2
	s_or_b32 exec_lo, exec_lo, s40
.LBB6_10834:                            ;   in Loop: Header=BB6_9580 Depth=2
	s_or_b32 exec_lo, exec_lo, s29
	v_cmp_gt_i16_sdwa s29, v12, v80 src0_sel:BYTE_1 src1_sel:DWORD
	s_mov_b32 s13, 0
	s_and_saveexec_b32 s40, s29
	s_xor_b32 s29, exec_lo, s40
	s_cbranch_execz .LBB6_11556
; %bb.10835:                            ;   in Loop: Header=BB6_9580 Depth=2
	v_cmp_eq_u16_sdwa s41, v12, v81 src0_sel:BYTE_1 src1_sel:DWORD
	s_mov_b32 s13, -1
	s_and_saveexec_b32 s40, s41
; %bb.10836:                            ;   in Loop: Header=BB6_9580 Depth=2
	s_xor_b32 s13, exec_lo, -1
; %bb.10837:                            ;   in Loop: Header=BB6_9580 Depth=2
	s_or_b32 exec_lo, exec_lo, s40
	s_and_b32 s13, s13, exec_lo
	s_or_saveexec_b32 s29, s29
	v_mov_b32_e32 v6, 0x7f800001
	s_xor_b32 exec_lo, exec_lo, s29
	s_cbranch_execnz .LBB6_11557
.LBB6_10838:                            ;   in Loop: Header=BB6_9580 Depth=2
	s_or_b32 exec_lo, exec_lo, s29
	s_and_saveexec_b32 s29, s13
	s_cbranch_execz .LBB6_10840
.LBB6_10839:                            ;   in Loop: Header=BB6_9580 Depth=2
	v_and_b32_sdwa v6, v82, v12 dst_sel:DWORD dst_unused:UNUSED_PAD src0_sel:DWORD src1_sel:BYTE_1
	v_and_b32_e32 v7, 7, v6
	v_bfe_u32 v10, v6, 3, 4
	v_ffbh_u32_e32 v8, v7
	v_cmp_eq_u32_e32 vcc_lo, 0, v10
	v_min_u32_e32 v8, 32, v8
	v_subrev_nc_u32_e32 v9, 28, v8
	v_sub_nc_u32_e32 v8, 29, v8
	v_lshlrev_b32_e32 v6, v9, v6
	v_lshlrev_b32_sdwa v9, v83, v12 dst_sel:DWORD dst_unused:UNUSED_PAD src0_sel:DWORD src1_sel:BYTE_1
	v_cndmask_b32_e32 v8, v10, v8, vcc_lo
	v_and_b32_e32 v6, 7, v6
	v_lshl_add_u32 v8, v8, 23, 0x3b800000
	v_cndmask_b32_e32 v6, v7, v6, vcc_lo
	v_and_b32_e32 v7, 0x80000000, v9
	v_lshlrev_b32_e32 v6, 20, v6
	v_or3_b32 v6, v7, v8, v6
.LBB6_10840:                            ;   in Loop: Header=BB6_9580 Depth=2
	s_or_b32 exec_lo, exec_lo, s29
	v_mul_f32_e32 v6, s28, v6
	v_mov_b32_e32 v36, 0x8000
	s_mov_b32 s29, exec_lo
	v_and_b32_e32 v7, 0x7f800000, v6
	v_cmpx_ne_u32_e32 0x7f800000, v7
	s_cbranch_execz .LBB6_10848
; %bb.10841:                            ;   in Loop: Header=BB6_9580 Depth=2
	v_mov_b32_e32 v36, 0
	s_mov_b32 s40, exec_lo
	v_cmpx_ne_u32_e32 0, v6
	s_cbranch_execz .LBB6_10847
; %bb.10842:                            ;   in Loop: Header=BB6_9580 Depth=2
	v_bfe_u32 v8, v6, 23, 8
	v_and_b32_e32 v7, 0x7fffff, v6
	v_cmp_gt_u32_e64 s13, 0x79, v8
	v_sub_nc_u32_e32 v9, 0x78, v8
	v_cmp_eq_u32_e32 vcc_lo, 0, v8
	v_or_b32_e32 v10, 0x800000, v7
	v_cndmask_b32_e64 v9, 0, v9, s13
	v_cndmask_b32_e32 v7, v10, v7, vcc_lo
	v_cndmask_b32_e64 v9, v9, 0x77, vcc_lo
	v_lshl_add_u32 v10, 0x100000, v9, -1
	v_lshlrev_b32_e64 v11, v9, 0x80000
	v_and_b32_e32 v10, v10, v7
	v_cmp_eq_u32_e64 s13, v10, v11
	v_lshrrev_b32_e32 v10, v9, v7
	v_add_nc_u32_e32 v7, 0xffffff89, v8
	v_lshrrev_b32_e32 v8, 23, v10
	v_cndmask_b32_e64 v7, v7, 0xffffff8a, vcc_lo
	v_xor_b32_e32 v8, 1, v8
	v_add_nc_u32_e32 v7, v9, v7
	v_bfe_u32 v9, v10, 20, 1
	v_add_nc_u32_e32 v9, -1, v9
	v_cndmask_b32_e64 v9, 0, v9, s13
	s_mov_b32 s13, exec_lo
	v_add_nc_u32_e32 v9, v9, v10
	v_and_b32_e32 v9, 0xfffff, v9
	v_add_nc_u32_e32 v9, v9, v10
                                        ; implicit-def: $vgpr10
	v_cmpx_ne_u32_e64 v7, v8
	s_xor_b32 s13, exec_lo, s13
; %bb.10843:                            ;   in Loop: Header=BB6_9580 Depth=2
	v_cmp_lt_u32_e32 vcc_lo, 0xffffff, v9
	v_sub_nc_u32_e32 v7, v7, v8
	v_cndmask_b32_e64 v8, 0, 1, vcc_lo
	v_add_co_ci_u32_e64 v10, null, 0, v7, vcc_lo
	v_lshrrev_b32_e32 v9, v8, v9
; %bb.10844:                            ;   in Loop: Header=BB6_9580 Depth=2
	s_andn2_saveexec_b32 s13, s13
; %bb.10845:                            ;   in Loop: Header=BB6_9580 Depth=2
	v_bfe_u32 v10, v9, 23, 1
; %bb.10846:                            ;   in Loop: Header=BB6_9580 Depth=2
	s_or_b32 exec_lo, exec_lo, s13
	v_lshrrev_b32_e32 v7, 20, v9
	v_min_i32_e32 v8, 15, v10
	v_cmp_gt_i32_e32 vcc_lo, 16, v10
	v_and_b32_sdwa v6, v6, v81 dst_sel:DWORD dst_unused:UNUSED_PAD src0_sel:BYTE_3 src1_sel:DWORD
	v_lshlrev_b32_e32 v8, 3, v8
	v_cndmask_b32_e32 v7, 7, v7, vcc_lo
	v_and_b32_e32 v8, 0xf8, v8
	v_or_b32_e32 v9, v10, v7
	v_and_b32_e32 v7, 7, v7
	v_cmp_ne_u32_e32 vcc_lo, 0, v9
	v_or3_b32 v6, v6, v8, v7
	v_lshlrev_b32_e32 v6, 8, v6
	v_cndmask_b32_e32 v36, 0, v6, vcc_lo
.LBB6_10847:                            ;   in Loop: Header=BB6_9580 Depth=2
	s_or_b32 exec_lo, exec_lo, s40
.LBB6_10848:                            ;   in Loop: Header=BB6_9580 Depth=2
	s_or_b32 exec_lo, exec_lo, s29
	v_and_b32_sdwa v7, v12, v86 dst_sel:DWORD dst_unused:UNUSED_PAD src0_sel:WORD_1 src1_sel:DWORD
	s_mov_b32 s29, 0
	s_mov_b32 s13, exec_lo
	v_cmpx_lt_i16_e32 0x7f, v7
	s_xor_b32 s13, exec_lo, s13
	s_cbranch_execz .LBB6_11558
; %bb.10849:                            ;   in Loop: Header=BB6_9580 Depth=2
	s_mov_b32 s29, -1
	s_mov_b32 s40, exec_lo
	v_cmpx_eq_u16_e32 0x80, v7
; %bb.10850:                            ;   in Loop: Header=BB6_9580 Depth=2
	s_xor_b32 s29, exec_lo, -1
; %bb.10851:                            ;   in Loop: Header=BB6_9580 Depth=2
	s_or_b32 exec_lo, exec_lo, s40
	s_and_b32 s29, s29, exec_lo
                                        ; implicit-def: $vgpr7
	s_or_saveexec_b32 s13, s13
	v_mov_b32_e32 v6, 0x7f800001
	s_xor_b32 exec_lo, exec_lo, s13
	s_cbranch_execnz .LBB6_11559
.LBB6_10852:                            ;   in Loop: Header=BB6_9580 Depth=2
	s_or_b32 exec_lo, exec_lo, s13
	s_and_saveexec_b32 s13, s29
	s_cbranch_execz .LBB6_10854
.LBB6_10853:                            ;   in Loop: Header=BB6_9580 Depth=2
	v_bfe_u32 v6, v12, 16, 3
	v_bfe_u32 v7, v12, 19, 4
	v_ffbh_u32_e32 v8, v6
	v_cmp_eq_u32_e32 vcc_lo, 0, v7
	v_min_u32_e32 v8, 32, v8
	v_subrev_nc_u32_e32 v9, 28, v8
	v_sub_nc_u32_e32 v8, 29, v8
	v_lshlrev_b32_sdwa v9, v9, v12 dst_sel:DWORD dst_unused:UNUSED_PAD src0_sel:DWORD src1_sel:WORD_1
	v_cndmask_b32_e32 v7, v7, v8, vcc_lo
	v_lshlrev_b32_e32 v8, 8, v12
	v_and_b32_e32 v9, 7, v9
	v_lshl_add_u32 v7, v7, 23, 0x3b800000
	v_and_b32_e32 v8, 0x80000000, v8
	v_cndmask_b32_e32 v6, v6, v9, vcc_lo
	v_lshlrev_b32_e32 v6, 20, v6
	v_or3_b32 v6, v8, v7, v6
.LBB6_10854:                            ;   in Loop: Header=BB6_9580 Depth=2
	s_or_b32 exec_lo, exec_lo, s13
	v_mul_f32_e32 v6, s28, v6
	v_mov_b32_e32 v37, 0x80
	s_mov_b32 s29, exec_lo
	v_and_b32_e32 v7, 0x7f800000, v6
	v_cmpx_ne_u32_e32 0x7f800000, v7
	s_cbranch_execz .LBB6_10862
; %bb.10855:                            ;   in Loop: Header=BB6_9580 Depth=2
	v_mov_b32_e32 v37, 0
	s_mov_b32 s40, exec_lo
	v_cmpx_ne_u32_e32 0, v6
	s_cbranch_execz .LBB6_10861
; %bb.10856:                            ;   in Loop: Header=BB6_9580 Depth=2
	v_bfe_u32 v8, v6, 23, 8
	v_and_b32_e32 v7, 0x7fffff, v6
	v_cmp_gt_u32_e64 s13, 0x79, v8
	v_sub_nc_u32_e32 v9, 0x78, v8
	v_cmp_eq_u32_e32 vcc_lo, 0, v8
	v_or_b32_e32 v10, 0x800000, v7
	v_cndmask_b32_e64 v9, 0, v9, s13
	v_cndmask_b32_e32 v7, v10, v7, vcc_lo
	v_cndmask_b32_e64 v9, v9, 0x77, vcc_lo
	v_lshl_add_u32 v10, 0x100000, v9, -1
	v_lshlrev_b32_e64 v11, v9, 0x80000
	v_and_b32_e32 v10, v10, v7
	v_cmp_eq_u32_e64 s13, v10, v11
	v_lshrrev_b32_e32 v10, v9, v7
	v_add_nc_u32_e32 v7, 0xffffff89, v8
	v_lshrrev_b32_e32 v8, 23, v10
	v_cndmask_b32_e64 v7, v7, 0xffffff8a, vcc_lo
	v_xor_b32_e32 v8, 1, v8
	v_add_nc_u32_e32 v7, v9, v7
	v_bfe_u32 v9, v10, 20, 1
	v_add_nc_u32_e32 v9, -1, v9
	v_cndmask_b32_e64 v9, 0, v9, s13
	s_mov_b32 s13, exec_lo
	v_add_nc_u32_e32 v9, v9, v10
	v_and_b32_e32 v9, 0xfffff, v9
	v_add_nc_u32_e32 v9, v9, v10
                                        ; implicit-def: $vgpr10
	v_cmpx_ne_u32_e64 v7, v8
	s_xor_b32 s13, exec_lo, s13
; %bb.10857:                            ;   in Loop: Header=BB6_9580 Depth=2
	v_cmp_lt_u32_e32 vcc_lo, 0xffffff, v9
	v_sub_nc_u32_e32 v7, v7, v8
	v_cndmask_b32_e64 v8, 0, 1, vcc_lo
	v_add_co_ci_u32_e64 v10, null, 0, v7, vcc_lo
	v_lshrrev_b32_e32 v9, v8, v9
; %bb.10858:                            ;   in Loop: Header=BB6_9580 Depth=2
	s_andn2_saveexec_b32 s13, s13
; %bb.10859:                            ;   in Loop: Header=BB6_9580 Depth=2
	v_bfe_u32 v10, v9, 23, 1
; %bb.10860:                            ;   in Loop: Header=BB6_9580 Depth=2
	s_or_b32 exec_lo, exec_lo, s13
	v_lshrrev_b32_e32 v7, 20, v9
	v_min_i32_e32 v8, 15, v10
	v_cmp_gt_i32_e32 vcc_lo, 16, v10
	v_and_b32_sdwa v6, v6, v81 dst_sel:DWORD dst_unused:UNUSED_PAD src0_sel:BYTE_3 src1_sel:DWORD
	v_lshlrev_b32_e32 v8, 3, v8
	v_cndmask_b32_e32 v7, 7, v7, vcc_lo
	v_and_b32_e32 v8, 0xf8, v8
	v_or_b32_e32 v9, v10, v7
	v_and_b32_e32 v7, 7, v7
	v_cmp_ne_u32_e32 vcc_lo, 0, v9
	v_or3_b32 v6, v8, v6, v7
	v_cndmask_b32_e32 v37, 0, v6, vcc_lo
.LBB6_10861:                            ;   in Loop: Header=BB6_9580 Depth=2
	s_or_b32 exec_lo, exec_lo, s40
.LBB6_10862:                            ;   in Loop: Header=BB6_9580 Depth=2
	s_or_b32 exec_lo, exec_lo, s29
	v_cmp_gt_i16_sdwa s29, v12, v80 src0_sel:BYTE_3 src1_sel:DWORD
	s_mov_b32 s13, 0
	s_and_saveexec_b32 s40, s29
	s_xor_b32 s29, exec_lo, s40
	s_cbranch_execz .LBB6_11560
; %bb.10863:                            ;   in Loop: Header=BB6_9580 Depth=2
	v_cmp_eq_u16_sdwa s41, v12, v81 src0_sel:BYTE_3 src1_sel:DWORD
	s_mov_b32 s13, -1
	s_and_saveexec_b32 s40, s41
; %bb.10864:                            ;   in Loop: Header=BB6_9580 Depth=2
	s_xor_b32 s13, exec_lo, -1
; %bb.10865:                            ;   in Loop: Header=BB6_9580 Depth=2
	s_or_b32 exec_lo, exec_lo, s40
	s_and_b32 s13, s13, exec_lo
	s_or_saveexec_b32 s29, s29
	v_mov_b32_e32 v6, 0x7f800001
	s_xor_b32 exec_lo, exec_lo, s29
	s_cbranch_execnz .LBB6_11561
.LBB6_10866:                            ;   in Loop: Header=BB6_9580 Depth=2
	s_or_b32 exec_lo, exec_lo, s29
	s_and_saveexec_b32 s29, s13
	s_cbranch_execz .LBB6_10868
.LBB6_10867:                            ;   in Loop: Header=BB6_9580 Depth=2
	v_bfe_u32 v6, v12, 24, 3
	v_bfe_u32 v9, v12, 27, 4
	v_ffbh_u32_e32 v7, v6
	v_cmp_eq_u32_e32 vcc_lo, 0, v9
	v_min_u32_e32 v7, 32, v7
	v_subrev_nc_u32_e32 v8, 28, v7
	v_sub_nc_u32_e32 v7, 29, v7
	v_lshlrev_b32_sdwa v8, v8, v12 dst_sel:DWORD dst_unused:UNUSED_PAD src0_sel:DWORD src1_sel:BYTE_3
	v_cndmask_b32_e32 v7, v9, v7, vcc_lo
	v_and_b32_e32 v8, 7, v8
	v_lshl_add_u32 v7, v7, 23, 0x3b800000
	v_cndmask_b32_e32 v6, v6, v8, vcc_lo
	v_and_b32_e32 v8, 0x80000000, v12
	v_lshlrev_b32_e32 v6, 20, v6
	v_or3_b32 v6, v8, v7, v6
.LBB6_10868:                            ;   in Loop: Header=BB6_9580 Depth=2
	s_or_b32 exec_lo, exec_lo, s29
	v_mul_f32_e32 v6, s28, v6
	v_mov_b32_e32 v64, 0x8000
	s_mov_b32 s29, exec_lo
	v_and_b32_e32 v7, 0x7f800000, v6
	v_cmpx_ne_u32_e32 0x7f800000, v7
	s_cbranch_execz .LBB6_10876
; %bb.10869:                            ;   in Loop: Header=BB6_9580 Depth=2
	v_mov_b32_e32 v64, 0
	s_mov_b32 s40, exec_lo
	v_cmpx_ne_u32_e32 0, v6
	s_cbranch_execz .LBB6_10875
; %bb.10870:                            ;   in Loop: Header=BB6_9580 Depth=2
	v_bfe_u32 v8, v6, 23, 8
	v_and_b32_e32 v7, 0x7fffff, v6
	v_cmp_gt_u32_e64 s13, 0x79, v8
	v_sub_nc_u32_e32 v9, 0x78, v8
	v_cmp_eq_u32_e32 vcc_lo, 0, v8
	v_or_b32_e32 v10, 0x800000, v7
	v_cndmask_b32_e64 v9, 0, v9, s13
	v_cndmask_b32_e32 v7, v10, v7, vcc_lo
	v_cndmask_b32_e64 v9, v9, 0x77, vcc_lo
	v_lshl_add_u32 v10, 0x100000, v9, -1
	v_lshlrev_b32_e64 v11, v9, 0x80000
	v_and_b32_e32 v10, v10, v7
	v_cmp_eq_u32_e64 s13, v10, v11
	v_lshrrev_b32_e32 v10, v9, v7
	v_add_nc_u32_e32 v7, 0xffffff89, v8
	v_lshrrev_b32_e32 v8, 23, v10
	v_cndmask_b32_e64 v7, v7, 0xffffff8a, vcc_lo
	v_xor_b32_e32 v8, 1, v8
	v_add_nc_u32_e32 v7, v9, v7
	v_bfe_u32 v9, v10, 20, 1
	v_add_nc_u32_e32 v9, -1, v9
	v_cndmask_b32_e64 v9, 0, v9, s13
	s_mov_b32 s13, exec_lo
	v_add_nc_u32_e32 v9, v9, v10
	v_and_b32_e32 v9, 0xfffff, v9
	v_add_nc_u32_e32 v9, v9, v10
                                        ; implicit-def: $vgpr10
	v_cmpx_ne_u32_e64 v7, v8
	s_xor_b32 s13, exec_lo, s13
; %bb.10871:                            ;   in Loop: Header=BB6_9580 Depth=2
	v_cmp_lt_u32_e32 vcc_lo, 0xffffff, v9
	v_sub_nc_u32_e32 v7, v7, v8
	v_cndmask_b32_e64 v8, 0, 1, vcc_lo
	v_add_co_ci_u32_e64 v10, null, 0, v7, vcc_lo
	v_lshrrev_b32_e32 v9, v8, v9
; %bb.10872:                            ;   in Loop: Header=BB6_9580 Depth=2
	s_andn2_saveexec_b32 s13, s13
; %bb.10873:                            ;   in Loop: Header=BB6_9580 Depth=2
	v_bfe_u32 v10, v9, 23, 1
; %bb.10874:                            ;   in Loop: Header=BB6_9580 Depth=2
	s_or_b32 exec_lo, exec_lo, s13
	v_lshrrev_b32_e32 v7, 20, v9
	v_min_i32_e32 v8, 15, v10
	v_cmp_gt_i32_e32 vcc_lo, 16, v10
	v_and_b32_sdwa v6, v6, v81 dst_sel:DWORD dst_unused:UNUSED_PAD src0_sel:BYTE_3 src1_sel:DWORD
	v_lshlrev_b32_e32 v8, 3, v8
	v_cndmask_b32_e32 v7, 7, v7, vcc_lo
	v_and_b32_e32 v8, 0xf8, v8
	v_or_b32_e32 v9, v10, v7
	v_and_b32_e32 v7, 7, v7
	v_cmp_ne_u32_e32 vcc_lo, 0, v9
	v_or3_b32 v6, v6, v8, v7
	v_lshlrev_b32_e32 v6, 8, v6
	v_cndmask_b32_e32 v64, 0, v6, vcc_lo
.LBB6_10875:                            ;   in Loop: Header=BB6_9580 Depth=2
	s_or_b32 exec_lo, exec_lo, s40
.LBB6_10876:                            ;   in Loop: Header=BB6_9580 Depth=2
	s_or_b32 exec_lo, exec_lo, s29
	v_cmp_gt_i16_sdwa s13, v13, v80 src0_sel:BYTE_0 src1_sel:DWORD
	s_mov_b32 s29, 0
	s_and_saveexec_b32 s40, s13
	s_xor_b32 s13, exec_lo, s40
	s_cbranch_execz .LBB6_11562
; %bb.10877:                            ;   in Loop: Header=BB6_9580 Depth=2
	v_cmp_eq_u16_sdwa s41, v13, v81 src0_sel:BYTE_0 src1_sel:DWORD
	s_mov_b32 s29, -1
	s_and_saveexec_b32 s40, s41
; %bb.10878:                            ;   in Loop: Header=BB6_9580 Depth=2
	s_xor_b32 s29, exec_lo, -1
; %bb.10879:                            ;   in Loop: Header=BB6_9580 Depth=2
	s_or_b32 exec_lo, exec_lo, s40
	s_and_b32 s29, s29, exec_lo
	s_or_saveexec_b32 s13, s13
	v_mov_b32_e32 v6, 0x7f800001
	s_xor_b32 exec_lo, exec_lo, s13
	s_cbranch_execnz .LBB6_11563
.LBB6_10880:                            ;   in Loop: Header=BB6_9580 Depth=2
	s_or_b32 exec_lo, exec_lo, s13
	s_and_saveexec_b32 s13, s29
	s_cbranch_execz .LBB6_10882
.LBB6_10881:                            ;   in Loop: Header=BB6_9580 Depth=2
	v_and_b32_e32 v6, 7, v13
	v_bfe_u32 v7, v13, 3, 4
	v_ffbh_u32_e32 v8, v6
	v_cmp_eq_u32_e32 vcc_lo, 0, v7
	v_min_u32_e32 v8, 32, v8
	v_subrev_nc_u32_e32 v9, 28, v8
	v_sub_nc_u32_e32 v8, 29, v8
	v_lshlrev_b32_e32 v9, v9, v13
	v_cndmask_b32_e32 v7, v7, v8, vcc_lo
	v_lshlrev_b32_e32 v8, 24, v13
	v_and_b32_e32 v9, 7, v9
	v_lshl_add_u32 v7, v7, 23, 0x3b800000
	v_and_b32_e32 v8, 0x80000000, v8
	v_cndmask_b32_e32 v6, v6, v9, vcc_lo
	v_lshlrev_b32_e32 v6, 20, v6
	v_or3_b32 v6, v8, v7, v6
.LBB6_10882:                            ;   in Loop: Header=BB6_9580 Depth=2
	s_or_b32 exec_lo, exec_lo, s13
	v_mul_f32_e32 v6, s28, v6
	v_mov_b32_e32 v70, 0x80
	s_mov_b32 s29, exec_lo
	v_and_b32_e32 v7, 0x7f800000, v6
	v_cmpx_ne_u32_e32 0x7f800000, v7
	s_cbranch_execz .LBB6_10890
; %bb.10883:                            ;   in Loop: Header=BB6_9580 Depth=2
	v_mov_b32_e32 v70, 0
	s_mov_b32 s40, exec_lo
	v_cmpx_ne_u32_e32 0, v6
	s_cbranch_execz .LBB6_10889
; %bb.10884:                            ;   in Loop: Header=BB6_9580 Depth=2
	v_bfe_u32 v8, v6, 23, 8
	v_and_b32_e32 v7, 0x7fffff, v6
	v_cmp_gt_u32_e64 s13, 0x79, v8
	v_sub_nc_u32_e32 v9, 0x78, v8
	v_cmp_eq_u32_e32 vcc_lo, 0, v8
	v_or_b32_e32 v10, 0x800000, v7
	v_cndmask_b32_e64 v9, 0, v9, s13
	v_cndmask_b32_e32 v7, v10, v7, vcc_lo
	v_cndmask_b32_e64 v9, v9, 0x77, vcc_lo
	v_lshl_add_u32 v10, 0x100000, v9, -1
	v_lshlrev_b32_e64 v11, v9, 0x80000
	v_and_b32_e32 v10, v10, v7
	v_cmp_eq_u32_e64 s13, v10, v11
	v_lshrrev_b32_e32 v10, v9, v7
	v_add_nc_u32_e32 v7, 0xffffff89, v8
	v_lshrrev_b32_e32 v8, 23, v10
	v_cndmask_b32_e64 v7, v7, 0xffffff8a, vcc_lo
	v_xor_b32_e32 v8, 1, v8
	v_add_nc_u32_e32 v7, v9, v7
	v_bfe_u32 v9, v10, 20, 1
	v_add_nc_u32_e32 v9, -1, v9
	v_cndmask_b32_e64 v9, 0, v9, s13
	s_mov_b32 s13, exec_lo
	v_add_nc_u32_e32 v9, v9, v10
	v_and_b32_e32 v9, 0xfffff, v9
	v_add_nc_u32_e32 v9, v9, v10
                                        ; implicit-def: $vgpr10
	v_cmpx_ne_u32_e64 v7, v8
	s_xor_b32 s13, exec_lo, s13
; %bb.10885:                            ;   in Loop: Header=BB6_9580 Depth=2
	v_cmp_lt_u32_e32 vcc_lo, 0xffffff, v9
	v_sub_nc_u32_e32 v7, v7, v8
	v_cndmask_b32_e64 v8, 0, 1, vcc_lo
	v_add_co_ci_u32_e64 v10, null, 0, v7, vcc_lo
	v_lshrrev_b32_e32 v9, v8, v9
; %bb.10886:                            ;   in Loop: Header=BB6_9580 Depth=2
	s_andn2_saveexec_b32 s13, s13
; %bb.10887:                            ;   in Loop: Header=BB6_9580 Depth=2
	v_bfe_u32 v10, v9, 23, 1
; %bb.10888:                            ;   in Loop: Header=BB6_9580 Depth=2
	s_or_b32 exec_lo, exec_lo, s13
	v_lshrrev_b32_e32 v7, 20, v9
	v_min_i32_e32 v8, 15, v10
	v_cmp_gt_i32_e32 vcc_lo, 16, v10
	v_and_b32_sdwa v6, v6, v81 dst_sel:DWORD dst_unused:UNUSED_PAD src0_sel:BYTE_3 src1_sel:DWORD
	v_lshlrev_b32_e32 v8, 3, v8
	v_cndmask_b32_e32 v7, 7, v7, vcc_lo
	v_and_b32_e32 v8, 0xf8, v8
	v_or_b32_e32 v9, v10, v7
	v_and_b32_e32 v7, 7, v7
	v_cmp_ne_u32_e32 vcc_lo, 0, v9
	v_or3_b32 v6, v8, v6, v7
	v_cndmask_b32_e32 v70, 0, v6, vcc_lo
.LBB6_10889:                            ;   in Loop: Header=BB6_9580 Depth=2
	s_or_b32 exec_lo, exec_lo, s40
.LBB6_10890:                            ;   in Loop: Header=BB6_9580 Depth=2
	s_or_b32 exec_lo, exec_lo, s29
	v_cmp_gt_i16_sdwa s29, v13, v80 src0_sel:BYTE_1 src1_sel:DWORD
	s_mov_b32 s13, 0
	s_and_saveexec_b32 s40, s29
	s_xor_b32 s29, exec_lo, s40
	s_cbranch_execz .LBB6_11564
; %bb.10891:                            ;   in Loop: Header=BB6_9580 Depth=2
	v_cmp_eq_u16_sdwa s41, v13, v81 src0_sel:BYTE_1 src1_sel:DWORD
	s_mov_b32 s13, -1
	s_and_saveexec_b32 s40, s41
; %bb.10892:                            ;   in Loop: Header=BB6_9580 Depth=2
	s_xor_b32 s13, exec_lo, -1
; %bb.10893:                            ;   in Loop: Header=BB6_9580 Depth=2
	s_or_b32 exec_lo, exec_lo, s40
	s_and_b32 s13, s13, exec_lo
	s_or_saveexec_b32 s29, s29
	v_mov_b32_e32 v6, 0x7f800001
	s_xor_b32 exec_lo, exec_lo, s29
	s_cbranch_execnz .LBB6_11565
.LBB6_10894:                            ;   in Loop: Header=BB6_9580 Depth=2
	s_or_b32 exec_lo, exec_lo, s29
	s_and_saveexec_b32 s29, s13
	s_cbranch_execz .LBB6_10896
.LBB6_10895:                            ;   in Loop: Header=BB6_9580 Depth=2
	v_and_b32_sdwa v6, v82, v13 dst_sel:DWORD dst_unused:UNUSED_PAD src0_sel:DWORD src1_sel:BYTE_1
	v_and_b32_e32 v7, 7, v6
	v_bfe_u32 v10, v6, 3, 4
	v_ffbh_u32_e32 v8, v7
	v_cmp_eq_u32_e32 vcc_lo, 0, v10
	v_min_u32_e32 v8, 32, v8
	v_subrev_nc_u32_e32 v9, 28, v8
	v_sub_nc_u32_e32 v8, 29, v8
	v_lshlrev_b32_e32 v6, v9, v6
	v_lshlrev_b32_sdwa v9, v83, v13 dst_sel:DWORD dst_unused:UNUSED_PAD src0_sel:DWORD src1_sel:BYTE_1
	v_cndmask_b32_e32 v8, v10, v8, vcc_lo
	v_and_b32_e32 v6, 7, v6
	v_lshl_add_u32 v8, v8, 23, 0x3b800000
	v_cndmask_b32_e32 v6, v7, v6, vcc_lo
	v_and_b32_e32 v7, 0x80000000, v9
	v_lshlrev_b32_e32 v6, 20, v6
	v_or3_b32 v6, v7, v8, v6
.LBB6_10896:                            ;   in Loop: Header=BB6_9580 Depth=2
	s_or_b32 exec_lo, exec_lo, s29
	v_mul_f32_e32 v6, s28, v6
	v_mov_b32_e32 v84, 0x8000
	s_mov_b32 s29, exec_lo
	v_and_b32_e32 v7, 0x7f800000, v6
	v_cmpx_ne_u32_e32 0x7f800000, v7
	s_cbranch_execz .LBB6_10904
; %bb.10897:                            ;   in Loop: Header=BB6_9580 Depth=2
	v_mov_b32_e32 v84, 0
	s_mov_b32 s40, exec_lo
	v_cmpx_ne_u32_e32 0, v6
	s_cbranch_execz .LBB6_10903
; %bb.10898:                            ;   in Loop: Header=BB6_9580 Depth=2
	v_bfe_u32 v8, v6, 23, 8
	v_and_b32_e32 v7, 0x7fffff, v6
	v_cmp_gt_u32_e64 s13, 0x79, v8
	v_sub_nc_u32_e32 v9, 0x78, v8
	v_cmp_eq_u32_e32 vcc_lo, 0, v8
	v_or_b32_e32 v10, 0x800000, v7
	v_cndmask_b32_e64 v9, 0, v9, s13
	v_cndmask_b32_e32 v7, v10, v7, vcc_lo
	v_cndmask_b32_e64 v9, v9, 0x77, vcc_lo
	v_lshl_add_u32 v10, 0x100000, v9, -1
	v_lshlrev_b32_e64 v11, v9, 0x80000
	v_and_b32_e32 v10, v10, v7
	v_cmp_eq_u32_e64 s13, v10, v11
	v_lshrrev_b32_e32 v10, v9, v7
	v_add_nc_u32_e32 v7, 0xffffff89, v8
	v_lshrrev_b32_e32 v8, 23, v10
	v_cndmask_b32_e64 v7, v7, 0xffffff8a, vcc_lo
	v_xor_b32_e32 v8, 1, v8
	v_add_nc_u32_e32 v7, v9, v7
	v_bfe_u32 v9, v10, 20, 1
	v_add_nc_u32_e32 v9, -1, v9
	v_cndmask_b32_e64 v9, 0, v9, s13
	s_mov_b32 s13, exec_lo
	v_add_nc_u32_e32 v9, v9, v10
	v_and_b32_e32 v9, 0xfffff, v9
	v_add_nc_u32_e32 v9, v9, v10
                                        ; implicit-def: $vgpr10
	v_cmpx_ne_u32_e64 v7, v8
	s_xor_b32 s13, exec_lo, s13
; %bb.10899:                            ;   in Loop: Header=BB6_9580 Depth=2
	v_cmp_lt_u32_e32 vcc_lo, 0xffffff, v9
	v_sub_nc_u32_e32 v7, v7, v8
	v_cndmask_b32_e64 v8, 0, 1, vcc_lo
	v_add_co_ci_u32_e64 v10, null, 0, v7, vcc_lo
	v_lshrrev_b32_e32 v9, v8, v9
; %bb.10900:                            ;   in Loop: Header=BB6_9580 Depth=2
	s_andn2_saveexec_b32 s13, s13
; %bb.10901:                            ;   in Loop: Header=BB6_9580 Depth=2
	v_bfe_u32 v10, v9, 23, 1
; %bb.10902:                            ;   in Loop: Header=BB6_9580 Depth=2
	s_or_b32 exec_lo, exec_lo, s13
	v_lshrrev_b32_e32 v7, 20, v9
	v_min_i32_e32 v8, 15, v10
	v_cmp_gt_i32_e32 vcc_lo, 16, v10
	v_and_b32_sdwa v6, v6, v81 dst_sel:DWORD dst_unused:UNUSED_PAD src0_sel:BYTE_3 src1_sel:DWORD
	v_lshlrev_b32_e32 v8, 3, v8
	v_cndmask_b32_e32 v7, 7, v7, vcc_lo
	v_and_b32_e32 v8, 0xf8, v8
	v_or_b32_e32 v9, v10, v7
	v_and_b32_e32 v7, 7, v7
	v_cmp_ne_u32_e32 vcc_lo, 0, v9
	v_or3_b32 v6, v6, v8, v7
	v_lshlrev_b32_e32 v6, 8, v6
	v_cndmask_b32_e32 v84, 0, v6, vcc_lo
.LBB6_10903:                            ;   in Loop: Header=BB6_9580 Depth=2
	s_or_b32 exec_lo, exec_lo, s40
.LBB6_10904:                            ;   in Loop: Header=BB6_9580 Depth=2
	s_or_b32 exec_lo, exec_lo, s29
	v_and_b32_sdwa v7, v13, v86 dst_sel:DWORD dst_unused:UNUSED_PAD src0_sel:WORD_1 src1_sel:DWORD
	s_mov_b32 s29, 0
	s_mov_b32 s13, exec_lo
	v_cmpx_lt_i16_e32 0x7f, v7
	s_xor_b32 s13, exec_lo, s13
	s_cbranch_execz .LBB6_11566
; %bb.10905:                            ;   in Loop: Header=BB6_9580 Depth=2
	s_mov_b32 s29, -1
	s_mov_b32 s40, exec_lo
	v_cmpx_eq_u16_e32 0x80, v7
; %bb.10906:                            ;   in Loop: Header=BB6_9580 Depth=2
	s_xor_b32 s29, exec_lo, -1
; %bb.10907:                            ;   in Loop: Header=BB6_9580 Depth=2
	s_or_b32 exec_lo, exec_lo, s40
	s_and_b32 s29, s29, exec_lo
                                        ; implicit-def: $vgpr7
	s_or_saveexec_b32 s13, s13
	v_mov_b32_e32 v6, 0x7f800001
	s_xor_b32 exec_lo, exec_lo, s13
	s_cbranch_execnz .LBB6_11567
.LBB6_10908:                            ;   in Loop: Header=BB6_9580 Depth=2
	s_or_b32 exec_lo, exec_lo, s13
	s_and_saveexec_b32 s13, s29
	s_cbranch_execz .LBB6_10910
.LBB6_10909:                            ;   in Loop: Header=BB6_9580 Depth=2
	v_bfe_u32 v6, v13, 16, 3
	v_bfe_u32 v7, v13, 19, 4
	v_ffbh_u32_e32 v8, v6
	v_cmp_eq_u32_e32 vcc_lo, 0, v7
	v_min_u32_e32 v8, 32, v8
	v_subrev_nc_u32_e32 v9, 28, v8
	v_sub_nc_u32_e32 v8, 29, v8
	v_lshlrev_b32_sdwa v9, v9, v13 dst_sel:DWORD dst_unused:UNUSED_PAD src0_sel:DWORD src1_sel:WORD_1
	v_cndmask_b32_e32 v7, v7, v8, vcc_lo
	v_lshlrev_b32_e32 v8, 8, v13
	v_and_b32_e32 v9, 7, v9
	v_lshl_add_u32 v7, v7, 23, 0x3b800000
	v_and_b32_e32 v8, 0x80000000, v8
	v_cndmask_b32_e32 v6, v6, v9, vcc_lo
	v_lshlrev_b32_e32 v6, 20, v6
	v_or3_b32 v6, v8, v7, v6
.LBB6_10910:                            ;   in Loop: Header=BB6_9580 Depth=2
	s_or_b32 exec_lo, exec_lo, s13
	v_mul_f32_e32 v7, s28, v6
	v_and_b32_e32 v6, 0x7f800000, v7
	v_cmp_ne_u32_e32 vcc_lo, 0x7f800000, v6
	v_mov_b32_e32 v6, 0x80
	s_and_saveexec_b32 s29, vcc_lo
	s_cbranch_execz .LBB6_10918
; %bb.10911:                            ;   in Loop: Header=BB6_9580 Depth=2
	v_mov_b32_e32 v6, 0
	s_mov_b32 s40, exec_lo
	v_cmpx_ne_u32_e32 0, v7
	s_cbranch_execz .LBB6_10917
; %bb.10912:                            ;   in Loop: Header=BB6_9580 Depth=2
	v_bfe_u32 v8, v7, 23, 8
	v_and_b32_e32 v6, 0x7fffff, v7
	v_cmp_gt_u32_e64 s13, 0x79, v8
	v_sub_nc_u32_e32 v9, 0x78, v8
	v_cmp_eq_u32_e32 vcc_lo, 0, v8
	v_or_b32_e32 v10, 0x800000, v6
	v_cndmask_b32_e64 v9, 0, v9, s13
	v_cndmask_b32_e32 v6, v10, v6, vcc_lo
	v_cndmask_b32_e64 v9, v9, 0x77, vcc_lo
	v_lshl_add_u32 v10, 0x100000, v9, -1
	v_lshlrev_b32_e64 v11, v9, 0x80000
	v_and_b32_e32 v10, v10, v6
	v_cmp_eq_u32_e64 s13, v10, v11
	v_lshrrev_b32_e32 v10, v9, v6
	v_add_nc_u32_e32 v6, 0xffffff89, v8
	v_lshrrev_b32_e32 v8, 23, v10
	v_cndmask_b32_e64 v6, v6, 0xffffff8a, vcc_lo
	v_xor_b32_e32 v8, 1, v8
	v_add_nc_u32_e32 v6, v9, v6
	v_bfe_u32 v9, v10, 20, 1
	v_add_nc_u32_e32 v9, -1, v9
	v_cndmask_b32_e64 v9, 0, v9, s13
	s_mov_b32 s13, exec_lo
	v_add_nc_u32_e32 v9, v9, v10
	v_and_b32_e32 v9, 0xfffff, v9
	v_add_nc_u32_e32 v9, v9, v10
                                        ; implicit-def: $vgpr10
	v_cmpx_ne_u32_e64 v6, v8
	s_xor_b32 s13, exec_lo, s13
; %bb.10913:                            ;   in Loop: Header=BB6_9580 Depth=2
	v_cmp_lt_u32_e32 vcc_lo, 0xffffff, v9
	v_sub_nc_u32_e32 v6, v6, v8
	v_cndmask_b32_e64 v8, 0, 1, vcc_lo
	v_add_co_ci_u32_e64 v10, null, 0, v6, vcc_lo
	v_lshrrev_b32_e32 v9, v8, v9
; %bb.10914:                            ;   in Loop: Header=BB6_9580 Depth=2
	s_andn2_saveexec_b32 s13, s13
; %bb.10915:                            ;   in Loop: Header=BB6_9580 Depth=2
	v_bfe_u32 v10, v9, 23, 1
; %bb.10916:                            ;   in Loop: Header=BB6_9580 Depth=2
	s_or_b32 exec_lo, exec_lo, s13
	v_and_b32_sdwa v6, v7, v81 dst_sel:DWORD dst_unused:UNUSED_PAD src0_sel:BYTE_3 src1_sel:DWORD
	v_lshrrev_b32_e32 v7, 20, v9
	v_min_i32_e32 v8, 15, v10
	v_cmp_gt_i32_e32 vcc_lo, 16, v10
	v_lshlrev_b32_e32 v8, 3, v8
	v_cndmask_b32_e32 v7, 7, v7, vcc_lo
	v_and_b32_e32 v8, 0xf8, v8
	v_or_b32_e32 v9, v10, v7
	v_and_b32_e32 v7, 7, v7
	v_cmp_ne_u32_e32 vcc_lo, 0, v9
	v_or3_b32 v6, v8, v6, v7
	v_cndmask_b32_e32 v6, 0, v6, vcc_lo
.LBB6_10917:                            ;   in Loop: Header=BB6_9580 Depth=2
	s_or_b32 exec_lo, exec_lo, s40
.LBB6_10918:                            ;   in Loop: Header=BB6_9580 Depth=2
	s_or_b32 exec_lo, exec_lo, s29
	v_cmp_gt_i16_sdwa s29, v13, v80 src0_sel:BYTE_3 src1_sel:DWORD
	s_mov_b32 s13, 0
	s_and_saveexec_b32 s40, s29
	s_xor_b32 s29, exec_lo, s40
	s_cbranch_execz .LBB6_11568
; %bb.10919:                            ;   in Loop: Header=BB6_9580 Depth=2
	v_cmp_eq_u16_sdwa s41, v13, v81 src0_sel:BYTE_3 src1_sel:DWORD
	s_mov_b32 s13, -1
	s_and_saveexec_b32 s40, s41
; %bb.10920:                            ;   in Loop: Header=BB6_9580 Depth=2
	s_xor_b32 s13, exec_lo, -1
; %bb.10921:                            ;   in Loop: Header=BB6_9580 Depth=2
	s_or_b32 exec_lo, exec_lo, s40
	s_and_b32 s13, s13, exec_lo
	s_or_saveexec_b32 s29, s29
	v_mov_b32_e32 v7, 0x7f800001
	s_xor_b32 exec_lo, exec_lo, s29
	s_cbranch_execnz .LBB6_11569
.LBB6_10922:                            ;   in Loop: Header=BB6_9580 Depth=2
	s_or_b32 exec_lo, exec_lo, s29
	s_and_saveexec_b32 s29, s13
	s_cbranch_execz .LBB6_10924
.LBB6_10923:                            ;   in Loop: Header=BB6_9580 Depth=2
	v_bfe_u32 v7, v13, 24, 3
	v_bfe_u32 v10, v13, 27, 4
	v_ffbh_u32_e32 v8, v7
	v_cmp_eq_u32_e32 vcc_lo, 0, v10
	v_min_u32_e32 v8, 32, v8
	v_subrev_nc_u32_e32 v9, 28, v8
	v_sub_nc_u32_e32 v8, 29, v8
	v_lshlrev_b32_sdwa v9, v9, v13 dst_sel:DWORD dst_unused:UNUSED_PAD src0_sel:DWORD src1_sel:BYTE_3
	v_cndmask_b32_e32 v8, v10, v8, vcc_lo
	v_and_b32_e32 v9, 7, v9
	v_lshl_add_u32 v8, v8, 23, 0x3b800000
	v_cndmask_b32_e32 v7, v7, v9, vcc_lo
	v_and_b32_e32 v9, 0x80000000, v13
	v_lshlrev_b32_e32 v7, 20, v7
	v_or3_b32 v7, v9, v8, v7
.LBB6_10924:                            ;   in Loop: Header=BB6_9580 Depth=2
	s_or_b32 exec_lo, exec_lo, s29
	v_mul_f32_e32 v8, s28, v7
	v_and_b32_e32 v7, 0x7f800000, v8
	v_cmp_ne_u32_e32 vcc_lo, 0x7f800000, v7
	v_mov_b32_e32 v7, 0x8000
	s_and_saveexec_b32 s29, vcc_lo
	s_cbranch_execz .LBB6_10932
; %bb.10925:                            ;   in Loop: Header=BB6_9580 Depth=2
	v_mov_b32_e32 v7, 0
	s_mov_b32 s40, exec_lo
	v_cmpx_ne_u32_e32 0, v8
	s_cbranch_execz .LBB6_10931
; %bb.10926:                            ;   in Loop: Header=BB6_9580 Depth=2
	v_bfe_u32 v9, v8, 23, 8
	v_and_b32_e32 v7, 0x7fffff, v8
	v_cmp_gt_u32_e64 s13, 0x79, v9
	v_sub_nc_u32_e32 v10, 0x78, v9
	v_cmp_eq_u32_e32 vcc_lo, 0, v9
	v_or_b32_e32 v11, 0x800000, v7
	v_cndmask_b32_e64 v10, 0, v10, s13
	v_cndmask_b32_e32 v7, v11, v7, vcc_lo
	v_cndmask_b32_e64 v10, v10, 0x77, vcc_lo
	v_lshl_add_u32 v11, 0x100000, v10, -1
	v_lshlrev_b32_e64 v12, v10, 0x80000
	v_and_b32_e32 v11, v11, v7
	v_cmp_eq_u32_e64 s13, v11, v12
	v_lshrrev_b32_e32 v11, v10, v7
	v_add_nc_u32_e32 v7, 0xffffff89, v9
	v_lshrrev_b32_e32 v9, 23, v11
	v_cndmask_b32_e64 v7, v7, 0xffffff8a, vcc_lo
	v_xor_b32_e32 v9, 1, v9
	v_add_nc_u32_e32 v7, v10, v7
	v_bfe_u32 v10, v11, 20, 1
	v_add_nc_u32_e32 v10, -1, v10
	v_cndmask_b32_e64 v10, 0, v10, s13
	s_mov_b32 s13, exec_lo
	v_add_nc_u32_e32 v10, v10, v11
	v_and_b32_e32 v10, 0xfffff, v10
	v_add_nc_u32_e32 v10, v10, v11
                                        ; implicit-def: $vgpr11
	v_cmpx_ne_u32_e64 v7, v9
	s_xor_b32 s13, exec_lo, s13
; %bb.10927:                            ;   in Loop: Header=BB6_9580 Depth=2
	v_cmp_lt_u32_e32 vcc_lo, 0xffffff, v10
	v_sub_nc_u32_e32 v7, v7, v9
	v_cndmask_b32_e64 v9, 0, 1, vcc_lo
	v_add_co_ci_u32_e64 v11, null, 0, v7, vcc_lo
	v_lshrrev_b32_e32 v10, v9, v10
; %bb.10928:                            ;   in Loop: Header=BB6_9580 Depth=2
	s_andn2_saveexec_b32 s13, s13
; %bb.10929:                            ;   in Loop: Header=BB6_9580 Depth=2
	v_bfe_u32 v11, v10, 23, 1
; %bb.10930:                            ;   in Loop: Header=BB6_9580 Depth=2
	s_or_b32 exec_lo, exec_lo, s13
	v_and_b32_sdwa v7, v8, v81 dst_sel:DWORD dst_unused:UNUSED_PAD src0_sel:BYTE_3 src1_sel:DWORD
	v_lshrrev_b32_e32 v8, 20, v10
	v_min_i32_e32 v9, 15, v11
	v_cmp_gt_i32_e32 vcc_lo, 16, v11
	v_lshlrev_b32_e32 v9, 3, v9
	v_cndmask_b32_e32 v8, 7, v8, vcc_lo
	v_and_b32_e32 v9, 0xf8, v9
	v_or_b32_e32 v10, v11, v8
	v_and_b32_e32 v8, 7, v8
	v_cmp_ne_u32_e32 vcc_lo, 0, v10
	v_or3_b32 v7, v7, v9, v8
	v_lshlrev_b32_e32 v7, 8, v7
	v_cndmask_b32_e32 v7, 0, v7, vcc_lo
.LBB6_10931:                            ;   in Loop: Header=BB6_9580 Depth=2
	s_or_b32 exec_lo, exec_lo, s40
.LBB6_10932:                            ;   in Loop: Header=BB6_9580 Depth=2
	s_or_b32 exec_lo, exec_lo, s29
	global_load_dwordx4 v[10:13], v[54:55], off offset:1024 slc
	s_mov_b32 s29, 0
	s_waitcnt vmcnt(0)
	v_cmp_gt_i16_sdwa s13, v10, v80 src0_sel:BYTE_0 src1_sel:DWORD
	s_and_saveexec_b32 s40, s13
	s_xor_b32 s13, exec_lo, s40
	s_cbranch_execz .LBB6_11570
; %bb.10933:                            ;   in Loop: Header=BB6_9580 Depth=2
	v_cmp_eq_u16_sdwa s41, v10, v81 src0_sel:BYTE_0 src1_sel:DWORD
	s_mov_b32 s29, -1
	s_and_saveexec_b32 s40, s41
; %bb.10934:                            ;   in Loop: Header=BB6_9580 Depth=2
	s_xor_b32 s29, exec_lo, -1
; %bb.10935:                            ;   in Loop: Header=BB6_9580 Depth=2
	s_or_b32 exec_lo, exec_lo, s40
	s_and_b32 s29, s29, exec_lo
	s_or_saveexec_b32 s13, s13
	v_mov_b32_e32 v8, 0x7f800001
	s_xor_b32 exec_lo, exec_lo, s13
	s_cbranch_execnz .LBB6_11571
.LBB6_10936:                            ;   in Loop: Header=BB6_9580 Depth=2
	s_or_b32 exec_lo, exec_lo, s13
	s_and_saveexec_b32 s13, s29
	s_cbranch_execz .LBB6_10938
.LBB6_10937:                            ;   in Loop: Header=BB6_9580 Depth=2
	v_and_b32_e32 v8, 7, v10
	v_bfe_u32 v9, v10, 3, 4
	v_ffbh_u32_e32 v32, v8
	v_cmp_eq_u32_e32 vcc_lo, 0, v9
	v_min_u32_e32 v32, 32, v32
	v_subrev_nc_u32_e32 v33, 28, v32
	v_sub_nc_u32_e32 v32, 29, v32
	v_lshlrev_b32_e32 v33, v33, v10
	v_cndmask_b32_e32 v9, v9, v32, vcc_lo
	v_lshlrev_b32_e32 v32, 24, v10
	v_and_b32_e32 v33, 7, v33
	v_lshl_add_u32 v9, v9, 23, 0x3b800000
	v_and_b32_e32 v32, 0x80000000, v32
	v_cndmask_b32_e32 v8, v8, v33, vcc_lo
	v_lshlrev_b32_e32 v8, 20, v8
	v_or3_b32 v8, v32, v9, v8
.LBB6_10938:                            ;   in Loop: Header=BB6_9580 Depth=2
	s_or_b32 exec_lo, exec_lo, s13
	v_mul_f32_e32 v9, s28, v8
	v_and_b32_e32 v8, 0x7f800000, v9
	v_cmp_ne_u32_e32 vcc_lo, 0x7f800000, v8
	v_mov_b32_e32 v8, 0x80
	s_and_saveexec_b32 s29, vcc_lo
	s_cbranch_execz .LBB6_10946
; %bb.10939:                            ;   in Loop: Header=BB6_9580 Depth=2
	v_mov_b32_e32 v8, 0
	s_mov_b32 s40, exec_lo
	v_cmpx_ne_u32_e32 0, v9
	s_cbranch_execz .LBB6_10945
; %bb.10940:                            ;   in Loop: Header=BB6_9580 Depth=2
	v_bfe_u32 v32, v9, 23, 8
	v_and_b32_e32 v8, 0x7fffff, v9
	v_cmp_gt_u32_e64 s13, 0x79, v32
	v_sub_nc_u32_e32 v33, 0x78, v32
	v_cmp_eq_u32_e32 vcc_lo, 0, v32
	v_or_b32_e32 v97, 0x800000, v8
	v_cndmask_b32_e64 v33, 0, v33, s13
	v_cndmask_b32_e32 v8, v97, v8, vcc_lo
	v_cndmask_b32_e64 v33, v33, 0x77, vcc_lo
	v_lshl_add_u32 v97, 0x100000, v33, -1
	v_lshlrev_b32_e64 v98, v33, 0x80000
	v_and_b32_e32 v97, v97, v8
	v_cmp_eq_u32_e64 s13, v97, v98
	v_lshrrev_b32_e32 v97, v33, v8
	v_add_nc_u32_e32 v8, 0xffffff89, v32
	v_lshrrev_b32_e32 v32, 23, v97
	v_cndmask_b32_e64 v8, v8, 0xffffff8a, vcc_lo
	v_xor_b32_e32 v32, 1, v32
	v_add_nc_u32_e32 v8, v33, v8
	v_bfe_u32 v33, v97, 20, 1
	v_add_nc_u32_e32 v33, -1, v33
	v_cndmask_b32_e64 v33, 0, v33, s13
	s_mov_b32 s13, exec_lo
	v_add_nc_u32_e32 v33, v33, v97
	v_and_b32_e32 v33, 0xfffff, v33
	v_add_nc_u32_e32 v33, v33, v97
                                        ; implicit-def: $vgpr97
	v_cmpx_ne_u32_e64 v8, v32
	s_xor_b32 s13, exec_lo, s13
; %bb.10941:                            ;   in Loop: Header=BB6_9580 Depth=2
	v_cmp_lt_u32_e32 vcc_lo, 0xffffff, v33
	v_sub_nc_u32_e32 v8, v8, v32
	v_cndmask_b32_e64 v32, 0, 1, vcc_lo
	v_add_co_ci_u32_e64 v97, null, 0, v8, vcc_lo
	v_lshrrev_b32_e32 v33, v32, v33
; %bb.10942:                            ;   in Loop: Header=BB6_9580 Depth=2
	s_andn2_saveexec_b32 s13, s13
; %bb.10943:                            ;   in Loop: Header=BB6_9580 Depth=2
	v_bfe_u32 v97, v33, 23, 1
; %bb.10944:                            ;   in Loop: Header=BB6_9580 Depth=2
	s_or_b32 exec_lo, exec_lo, s13
	v_and_b32_sdwa v8, v9, v81 dst_sel:DWORD dst_unused:UNUSED_PAD src0_sel:BYTE_3 src1_sel:DWORD
	v_lshrrev_b32_e32 v9, 20, v33
	v_min_i32_e32 v32, 15, v97
	v_cmp_gt_i32_e32 vcc_lo, 16, v97
	v_lshlrev_b32_e32 v32, 3, v32
	v_cndmask_b32_e32 v9, 7, v9, vcc_lo
	v_and_b32_e32 v32, 0xf8, v32
	v_or_b32_e32 v33, v97, v9
	v_and_b32_e32 v9, 7, v9
	v_cmp_ne_u32_e32 vcc_lo, 0, v33
	v_or3_b32 v8, v32, v8, v9
	v_cndmask_b32_e32 v8, 0, v8, vcc_lo
.LBB6_10945:                            ;   in Loop: Header=BB6_9580 Depth=2
	s_or_b32 exec_lo, exec_lo, s40
.LBB6_10946:                            ;   in Loop: Header=BB6_9580 Depth=2
	s_or_b32 exec_lo, exec_lo, s29
	v_cmp_gt_i16_sdwa s29, v10, v80 src0_sel:BYTE_1 src1_sel:DWORD
	s_mov_b32 s13, 0
	s_and_saveexec_b32 s40, s29
	s_xor_b32 s29, exec_lo, s40
	s_cbranch_execz .LBB6_11572
; %bb.10947:                            ;   in Loop: Header=BB6_9580 Depth=2
	v_cmp_eq_u16_sdwa s41, v10, v81 src0_sel:BYTE_1 src1_sel:DWORD
	s_mov_b32 s13, -1
	s_and_saveexec_b32 s40, s41
; %bb.10948:                            ;   in Loop: Header=BB6_9580 Depth=2
	s_xor_b32 s13, exec_lo, -1
; %bb.10949:                            ;   in Loop: Header=BB6_9580 Depth=2
	s_or_b32 exec_lo, exec_lo, s40
	s_and_b32 s13, s13, exec_lo
	s_or_saveexec_b32 s29, s29
	v_mov_b32_e32 v9, 0x7f800001
	s_xor_b32 exec_lo, exec_lo, s29
	s_cbranch_execnz .LBB6_11573
.LBB6_10950:                            ;   in Loop: Header=BB6_9580 Depth=2
	s_or_b32 exec_lo, exec_lo, s29
	s_and_saveexec_b32 s29, s13
	s_cbranch_execz .LBB6_10952
.LBB6_10951:                            ;   in Loop: Header=BB6_9580 Depth=2
	v_and_b32_sdwa v9, v82, v10 dst_sel:DWORD dst_unused:UNUSED_PAD src0_sel:DWORD src1_sel:BYTE_1
	v_and_b32_e32 v32, 7, v9
	v_bfe_u32 v98, v9, 3, 4
	v_ffbh_u32_e32 v33, v32
	v_cmp_eq_u32_e32 vcc_lo, 0, v98
	v_min_u32_e32 v33, 32, v33
	v_subrev_nc_u32_e32 v97, 28, v33
	v_sub_nc_u32_e32 v33, 29, v33
	v_lshlrev_b32_e32 v9, v97, v9
	v_lshlrev_b32_sdwa v97, v83, v10 dst_sel:DWORD dst_unused:UNUSED_PAD src0_sel:DWORD src1_sel:BYTE_1
	v_cndmask_b32_e32 v33, v98, v33, vcc_lo
	v_and_b32_e32 v9, 7, v9
	v_lshl_add_u32 v33, v33, 23, 0x3b800000
	v_cndmask_b32_e32 v9, v32, v9, vcc_lo
	v_and_b32_e32 v32, 0x80000000, v97
	v_lshlrev_b32_e32 v9, 20, v9
	v_or3_b32 v9, v32, v33, v9
.LBB6_10952:                            ;   in Loop: Header=BB6_9580 Depth=2
	s_or_b32 exec_lo, exec_lo, s29
	v_mul_f32_e32 v32, s28, v9
	v_and_b32_e32 v9, 0x7f800000, v32
	v_cmp_ne_u32_e32 vcc_lo, 0x7f800000, v9
	v_mov_b32_e32 v9, 0x8000
	s_and_saveexec_b32 s29, vcc_lo
	s_cbranch_execz .LBB6_10960
; %bb.10953:                            ;   in Loop: Header=BB6_9580 Depth=2
	v_mov_b32_e32 v9, 0
	s_mov_b32 s40, exec_lo
	v_cmpx_ne_u32_e32 0, v32
	s_cbranch_execz .LBB6_10959
; %bb.10954:                            ;   in Loop: Header=BB6_9580 Depth=2
	v_bfe_u32 v33, v32, 23, 8
	v_and_b32_e32 v9, 0x7fffff, v32
	v_cmp_gt_u32_e64 s13, 0x79, v33
	v_sub_nc_u32_e32 v97, 0x78, v33
	v_cmp_eq_u32_e32 vcc_lo, 0, v33
	v_or_b32_e32 v98, 0x800000, v9
	v_cndmask_b32_e64 v97, 0, v97, s13
	v_cndmask_b32_e32 v9, v98, v9, vcc_lo
	v_cndmask_b32_e64 v97, v97, 0x77, vcc_lo
	v_lshl_add_u32 v98, 0x100000, v97, -1
	v_lshlrev_b32_e64 v99, v97, 0x80000
	v_and_b32_e32 v98, v98, v9
	v_cmp_eq_u32_e64 s13, v98, v99
	v_lshrrev_b32_e32 v98, v97, v9
	v_add_nc_u32_e32 v9, 0xffffff89, v33
	v_lshrrev_b32_e32 v33, 23, v98
	v_cndmask_b32_e64 v9, v9, 0xffffff8a, vcc_lo
	v_xor_b32_e32 v33, 1, v33
	v_add_nc_u32_e32 v9, v97, v9
	v_bfe_u32 v97, v98, 20, 1
	v_add_nc_u32_e32 v97, -1, v97
	v_cndmask_b32_e64 v97, 0, v97, s13
	s_mov_b32 s13, exec_lo
	v_add_nc_u32_e32 v97, v97, v98
	v_and_b32_e32 v97, 0xfffff, v97
	v_add_nc_u32_e32 v97, v97, v98
                                        ; implicit-def: $vgpr98
	v_cmpx_ne_u32_e64 v9, v33
	s_xor_b32 s13, exec_lo, s13
; %bb.10955:                            ;   in Loop: Header=BB6_9580 Depth=2
	v_cmp_lt_u32_e32 vcc_lo, 0xffffff, v97
	v_sub_nc_u32_e32 v9, v9, v33
	v_cndmask_b32_e64 v33, 0, 1, vcc_lo
	v_add_co_ci_u32_e64 v98, null, 0, v9, vcc_lo
	v_lshrrev_b32_e32 v97, v33, v97
; %bb.10956:                            ;   in Loop: Header=BB6_9580 Depth=2
	s_andn2_saveexec_b32 s13, s13
; %bb.10957:                            ;   in Loop: Header=BB6_9580 Depth=2
	v_bfe_u32 v98, v97, 23, 1
; %bb.10958:                            ;   in Loop: Header=BB6_9580 Depth=2
	s_or_b32 exec_lo, exec_lo, s13
	v_and_b32_sdwa v9, v32, v81 dst_sel:DWORD dst_unused:UNUSED_PAD src0_sel:BYTE_3 src1_sel:DWORD
	v_lshrrev_b32_e32 v32, 20, v97
	v_min_i32_e32 v33, 15, v98
	v_cmp_gt_i32_e32 vcc_lo, 16, v98
	v_lshlrev_b32_e32 v33, 3, v33
	v_cndmask_b32_e32 v32, 7, v32, vcc_lo
	v_and_b32_e32 v33, 0xf8, v33
	v_or_b32_e32 v97, v98, v32
	v_and_b32_e32 v32, 7, v32
	v_cmp_ne_u32_e32 vcc_lo, 0, v97
	v_or3_b32 v9, v9, v33, v32
	v_lshlrev_b32_e32 v9, 8, v9
	v_cndmask_b32_e32 v9, 0, v9, vcc_lo
.LBB6_10959:                            ;   in Loop: Header=BB6_9580 Depth=2
	s_or_b32 exec_lo, exec_lo, s40
.LBB6_10960:                            ;   in Loop: Header=BB6_9580 Depth=2
	s_or_b32 exec_lo, exec_lo, s29
	v_and_b32_sdwa v33, v10, v86 dst_sel:DWORD dst_unused:UNUSED_PAD src0_sel:WORD_1 src1_sel:DWORD
	s_mov_b32 s29, 0
	s_mov_b32 s13, exec_lo
	v_cmpx_lt_i16_e32 0x7f, v33
	s_xor_b32 s13, exec_lo, s13
	s_cbranch_execz .LBB6_11574
; %bb.10961:                            ;   in Loop: Header=BB6_9580 Depth=2
	s_mov_b32 s29, -1
	s_mov_b32 s40, exec_lo
	v_cmpx_eq_u16_e32 0x80, v33
; %bb.10962:                            ;   in Loop: Header=BB6_9580 Depth=2
	s_xor_b32 s29, exec_lo, -1
; %bb.10963:                            ;   in Loop: Header=BB6_9580 Depth=2
	s_or_b32 exec_lo, exec_lo, s40
	s_and_b32 s29, s29, exec_lo
                                        ; implicit-def: $vgpr33
	s_or_saveexec_b32 s13, s13
	v_mov_b32_e32 v32, 0x7f800001
	s_xor_b32 exec_lo, exec_lo, s13
	s_cbranch_execnz .LBB6_11575
.LBB6_10964:                            ;   in Loop: Header=BB6_9580 Depth=2
	s_or_b32 exec_lo, exec_lo, s13
	s_and_saveexec_b32 s13, s29
	s_cbranch_execz .LBB6_10966
.LBB6_10965:                            ;   in Loop: Header=BB6_9580 Depth=2
	v_bfe_u32 v32, v10, 16, 3
	v_bfe_u32 v33, v10, 19, 4
	v_ffbh_u32_e32 v97, v32
	v_cmp_eq_u32_e32 vcc_lo, 0, v33
	v_min_u32_e32 v97, 32, v97
	v_subrev_nc_u32_e32 v98, 28, v97
	v_sub_nc_u32_e32 v97, 29, v97
	v_lshlrev_b32_sdwa v98, v98, v10 dst_sel:DWORD dst_unused:UNUSED_PAD src0_sel:DWORD src1_sel:WORD_1
	v_cndmask_b32_e32 v33, v33, v97, vcc_lo
	v_lshlrev_b32_e32 v97, 8, v10
	v_and_b32_e32 v98, 7, v98
	v_lshl_add_u32 v33, v33, 23, 0x3b800000
	v_and_b32_e32 v97, 0x80000000, v97
	v_cndmask_b32_e32 v32, v32, v98, vcc_lo
	v_lshlrev_b32_e32 v32, 20, v32
	v_or3_b32 v32, v97, v33, v32
.LBB6_10966:                            ;   in Loop: Header=BB6_9580 Depth=2
	s_or_b32 exec_lo, exec_lo, s13
	v_mul_f32_e32 v33, s28, v32
	v_and_b32_e32 v32, 0x7f800000, v33
	v_cmp_ne_u32_e32 vcc_lo, 0x7f800000, v32
	v_mov_b32_e32 v32, 0x80
	s_and_saveexec_b32 s29, vcc_lo
	s_cbranch_execz .LBB6_10974
; %bb.10967:                            ;   in Loop: Header=BB6_9580 Depth=2
	v_mov_b32_e32 v32, 0
	s_mov_b32 s40, exec_lo
	v_cmpx_ne_u32_e32 0, v33
	s_cbranch_execz .LBB6_10973
; %bb.10968:                            ;   in Loop: Header=BB6_9580 Depth=2
	v_bfe_u32 v97, v33, 23, 8
	v_and_b32_e32 v32, 0x7fffff, v33
	v_cmp_gt_u32_e64 s13, 0x79, v97
	v_sub_nc_u32_e32 v98, 0x78, v97
	v_cmp_eq_u32_e32 vcc_lo, 0, v97
	v_or_b32_e32 v99, 0x800000, v32
	v_cndmask_b32_e64 v98, 0, v98, s13
	v_cndmask_b32_e32 v32, v99, v32, vcc_lo
	v_cndmask_b32_e64 v98, v98, 0x77, vcc_lo
	v_lshl_add_u32 v99, 0x100000, v98, -1
	v_lshlrev_b32_e64 v100, v98, 0x80000
	v_and_b32_e32 v99, v99, v32
	v_cmp_eq_u32_e64 s13, v99, v100
	v_lshrrev_b32_e32 v99, v98, v32
	v_add_nc_u32_e32 v32, 0xffffff89, v97
	v_lshrrev_b32_e32 v97, 23, v99
	v_cndmask_b32_e64 v32, v32, 0xffffff8a, vcc_lo
	v_xor_b32_e32 v97, 1, v97
	v_add_nc_u32_e32 v32, v98, v32
	v_bfe_u32 v98, v99, 20, 1
	v_add_nc_u32_e32 v98, -1, v98
	v_cndmask_b32_e64 v98, 0, v98, s13
	s_mov_b32 s13, exec_lo
	v_add_nc_u32_e32 v98, v98, v99
	v_and_b32_e32 v98, 0xfffff, v98
	v_add_nc_u32_e32 v98, v98, v99
                                        ; implicit-def: $vgpr99
	v_cmpx_ne_u32_e64 v32, v97
	s_xor_b32 s13, exec_lo, s13
; %bb.10969:                            ;   in Loop: Header=BB6_9580 Depth=2
	v_cmp_lt_u32_e32 vcc_lo, 0xffffff, v98
	v_sub_nc_u32_e32 v32, v32, v97
	v_cndmask_b32_e64 v97, 0, 1, vcc_lo
	v_add_co_ci_u32_e64 v99, null, 0, v32, vcc_lo
	v_lshrrev_b32_e32 v98, v97, v98
; %bb.10970:                            ;   in Loop: Header=BB6_9580 Depth=2
	s_andn2_saveexec_b32 s13, s13
; %bb.10971:                            ;   in Loop: Header=BB6_9580 Depth=2
	v_bfe_u32 v99, v98, 23, 1
; %bb.10972:                            ;   in Loop: Header=BB6_9580 Depth=2
	s_or_b32 exec_lo, exec_lo, s13
	v_and_b32_sdwa v32, v33, v81 dst_sel:DWORD dst_unused:UNUSED_PAD src0_sel:BYTE_3 src1_sel:DWORD
	v_lshrrev_b32_e32 v33, 20, v98
	v_min_i32_e32 v97, 15, v99
	v_cmp_gt_i32_e32 vcc_lo, 16, v99
	v_lshlrev_b32_e32 v97, 3, v97
	v_cndmask_b32_e32 v33, 7, v33, vcc_lo
	v_and_b32_e32 v97, 0xf8, v97
	v_or_b32_e32 v98, v99, v33
	v_and_b32_e32 v33, 7, v33
	v_cmp_ne_u32_e32 vcc_lo, 0, v98
	v_or3_b32 v32, v97, v32, v33
	v_cndmask_b32_e32 v32, 0, v32, vcc_lo
.LBB6_10973:                            ;   in Loop: Header=BB6_9580 Depth=2
	s_or_b32 exec_lo, exec_lo, s40
.LBB6_10974:                            ;   in Loop: Header=BB6_9580 Depth=2
	s_or_b32 exec_lo, exec_lo, s29
	v_cmp_gt_i16_sdwa s29, v10, v80 src0_sel:BYTE_3 src1_sel:DWORD
	s_mov_b32 s13, 0
	s_and_saveexec_b32 s40, s29
	s_xor_b32 s29, exec_lo, s40
	s_cbranch_execz .LBB6_11576
; %bb.10975:                            ;   in Loop: Header=BB6_9580 Depth=2
	v_cmp_eq_u16_sdwa s41, v10, v81 src0_sel:BYTE_3 src1_sel:DWORD
	s_mov_b32 s13, -1
	s_and_saveexec_b32 s40, s41
; %bb.10976:                            ;   in Loop: Header=BB6_9580 Depth=2
	s_xor_b32 s13, exec_lo, -1
; %bb.10977:                            ;   in Loop: Header=BB6_9580 Depth=2
	s_or_b32 exec_lo, exec_lo, s40
	s_and_b32 s13, s13, exec_lo
	s_or_saveexec_b32 s29, s29
	v_mov_b32_e32 v33, 0x7f800001
	s_xor_b32 exec_lo, exec_lo, s29
	s_cbranch_execnz .LBB6_11577
.LBB6_10978:                            ;   in Loop: Header=BB6_9580 Depth=2
	s_or_b32 exec_lo, exec_lo, s29
	s_and_saveexec_b32 s29, s13
	s_cbranch_execz .LBB6_10980
.LBB6_10979:                            ;   in Loop: Header=BB6_9580 Depth=2
	v_bfe_u32 v33, v10, 24, 3
	v_bfe_u32 v99, v10, 27, 4
	v_ffbh_u32_e32 v97, v33
	v_cmp_eq_u32_e32 vcc_lo, 0, v99
	v_min_u32_e32 v97, 32, v97
	v_subrev_nc_u32_e32 v98, 28, v97
	v_sub_nc_u32_e32 v97, 29, v97
	v_lshlrev_b32_sdwa v98, v98, v10 dst_sel:DWORD dst_unused:UNUSED_PAD src0_sel:DWORD src1_sel:BYTE_3
	v_cndmask_b32_e32 v97, v99, v97, vcc_lo
	v_and_b32_e32 v10, 0x80000000, v10
	v_and_b32_e32 v98, 7, v98
	v_lshl_add_u32 v97, v97, 23, 0x3b800000
	v_cndmask_b32_e32 v33, v33, v98, vcc_lo
	v_lshlrev_b32_e32 v33, 20, v33
	v_or3_b32 v33, v10, v97, v33
.LBB6_10980:                            ;   in Loop: Header=BB6_9580 Depth=2
	s_or_b32 exec_lo, exec_lo, s29
	v_mul_f32_e32 v10, s28, v33
	v_and_b32_e32 v33, 0x7f800000, v10
	v_cmp_ne_u32_e32 vcc_lo, 0x7f800000, v33
	v_mov_b32_e32 v33, 0x8000
	s_and_saveexec_b32 s29, vcc_lo
	s_cbranch_execz .LBB6_10988
; %bb.10981:                            ;   in Loop: Header=BB6_9580 Depth=2
	v_mov_b32_e32 v33, 0
	s_mov_b32 s40, exec_lo
	v_cmpx_ne_u32_e32 0, v10
	s_cbranch_execz .LBB6_10987
; %bb.10982:                            ;   in Loop: Header=BB6_9580 Depth=2
	v_bfe_u32 v97, v10, 23, 8
	v_and_b32_e32 v33, 0x7fffff, v10
	v_cmp_gt_u32_e64 s13, 0x79, v97
	v_sub_nc_u32_e32 v98, 0x78, v97
	v_cmp_eq_u32_e32 vcc_lo, 0, v97
	v_or_b32_e32 v99, 0x800000, v33
	v_cndmask_b32_e64 v98, 0, v98, s13
	v_cndmask_b32_e32 v33, v99, v33, vcc_lo
	v_cndmask_b32_e64 v98, v98, 0x77, vcc_lo
	v_lshl_add_u32 v99, 0x100000, v98, -1
	v_lshlrev_b32_e64 v100, v98, 0x80000
	v_and_b32_e32 v99, v99, v33
	v_cmp_eq_u32_e64 s13, v99, v100
	v_lshrrev_b32_e32 v99, v98, v33
	v_add_nc_u32_e32 v33, 0xffffff89, v97
	v_lshrrev_b32_e32 v97, 23, v99
	v_cndmask_b32_e64 v33, v33, 0xffffff8a, vcc_lo
	v_xor_b32_e32 v97, 1, v97
	v_add_nc_u32_e32 v33, v98, v33
	v_bfe_u32 v98, v99, 20, 1
	v_add_nc_u32_e32 v98, -1, v98
	v_cndmask_b32_e64 v98, 0, v98, s13
	s_mov_b32 s13, exec_lo
	v_add_nc_u32_e32 v98, v98, v99
	v_and_b32_e32 v98, 0xfffff, v98
	v_add_nc_u32_e32 v98, v98, v99
                                        ; implicit-def: $vgpr99
	v_cmpx_ne_u32_e64 v33, v97
	s_xor_b32 s13, exec_lo, s13
; %bb.10983:                            ;   in Loop: Header=BB6_9580 Depth=2
	v_cmp_lt_u32_e32 vcc_lo, 0xffffff, v98
	v_sub_nc_u32_e32 v33, v33, v97
	v_cndmask_b32_e64 v97, 0, 1, vcc_lo
	v_add_co_ci_u32_e64 v99, null, 0, v33, vcc_lo
	v_lshrrev_b32_e32 v98, v97, v98
; %bb.10984:                            ;   in Loop: Header=BB6_9580 Depth=2
	s_andn2_saveexec_b32 s13, s13
; %bb.10985:                            ;   in Loop: Header=BB6_9580 Depth=2
	v_bfe_u32 v99, v98, 23, 1
; %bb.10986:                            ;   in Loop: Header=BB6_9580 Depth=2
	s_or_b32 exec_lo, exec_lo, s13
	v_lshrrev_b32_e32 v33, 20, v98
	v_min_i32_e32 v97, 15, v99
	v_cmp_gt_i32_e32 vcc_lo, 16, v99
	v_and_b32_sdwa v10, v10, v81 dst_sel:DWORD dst_unused:UNUSED_PAD src0_sel:BYTE_3 src1_sel:DWORD
	v_lshlrev_b32_e32 v97, 3, v97
	v_cndmask_b32_e32 v33, 7, v33, vcc_lo
	v_and_b32_e32 v97, 0xf8, v97
	v_or_b32_e32 v98, v99, v33
	v_and_b32_e32 v33, 7, v33
	v_cmp_ne_u32_e32 vcc_lo, 0, v98
	v_or3_b32 v10, v10, v97, v33
	v_lshlrev_b32_e32 v10, 8, v10
	v_cndmask_b32_e32 v33, 0, v10, vcc_lo
.LBB6_10987:                            ;   in Loop: Header=BB6_9580 Depth=2
	s_or_b32 exec_lo, exec_lo, s40
.LBB6_10988:                            ;   in Loop: Header=BB6_9580 Depth=2
	s_or_b32 exec_lo, exec_lo, s29
	v_cmp_gt_i16_sdwa s13, v11, v80 src0_sel:BYTE_0 src1_sel:DWORD
	s_mov_b32 s29, 0
	s_and_saveexec_b32 s40, s13
	s_xor_b32 s13, exec_lo, s40
	s_cbranch_execz .LBB6_11578
; %bb.10989:                            ;   in Loop: Header=BB6_9580 Depth=2
	v_cmp_eq_u16_sdwa s41, v11, v81 src0_sel:BYTE_0 src1_sel:DWORD
	s_mov_b32 s29, -1
	s_and_saveexec_b32 s40, s41
; %bb.10990:                            ;   in Loop: Header=BB6_9580 Depth=2
	s_xor_b32 s29, exec_lo, -1
; %bb.10991:                            ;   in Loop: Header=BB6_9580 Depth=2
	s_or_b32 exec_lo, exec_lo, s40
	s_and_b32 s29, s29, exec_lo
	s_or_saveexec_b32 s13, s13
	v_mov_b32_e32 v10, 0x7f800001
	s_xor_b32 exec_lo, exec_lo, s13
	s_cbranch_execnz .LBB6_11579
.LBB6_10992:                            ;   in Loop: Header=BB6_9580 Depth=2
	s_or_b32 exec_lo, exec_lo, s13
	s_and_saveexec_b32 s13, s29
	s_cbranch_execz .LBB6_10994
.LBB6_10993:                            ;   in Loop: Header=BB6_9580 Depth=2
	v_and_b32_e32 v10, 7, v11
	v_bfe_u32 v97, v11, 3, 4
	v_ffbh_u32_e32 v98, v10
	v_cmp_eq_u32_e32 vcc_lo, 0, v97
	v_min_u32_e32 v98, 32, v98
	v_subrev_nc_u32_e32 v99, 28, v98
	v_sub_nc_u32_e32 v98, 29, v98
	v_lshlrev_b32_e32 v99, v99, v11
	v_cndmask_b32_e32 v97, v97, v98, vcc_lo
	v_lshlrev_b32_e32 v98, 24, v11
	v_and_b32_e32 v99, 7, v99
	v_lshl_add_u32 v97, v97, 23, 0x3b800000
	v_and_b32_e32 v98, 0x80000000, v98
	v_cndmask_b32_e32 v10, v10, v99, vcc_lo
	v_lshlrev_b32_e32 v10, 20, v10
	v_or3_b32 v10, v98, v97, v10
.LBB6_10994:                            ;   in Loop: Header=BB6_9580 Depth=2
	s_or_b32 exec_lo, exec_lo, s13
	v_mul_f32_e32 v10, s28, v10
	v_and_b32_e32 v97, 0x7f800000, v10
	v_cmp_ne_u32_e32 vcc_lo, 0x7f800000, v97
	v_mov_b32_e32 v97, 0x80
	s_and_saveexec_b32 s29, vcc_lo
	s_cbranch_execz .LBB6_11002
; %bb.10995:                            ;   in Loop: Header=BB6_9580 Depth=2
	v_mov_b32_e32 v97, 0
	s_mov_b32 s40, exec_lo
	v_cmpx_ne_u32_e32 0, v10
	s_cbranch_execz .LBB6_11001
; %bb.10996:                            ;   in Loop: Header=BB6_9580 Depth=2
	v_bfe_u32 v98, v10, 23, 8
	v_and_b32_e32 v97, 0x7fffff, v10
	v_cmp_gt_u32_e64 s13, 0x79, v98
	v_sub_nc_u32_e32 v99, 0x78, v98
	v_cmp_eq_u32_e32 vcc_lo, 0, v98
	v_or_b32_e32 v100, 0x800000, v97
	v_cndmask_b32_e64 v99, 0, v99, s13
	v_cndmask_b32_e32 v97, v100, v97, vcc_lo
	v_cndmask_b32_e64 v99, v99, 0x77, vcc_lo
	v_lshl_add_u32 v100, 0x100000, v99, -1
	v_lshlrev_b32_e64 v101, v99, 0x80000
	v_and_b32_e32 v100, v100, v97
	v_cmp_eq_u32_e64 s13, v100, v101
	v_lshrrev_b32_e32 v100, v99, v97
	v_add_nc_u32_e32 v97, 0xffffff89, v98
	v_lshrrev_b32_e32 v98, 23, v100
	v_cndmask_b32_e64 v97, v97, 0xffffff8a, vcc_lo
	v_xor_b32_e32 v98, 1, v98
	v_add_nc_u32_e32 v97, v99, v97
	v_bfe_u32 v99, v100, 20, 1
	v_add_nc_u32_e32 v99, -1, v99
	v_cndmask_b32_e64 v99, 0, v99, s13
	s_mov_b32 s13, exec_lo
	v_add_nc_u32_e32 v99, v99, v100
	v_and_b32_e32 v99, 0xfffff, v99
	v_add_nc_u32_e32 v99, v99, v100
                                        ; implicit-def: $vgpr100
	v_cmpx_ne_u32_e64 v97, v98
	s_xor_b32 s13, exec_lo, s13
; %bb.10997:                            ;   in Loop: Header=BB6_9580 Depth=2
	v_cmp_lt_u32_e32 vcc_lo, 0xffffff, v99
	v_sub_nc_u32_e32 v97, v97, v98
	v_cndmask_b32_e64 v98, 0, 1, vcc_lo
	v_add_co_ci_u32_e64 v100, null, 0, v97, vcc_lo
	v_lshrrev_b32_e32 v99, v98, v99
; %bb.10998:                            ;   in Loop: Header=BB6_9580 Depth=2
	s_andn2_saveexec_b32 s13, s13
; %bb.10999:                            ;   in Loop: Header=BB6_9580 Depth=2
	v_bfe_u32 v100, v99, 23, 1
; %bb.11000:                            ;   in Loop: Header=BB6_9580 Depth=2
	s_or_b32 exec_lo, exec_lo, s13
	v_lshrrev_b32_e32 v97, 20, v99
	v_min_i32_e32 v98, 15, v100
	v_cmp_gt_i32_e32 vcc_lo, 16, v100
	v_and_b32_sdwa v10, v10, v81 dst_sel:DWORD dst_unused:UNUSED_PAD src0_sel:BYTE_3 src1_sel:DWORD
	v_lshlrev_b32_e32 v98, 3, v98
	v_cndmask_b32_e32 v97, 7, v97, vcc_lo
	v_and_b32_e32 v98, 0xf8, v98
	v_or_b32_e32 v99, v100, v97
	v_and_b32_e32 v97, 7, v97
	v_cmp_ne_u32_e32 vcc_lo, 0, v99
	v_or3_b32 v10, v98, v10, v97
	v_cndmask_b32_e32 v97, 0, v10, vcc_lo
.LBB6_11001:                            ;   in Loop: Header=BB6_9580 Depth=2
	s_or_b32 exec_lo, exec_lo, s40
.LBB6_11002:                            ;   in Loop: Header=BB6_9580 Depth=2
	s_or_b32 exec_lo, exec_lo, s29
	v_cmp_gt_i16_sdwa s29, v11, v80 src0_sel:BYTE_1 src1_sel:DWORD
	s_mov_b32 s13, 0
	s_and_saveexec_b32 s40, s29
	s_xor_b32 s29, exec_lo, s40
	s_cbranch_execz .LBB6_11580
; %bb.11003:                            ;   in Loop: Header=BB6_9580 Depth=2
	v_cmp_eq_u16_sdwa s41, v11, v81 src0_sel:BYTE_1 src1_sel:DWORD
	s_mov_b32 s13, -1
	s_and_saveexec_b32 s40, s41
; %bb.11004:                            ;   in Loop: Header=BB6_9580 Depth=2
	s_xor_b32 s13, exec_lo, -1
; %bb.11005:                            ;   in Loop: Header=BB6_9580 Depth=2
	s_or_b32 exec_lo, exec_lo, s40
	s_and_b32 s13, s13, exec_lo
	s_or_saveexec_b32 s29, s29
	v_mov_b32_e32 v10, 0x7f800001
	s_xor_b32 exec_lo, exec_lo, s29
	s_cbranch_execnz .LBB6_11581
.LBB6_11006:                            ;   in Loop: Header=BB6_9580 Depth=2
	s_or_b32 exec_lo, exec_lo, s29
	s_and_saveexec_b32 s29, s13
	s_cbranch_execz .LBB6_11008
.LBB6_11007:                            ;   in Loop: Header=BB6_9580 Depth=2
	v_and_b32_sdwa v10, v82, v11 dst_sel:DWORD dst_unused:UNUSED_PAD src0_sel:DWORD src1_sel:BYTE_1
	v_and_b32_e32 v98, 7, v10
	v_bfe_u32 v101, v10, 3, 4
	v_ffbh_u32_e32 v99, v98
	v_cmp_eq_u32_e32 vcc_lo, 0, v101
	v_min_u32_e32 v99, 32, v99
	v_subrev_nc_u32_e32 v100, 28, v99
	v_sub_nc_u32_e32 v99, 29, v99
	v_lshlrev_b32_e32 v10, v100, v10
	v_lshlrev_b32_sdwa v100, v83, v11 dst_sel:DWORD dst_unused:UNUSED_PAD src0_sel:DWORD src1_sel:BYTE_1
	v_cndmask_b32_e32 v99, v101, v99, vcc_lo
	v_and_b32_e32 v10, 7, v10
	v_lshl_add_u32 v99, v99, 23, 0x3b800000
	v_cndmask_b32_e32 v10, v98, v10, vcc_lo
	v_and_b32_e32 v98, 0x80000000, v100
	v_lshlrev_b32_e32 v10, 20, v10
	v_or3_b32 v10, v98, v99, v10
.LBB6_11008:                            ;   in Loop: Header=BB6_9580 Depth=2
	s_or_b32 exec_lo, exec_lo, s29
	v_mul_f32_e32 v10, s28, v10
	v_and_b32_e32 v98, 0x7f800000, v10
	v_cmp_ne_u32_e32 vcc_lo, 0x7f800000, v98
	v_mov_b32_e32 v98, 0x8000
	s_and_saveexec_b32 s29, vcc_lo
	s_cbranch_execz .LBB6_11016
; %bb.11009:                            ;   in Loop: Header=BB6_9580 Depth=2
	v_mov_b32_e32 v98, 0
	s_mov_b32 s40, exec_lo
	v_cmpx_ne_u32_e32 0, v10
	s_cbranch_execz .LBB6_11015
; %bb.11010:                            ;   in Loop: Header=BB6_9580 Depth=2
	v_bfe_u32 v99, v10, 23, 8
	v_and_b32_e32 v98, 0x7fffff, v10
	v_cmp_gt_u32_e64 s13, 0x79, v99
	v_sub_nc_u32_e32 v100, 0x78, v99
	v_cmp_eq_u32_e32 vcc_lo, 0, v99
	v_or_b32_e32 v101, 0x800000, v98
	v_cndmask_b32_e64 v100, 0, v100, s13
	v_cndmask_b32_e32 v98, v101, v98, vcc_lo
	v_cndmask_b32_e64 v100, v100, 0x77, vcc_lo
	v_lshl_add_u32 v101, 0x100000, v100, -1
	v_lshlrev_b32_e64 v102, v100, 0x80000
	v_and_b32_e32 v101, v101, v98
	v_cmp_eq_u32_e64 s13, v101, v102
	v_lshrrev_b32_e32 v101, v100, v98
	v_add_nc_u32_e32 v98, 0xffffff89, v99
	v_lshrrev_b32_e32 v99, 23, v101
	v_cndmask_b32_e64 v98, v98, 0xffffff8a, vcc_lo
	v_xor_b32_e32 v99, 1, v99
	v_add_nc_u32_e32 v98, v100, v98
	v_bfe_u32 v100, v101, 20, 1
	v_add_nc_u32_e32 v100, -1, v100
	v_cndmask_b32_e64 v100, 0, v100, s13
	s_mov_b32 s13, exec_lo
	v_add_nc_u32_e32 v100, v100, v101
	v_and_b32_e32 v100, 0xfffff, v100
	v_add_nc_u32_e32 v100, v100, v101
                                        ; implicit-def: $vgpr101
	v_cmpx_ne_u32_e64 v98, v99
	s_xor_b32 s13, exec_lo, s13
; %bb.11011:                            ;   in Loop: Header=BB6_9580 Depth=2
	v_cmp_lt_u32_e32 vcc_lo, 0xffffff, v100
	v_sub_nc_u32_e32 v98, v98, v99
	v_cndmask_b32_e64 v99, 0, 1, vcc_lo
	v_add_co_ci_u32_e64 v101, null, 0, v98, vcc_lo
	v_lshrrev_b32_e32 v100, v99, v100
; %bb.11012:                            ;   in Loop: Header=BB6_9580 Depth=2
	s_andn2_saveexec_b32 s13, s13
; %bb.11013:                            ;   in Loop: Header=BB6_9580 Depth=2
	v_bfe_u32 v101, v100, 23, 1
; %bb.11014:                            ;   in Loop: Header=BB6_9580 Depth=2
	s_or_b32 exec_lo, exec_lo, s13
	v_lshrrev_b32_e32 v98, 20, v100
	v_min_i32_e32 v99, 15, v101
	v_cmp_gt_i32_e32 vcc_lo, 16, v101
	v_and_b32_sdwa v10, v10, v81 dst_sel:DWORD dst_unused:UNUSED_PAD src0_sel:BYTE_3 src1_sel:DWORD
	v_lshlrev_b32_e32 v99, 3, v99
	v_cndmask_b32_e32 v98, 7, v98, vcc_lo
	v_and_b32_e32 v99, 0xf8, v99
	v_or_b32_e32 v100, v101, v98
	v_and_b32_e32 v98, 7, v98
	v_cmp_ne_u32_e32 vcc_lo, 0, v100
	v_or3_b32 v10, v10, v99, v98
	v_lshlrev_b32_e32 v10, 8, v10
	v_cndmask_b32_e32 v98, 0, v10, vcc_lo
.LBB6_11015:                            ;   in Loop: Header=BB6_9580 Depth=2
	s_or_b32 exec_lo, exec_lo, s40
.LBB6_11016:                            ;   in Loop: Header=BB6_9580 Depth=2
	s_or_b32 exec_lo, exec_lo, s29
	v_and_b32_sdwa v99, v11, v86 dst_sel:DWORD dst_unused:UNUSED_PAD src0_sel:WORD_1 src1_sel:DWORD
	s_mov_b32 s29, 0
	s_mov_b32 s13, exec_lo
	v_cmpx_lt_i16_e32 0x7f, v99
	s_xor_b32 s13, exec_lo, s13
	s_cbranch_execz .LBB6_11582
; %bb.11017:                            ;   in Loop: Header=BB6_9580 Depth=2
	s_mov_b32 s29, -1
	s_mov_b32 s40, exec_lo
	v_cmpx_eq_u16_e32 0x80, v99
; %bb.11018:                            ;   in Loop: Header=BB6_9580 Depth=2
	s_xor_b32 s29, exec_lo, -1
; %bb.11019:                            ;   in Loop: Header=BB6_9580 Depth=2
	s_or_b32 exec_lo, exec_lo, s40
	s_and_b32 s29, s29, exec_lo
                                        ; implicit-def: $vgpr99
	s_or_saveexec_b32 s13, s13
	v_mov_b32_e32 v10, 0x7f800001
	s_xor_b32 exec_lo, exec_lo, s13
	s_cbranch_execnz .LBB6_11583
.LBB6_11020:                            ;   in Loop: Header=BB6_9580 Depth=2
	s_or_b32 exec_lo, exec_lo, s13
	s_and_saveexec_b32 s13, s29
	s_cbranch_execz .LBB6_11022
.LBB6_11021:                            ;   in Loop: Header=BB6_9580 Depth=2
	v_bfe_u32 v10, v11, 16, 3
	v_bfe_u32 v99, v11, 19, 4
	v_ffbh_u32_e32 v100, v10
	v_cmp_eq_u32_e32 vcc_lo, 0, v99
	v_min_u32_e32 v100, 32, v100
	v_subrev_nc_u32_e32 v101, 28, v100
	v_sub_nc_u32_e32 v100, 29, v100
	v_lshlrev_b32_sdwa v101, v101, v11 dst_sel:DWORD dst_unused:UNUSED_PAD src0_sel:DWORD src1_sel:WORD_1
	v_cndmask_b32_e32 v99, v99, v100, vcc_lo
	v_lshlrev_b32_e32 v100, 8, v11
	v_and_b32_e32 v101, 7, v101
	v_lshl_add_u32 v99, v99, 23, 0x3b800000
	v_and_b32_e32 v100, 0x80000000, v100
	v_cndmask_b32_e32 v10, v10, v101, vcc_lo
	v_lshlrev_b32_e32 v10, 20, v10
	v_or3_b32 v10, v100, v99, v10
.LBB6_11022:                            ;   in Loop: Header=BB6_9580 Depth=2
	s_or_b32 exec_lo, exec_lo, s13
	v_mul_f32_e32 v10, s28, v10
	v_and_b32_e32 v99, 0x7f800000, v10
	v_cmp_ne_u32_e32 vcc_lo, 0x7f800000, v99
	v_mov_b32_e32 v99, 0x80
	s_and_saveexec_b32 s29, vcc_lo
	s_cbranch_execz .LBB6_11030
; %bb.11023:                            ;   in Loop: Header=BB6_9580 Depth=2
	v_mov_b32_e32 v99, 0
	s_mov_b32 s40, exec_lo
	v_cmpx_ne_u32_e32 0, v10
	s_cbranch_execz .LBB6_11029
; %bb.11024:                            ;   in Loop: Header=BB6_9580 Depth=2
	v_bfe_u32 v100, v10, 23, 8
	v_and_b32_e32 v99, 0x7fffff, v10
	v_cmp_gt_u32_e64 s13, 0x79, v100
	v_sub_nc_u32_e32 v101, 0x78, v100
	v_cmp_eq_u32_e32 vcc_lo, 0, v100
	v_or_b32_e32 v102, 0x800000, v99
	v_cndmask_b32_e64 v101, 0, v101, s13
	v_cndmask_b32_e32 v99, v102, v99, vcc_lo
	v_cndmask_b32_e64 v101, v101, 0x77, vcc_lo
	v_lshl_add_u32 v102, 0x100000, v101, -1
	v_lshlrev_b32_e64 v103, v101, 0x80000
	v_and_b32_e32 v102, v102, v99
	v_cmp_eq_u32_e64 s13, v102, v103
	v_lshrrev_b32_e32 v102, v101, v99
	v_add_nc_u32_e32 v99, 0xffffff89, v100
	v_lshrrev_b32_e32 v100, 23, v102
	v_cndmask_b32_e64 v99, v99, 0xffffff8a, vcc_lo
	v_xor_b32_e32 v100, 1, v100
	v_add_nc_u32_e32 v99, v101, v99
	v_bfe_u32 v101, v102, 20, 1
	v_add_nc_u32_e32 v101, -1, v101
	v_cndmask_b32_e64 v101, 0, v101, s13
	s_mov_b32 s13, exec_lo
	v_add_nc_u32_e32 v101, v101, v102
	v_and_b32_e32 v101, 0xfffff, v101
	v_add_nc_u32_e32 v101, v101, v102
                                        ; implicit-def: $vgpr102
	v_cmpx_ne_u32_e64 v99, v100
	s_xor_b32 s13, exec_lo, s13
; %bb.11025:                            ;   in Loop: Header=BB6_9580 Depth=2
	v_cmp_lt_u32_e32 vcc_lo, 0xffffff, v101
	v_sub_nc_u32_e32 v99, v99, v100
	v_cndmask_b32_e64 v100, 0, 1, vcc_lo
	v_add_co_ci_u32_e64 v102, null, 0, v99, vcc_lo
	v_lshrrev_b32_e32 v101, v100, v101
; %bb.11026:                            ;   in Loop: Header=BB6_9580 Depth=2
	s_andn2_saveexec_b32 s13, s13
; %bb.11027:                            ;   in Loop: Header=BB6_9580 Depth=2
	v_bfe_u32 v102, v101, 23, 1
; %bb.11028:                            ;   in Loop: Header=BB6_9580 Depth=2
	s_or_b32 exec_lo, exec_lo, s13
	v_lshrrev_b32_e32 v99, 20, v101
	v_min_i32_e32 v100, 15, v102
	v_cmp_gt_i32_e32 vcc_lo, 16, v102
	v_and_b32_sdwa v10, v10, v81 dst_sel:DWORD dst_unused:UNUSED_PAD src0_sel:BYTE_3 src1_sel:DWORD
	v_lshlrev_b32_e32 v100, 3, v100
	v_cndmask_b32_e32 v99, 7, v99, vcc_lo
	v_and_b32_e32 v100, 0xf8, v100
	v_or_b32_e32 v101, v102, v99
	v_and_b32_e32 v99, 7, v99
	v_cmp_ne_u32_e32 vcc_lo, 0, v101
	v_or3_b32 v10, v100, v10, v99
	v_cndmask_b32_e32 v99, 0, v10, vcc_lo
.LBB6_11029:                            ;   in Loop: Header=BB6_9580 Depth=2
	s_or_b32 exec_lo, exec_lo, s40
.LBB6_11030:                            ;   in Loop: Header=BB6_9580 Depth=2
	s_or_b32 exec_lo, exec_lo, s29
	v_cmp_gt_i16_sdwa s29, v11, v80 src0_sel:BYTE_3 src1_sel:DWORD
	s_mov_b32 s13, 0
	s_and_saveexec_b32 s40, s29
	s_xor_b32 s29, exec_lo, s40
	s_cbranch_execz .LBB6_11584
; %bb.11031:                            ;   in Loop: Header=BB6_9580 Depth=2
	v_cmp_eq_u16_sdwa s41, v11, v81 src0_sel:BYTE_3 src1_sel:DWORD
	s_mov_b32 s13, -1
	s_and_saveexec_b32 s40, s41
; %bb.11032:                            ;   in Loop: Header=BB6_9580 Depth=2
	s_xor_b32 s13, exec_lo, -1
; %bb.11033:                            ;   in Loop: Header=BB6_9580 Depth=2
	s_or_b32 exec_lo, exec_lo, s40
	s_and_b32 s13, s13, exec_lo
	s_or_saveexec_b32 s29, s29
	v_mov_b32_e32 v10, 0x7f800001
	s_xor_b32 exec_lo, exec_lo, s29
	s_cbranch_execnz .LBB6_11585
.LBB6_11034:                            ;   in Loop: Header=BB6_9580 Depth=2
	s_or_b32 exec_lo, exec_lo, s29
	s_and_saveexec_b32 s29, s13
	s_cbranch_execz .LBB6_11036
.LBB6_11035:                            ;   in Loop: Header=BB6_9580 Depth=2
	v_bfe_u32 v10, v11, 24, 3
	v_bfe_u32 v102, v11, 27, 4
	v_ffbh_u32_e32 v100, v10
	v_cmp_eq_u32_e32 vcc_lo, 0, v102
	v_min_u32_e32 v100, 32, v100
	v_subrev_nc_u32_e32 v101, 28, v100
	v_sub_nc_u32_e32 v100, 29, v100
	v_lshlrev_b32_sdwa v101, v101, v11 dst_sel:DWORD dst_unused:UNUSED_PAD src0_sel:DWORD src1_sel:BYTE_3
	v_cndmask_b32_e32 v100, v102, v100, vcc_lo
	v_and_b32_e32 v11, 0x80000000, v11
	v_and_b32_e32 v101, 7, v101
	v_lshl_add_u32 v100, v100, 23, 0x3b800000
	v_cndmask_b32_e32 v10, v10, v101, vcc_lo
	v_lshlrev_b32_e32 v10, 20, v10
	v_or3_b32 v10, v11, v100, v10
.LBB6_11036:                            ;   in Loop: Header=BB6_9580 Depth=2
	s_or_b32 exec_lo, exec_lo, s29
	v_mul_f32_e32 v10, s28, v10
	v_mov_b32_e32 v100, 0x8000
	s_mov_b32 s29, exec_lo
	v_and_b32_e32 v11, 0x7f800000, v10
	v_cmpx_ne_u32_e32 0x7f800000, v11
	s_cbranch_execz .LBB6_11044
; %bb.11037:                            ;   in Loop: Header=BB6_9580 Depth=2
	v_mov_b32_e32 v100, 0
	s_mov_b32 s40, exec_lo
	v_cmpx_ne_u32_e32 0, v10
	s_cbranch_execz .LBB6_11043
; %bb.11038:                            ;   in Loop: Header=BB6_9580 Depth=2
	v_bfe_u32 v100, v10, 23, 8
	v_and_b32_e32 v11, 0x7fffff, v10
	v_cmp_gt_u32_e64 s13, 0x79, v100
	v_sub_nc_u32_e32 v101, 0x78, v100
	v_cmp_eq_u32_e32 vcc_lo, 0, v100
	v_or_b32_e32 v102, 0x800000, v11
	v_cndmask_b32_e64 v101, 0, v101, s13
	v_cndmask_b32_e32 v11, v102, v11, vcc_lo
	v_cndmask_b32_e64 v101, v101, 0x77, vcc_lo
	v_lshl_add_u32 v102, 0x100000, v101, -1
	v_lshlrev_b32_e64 v103, v101, 0x80000
	v_and_b32_e32 v102, v102, v11
	v_cmp_eq_u32_e64 s13, v102, v103
	v_lshrrev_b32_e32 v102, v101, v11
	v_add_nc_u32_e32 v11, 0xffffff89, v100
	v_lshrrev_b32_e32 v100, 23, v102
	v_cndmask_b32_e64 v11, v11, 0xffffff8a, vcc_lo
	v_xor_b32_e32 v100, 1, v100
	v_add_nc_u32_e32 v11, v101, v11
	v_bfe_u32 v101, v102, 20, 1
	v_add_nc_u32_e32 v101, -1, v101
	v_cndmask_b32_e64 v101, 0, v101, s13
	s_mov_b32 s13, exec_lo
	v_add_nc_u32_e32 v101, v101, v102
	v_and_b32_e32 v101, 0xfffff, v101
	v_add_nc_u32_e32 v101, v101, v102
                                        ; implicit-def: $vgpr102
	v_cmpx_ne_u32_e64 v11, v100
	s_xor_b32 s13, exec_lo, s13
; %bb.11039:                            ;   in Loop: Header=BB6_9580 Depth=2
	v_cmp_lt_u32_e32 vcc_lo, 0xffffff, v101
	v_sub_nc_u32_e32 v11, v11, v100
	v_cndmask_b32_e64 v100, 0, 1, vcc_lo
	v_add_co_ci_u32_e64 v102, null, 0, v11, vcc_lo
	v_lshrrev_b32_e32 v101, v100, v101
; %bb.11040:                            ;   in Loop: Header=BB6_9580 Depth=2
	s_andn2_saveexec_b32 s13, s13
; %bb.11041:                            ;   in Loop: Header=BB6_9580 Depth=2
	v_bfe_u32 v102, v101, 23, 1
; %bb.11042:                            ;   in Loop: Header=BB6_9580 Depth=2
	s_or_b32 exec_lo, exec_lo, s13
	v_lshrrev_b32_e32 v11, 20, v101
	v_min_i32_e32 v100, 15, v102
	v_cmp_gt_i32_e32 vcc_lo, 16, v102
	v_and_b32_sdwa v10, v10, v81 dst_sel:DWORD dst_unused:UNUSED_PAD src0_sel:BYTE_3 src1_sel:DWORD
	v_lshlrev_b32_e32 v100, 3, v100
	v_cndmask_b32_e32 v11, 7, v11, vcc_lo
	v_and_b32_e32 v100, 0xf8, v100
	v_or_b32_e32 v101, v102, v11
	v_and_b32_e32 v11, 7, v11
	v_cmp_ne_u32_e32 vcc_lo, 0, v101
	v_or3_b32 v10, v10, v100, v11
	v_lshlrev_b32_e32 v10, 8, v10
	v_cndmask_b32_e32 v100, 0, v10, vcc_lo
.LBB6_11043:                            ;   in Loop: Header=BB6_9580 Depth=2
	s_or_b32 exec_lo, exec_lo, s40
.LBB6_11044:                            ;   in Loop: Header=BB6_9580 Depth=2
	s_or_b32 exec_lo, exec_lo, s29
	v_cmp_gt_i16_sdwa s13, v12, v80 src0_sel:BYTE_0 src1_sel:DWORD
	s_mov_b32 s29, 0
	s_and_saveexec_b32 s40, s13
	s_xor_b32 s13, exec_lo, s40
	s_cbranch_execz .LBB6_11586
; %bb.11045:                            ;   in Loop: Header=BB6_9580 Depth=2
	v_cmp_eq_u16_sdwa s41, v12, v81 src0_sel:BYTE_0 src1_sel:DWORD
	s_mov_b32 s29, -1
	s_and_saveexec_b32 s40, s41
; %bb.11046:                            ;   in Loop: Header=BB6_9580 Depth=2
	s_xor_b32 s29, exec_lo, -1
; %bb.11047:                            ;   in Loop: Header=BB6_9580 Depth=2
	s_or_b32 exec_lo, exec_lo, s40
	s_and_b32 s29, s29, exec_lo
	s_or_saveexec_b32 s13, s13
	v_mov_b32_e32 v10, 0x7f800001
	s_xor_b32 exec_lo, exec_lo, s13
	s_cbranch_execnz .LBB6_11587
.LBB6_11048:                            ;   in Loop: Header=BB6_9580 Depth=2
	s_or_b32 exec_lo, exec_lo, s13
	s_and_saveexec_b32 s13, s29
	s_cbranch_execz .LBB6_11050
.LBB6_11049:                            ;   in Loop: Header=BB6_9580 Depth=2
	v_and_b32_e32 v10, 7, v12
	v_bfe_u32 v11, v12, 3, 4
	v_ffbh_u32_e32 v101, v10
	v_cmp_eq_u32_e32 vcc_lo, 0, v11
	v_min_u32_e32 v101, 32, v101
	v_subrev_nc_u32_e32 v102, 28, v101
	v_sub_nc_u32_e32 v101, 29, v101
	v_lshlrev_b32_e32 v102, v102, v12
	v_cndmask_b32_e32 v11, v11, v101, vcc_lo
	v_lshlrev_b32_e32 v101, 24, v12
	v_and_b32_e32 v102, 7, v102
	v_lshl_add_u32 v11, v11, 23, 0x3b800000
	v_and_b32_e32 v101, 0x80000000, v101
	v_cndmask_b32_e32 v10, v10, v102, vcc_lo
	v_lshlrev_b32_e32 v10, 20, v10
	v_or3_b32 v10, v101, v11, v10
.LBB6_11050:                            ;   in Loop: Header=BB6_9580 Depth=2
	s_or_b32 exec_lo, exec_lo, s13
	v_mul_f32_e32 v10, s28, v10
	v_mov_b32_e32 v101, 0x80
	s_mov_b32 s29, exec_lo
	v_and_b32_e32 v11, 0x7f800000, v10
	v_cmpx_ne_u32_e32 0x7f800000, v11
	s_cbranch_execz .LBB6_11058
; %bb.11051:                            ;   in Loop: Header=BB6_9580 Depth=2
	v_mov_b32_e32 v101, 0
	s_mov_b32 s40, exec_lo
	v_cmpx_ne_u32_e32 0, v10
	s_cbranch_execz .LBB6_11057
; %bb.11052:                            ;   in Loop: Header=BB6_9580 Depth=2
	v_bfe_u32 v101, v10, 23, 8
	v_and_b32_e32 v11, 0x7fffff, v10
	v_cmp_gt_u32_e64 s13, 0x79, v101
	v_sub_nc_u32_e32 v102, 0x78, v101
	v_cmp_eq_u32_e32 vcc_lo, 0, v101
	v_or_b32_e32 v103, 0x800000, v11
	v_cndmask_b32_e64 v102, 0, v102, s13
	v_cndmask_b32_e32 v11, v103, v11, vcc_lo
	v_cndmask_b32_e64 v102, v102, 0x77, vcc_lo
	v_lshl_add_u32 v103, 0x100000, v102, -1
	v_lshlrev_b32_e64 v112, v102, 0x80000
	v_and_b32_e32 v103, v103, v11
	v_cmp_eq_u32_e64 s13, v103, v112
	v_lshrrev_b32_e32 v103, v102, v11
	v_add_nc_u32_e32 v11, 0xffffff89, v101
	v_lshrrev_b32_e32 v101, 23, v103
	v_cndmask_b32_e64 v11, v11, 0xffffff8a, vcc_lo
	v_xor_b32_e32 v101, 1, v101
	v_add_nc_u32_e32 v11, v102, v11
	v_bfe_u32 v102, v103, 20, 1
	v_add_nc_u32_e32 v102, -1, v102
	v_cndmask_b32_e64 v102, 0, v102, s13
	s_mov_b32 s13, exec_lo
	v_add_nc_u32_e32 v102, v102, v103
	v_and_b32_e32 v102, 0xfffff, v102
	v_add_nc_u32_e32 v102, v102, v103
                                        ; implicit-def: $vgpr103
	v_cmpx_ne_u32_e64 v11, v101
	s_xor_b32 s13, exec_lo, s13
; %bb.11053:                            ;   in Loop: Header=BB6_9580 Depth=2
	v_cmp_lt_u32_e32 vcc_lo, 0xffffff, v102
	v_sub_nc_u32_e32 v11, v11, v101
	v_cndmask_b32_e64 v101, 0, 1, vcc_lo
	v_add_co_ci_u32_e64 v103, null, 0, v11, vcc_lo
	v_lshrrev_b32_e32 v102, v101, v102
; %bb.11054:                            ;   in Loop: Header=BB6_9580 Depth=2
	s_andn2_saveexec_b32 s13, s13
; %bb.11055:                            ;   in Loop: Header=BB6_9580 Depth=2
	v_bfe_u32 v103, v102, 23, 1
; %bb.11056:                            ;   in Loop: Header=BB6_9580 Depth=2
	s_or_b32 exec_lo, exec_lo, s13
	v_lshrrev_b32_e32 v11, 20, v102
	v_min_i32_e32 v101, 15, v103
	v_cmp_gt_i32_e32 vcc_lo, 16, v103
	v_and_b32_sdwa v10, v10, v81 dst_sel:DWORD dst_unused:UNUSED_PAD src0_sel:BYTE_3 src1_sel:DWORD
	v_lshlrev_b32_e32 v101, 3, v101
	v_cndmask_b32_e32 v11, 7, v11, vcc_lo
	v_and_b32_e32 v101, 0xf8, v101
	v_or_b32_e32 v102, v103, v11
	v_and_b32_e32 v11, 7, v11
	v_cmp_ne_u32_e32 vcc_lo, 0, v102
	v_or3_b32 v10, v101, v10, v11
	v_cndmask_b32_e32 v101, 0, v10, vcc_lo
.LBB6_11057:                            ;   in Loop: Header=BB6_9580 Depth=2
	s_or_b32 exec_lo, exec_lo, s40
.LBB6_11058:                            ;   in Loop: Header=BB6_9580 Depth=2
	s_or_b32 exec_lo, exec_lo, s29
	v_cmp_gt_i16_sdwa s29, v12, v80 src0_sel:BYTE_1 src1_sel:DWORD
	s_mov_b32 s13, 0
	s_and_saveexec_b32 s40, s29
	s_xor_b32 s29, exec_lo, s40
	s_cbranch_execz .LBB6_11588
; %bb.11059:                            ;   in Loop: Header=BB6_9580 Depth=2
	v_cmp_eq_u16_sdwa s41, v12, v81 src0_sel:BYTE_1 src1_sel:DWORD
	s_mov_b32 s13, -1
	s_and_saveexec_b32 s40, s41
; %bb.11060:                            ;   in Loop: Header=BB6_9580 Depth=2
	s_xor_b32 s13, exec_lo, -1
; %bb.11061:                            ;   in Loop: Header=BB6_9580 Depth=2
	s_or_b32 exec_lo, exec_lo, s40
	s_and_b32 s13, s13, exec_lo
	s_or_saveexec_b32 s29, s29
	v_mov_b32_e32 v10, 0x7f800001
	s_xor_b32 exec_lo, exec_lo, s29
	s_cbranch_execnz .LBB6_11589
.LBB6_11062:                            ;   in Loop: Header=BB6_9580 Depth=2
	s_or_b32 exec_lo, exec_lo, s29
	s_and_saveexec_b32 s29, s13
	s_cbranch_execz .LBB6_11064
.LBB6_11063:                            ;   in Loop: Header=BB6_9580 Depth=2
	v_and_b32_sdwa v10, v82, v12 dst_sel:DWORD dst_unused:UNUSED_PAD src0_sel:DWORD src1_sel:BYTE_1
	v_and_b32_e32 v11, 7, v10
	v_bfe_u32 v112, v10, 3, 4
	v_ffbh_u32_e32 v102, v11
	v_cmp_eq_u32_e32 vcc_lo, 0, v112
	v_min_u32_e32 v102, 32, v102
	v_subrev_nc_u32_e32 v103, 28, v102
	v_sub_nc_u32_e32 v102, 29, v102
	v_lshlrev_b32_e32 v10, v103, v10
	v_lshlrev_b32_sdwa v103, v83, v12 dst_sel:DWORD dst_unused:UNUSED_PAD src0_sel:DWORD src1_sel:BYTE_1
	v_cndmask_b32_e32 v102, v112, v102, vcc_lo
	v_and_b32_e32 v10, 7, v10
	v_lshl_add_u32 v102, v102, 23, 0x3b800000
	v_cndmask_b32_e32 v10, v11, v10, vcc_lo
	v_and_b32_e32 v11, 0x80000000, v103
	v_lshlrev_b32_e32 v10, 20, v10
	v_or3_b32 v10, v11, v102, v10
.LBB6_11064:                            ;   in Loop: Header=BB6_9580 Depth=2
	s_or_b32 exec_lo, exec_lo, s29
	v_mul_f32_e32 v10, s28, v10
	v_mov_b32_e32 v102, 0x8000
	s_mov_b32 s29, exec_lo
	v_and_b32_e32 v11, 0x7f800000, v10
	v_cmpx_ne_u32_e32 0x7f800000, v11
	s_cbranch_execz .LBB6_11072
; %bb.11065:                            ;   in Loop: Header=BB6_9580 Depth=2
	v_mov_b32_e32 v102, 0
	s_mov_b32 s40, exec_lo
	v_cmpx_ne_u32_e32 0, v10
	s_cbranch_execz .LBB6_11071
; %bb.11066:                            ;   in Loop: Header=BB6_9580 Depth=2
	v_bfe_u32 v102, v10, 23, 8
	v_and_b32_e32 v11, 0x7fffff, v10
	v_cmp_gt_u32_e64 s13, 0x79, v102
	v_sub_nc_u32_e32 v103, 0x78, v102
	v_cmp_eq_u32_e32 vcc_lo, 0, v102
	v_or_b32_e32 v112, 0x800000, v11
	v_cndmask_b32_e64 v103, 0, v103, s13
	v_cndmask_b32_e32 v11, v112, v11, vcc_lo
	v_cndmask_b32_e64 v103, v103, 0x77, vcc_lo
	v_lshl_add_u32 v112, 0x100000, v103, -1
	v_lshlrev_b32_e64 v113, v103, 0x80000
	v_and_b32_e32 v112, v112, v11
	v_cmp_eq_u32_e64 s13, v112, v113
	v_lshrrev_b32_e32 v112, v103, v11
	v_add_nc_u32_e32 v11, 0xffffff89, v102
	v_lshrrev_b32_e32 v102, 23, v112
	v_cndmask_b32_e64 v11, v11, 0xffffff8a, vcc_lo
	v_xor_b32_e32 v102, 1, v102
	v_add_nc_u32_e32 v11, v103, v11
	v_bfe_u32 v103, v112, 20, 1
	v_add_nc_u32_e32 v103, -1, v103
	v_cndmask_b32_e64 v103, 0, v103, s13
	s_mov_b32 s13, exec_lo
	v_add_nc_u32_e32 v103, v103, v112
	v_and_b32_e32 v103, 0xfffff, v103
	v_add_nc_u32_e32 v103, v103, v112
                                        ; implicit-def: $vgpr112
	v_cmpx_ne_u32_e64 v11, v102
	s_xor_b32 s13, exec_lo, s13
; %bb.11067:                            ;   in Loop: Header=BB6_9580 Depth=2
	v_cmp_lt_u32_e32 vcc_lo, 0xffffff, v103
	v_sub_nc_u32_e32 v11, v11, v102
	v_cndmask_b32_e64 v102, 0, 1, vcc_lo
	v_add_co_ci_u32_e64 v112, null, 0, v11, vcc_lo
	v_lshrrev_b32_e32 v103, v102, v103
; %bb.11068:                            ;   in Loop: Header=BB6_9580 Depth=2
	s_andn2_saveexec_b32 s13, s13
; %bb.11069:                            ;   in Loop: Header=BB6_9580 Depth=2
	v_bfe_u32 v112, v103, 23, 1
; %bb.11070:                            ;   in Loop: Header=BB6_9580 Depth=2
	s_or_b32 exec_lo, exec_lo, s13
	v_lshrrev_b32_e32 v11, 20, v103
	v_min_i32_e32 v102, 15, v112
	v_cmp_gt_i32_e32 vcc_lo, 16, v112
	v_and_b32_sdwa v10, v10, v81 dst_sel:DWORD dst_unused:UNUSED_PAD src0_sel:BYTE_3 src1_sel:DWORD
	v_lshlrev_b32_e32 v102, 3, v102
	v_cndmask_b32_e32 v11, 7, v11, vcc_lo
	v_and_b32_e32 v102, 0xf8, v102
	v_or_b32_e32 v103, v112, v11
	v_and_b32_e32 v11, 7, v11
	v_cmp_ne_u32_e32 vcc_lo, 0, v103
	v_or3_b32 v10, v10, v102, v11
	v_lshlrev_b32_e32 v10, 8, v10
	v_cndmask_b32_e32 v102, 0, v10, vcc_lo
.LBB6_11071:                            ;   in Loop: Header=BB6_9580 Depth=2
	s_or_b32 exec_lo, exec_lo, s40
.LBB6_11072:                            ;   in Loop: Header=BB6_9580 Depth=2
	s_or_b32 exec_lo, exec_lo, s29
	v_and_b32_sdwa v11, v12, v86 dst_sel:DWORD dst_unused:UNUSED_PAD src0_sel:WORD_1 src1_sel:DWORD
	s_mov_b32 s29, 0
	s_mov_b32 s13, exec_lo
	v_cmpx_lt_i16_e32 0x7f, v11
	s_xor_b32 s13, exec_lo, s13
	s_cbranch_execz .LBB6_11590
; %bb.11073:                            ;   in Loop: Header=BB6_9580 Depth=2
	s_mov_b32 s29, -1
	s_mov_b32 s40, exec_lo
	v_cmpx_eq_u16_e32 0x80, v11
; %bb.11074:                            ;   in Loop: Header=BB6_9580 Depth=2
	s_xor_b32 s29, exec_lo, -1
; %bb.11075:                            ;   in Loop: Header=BB6_9580 Depth=2
	s_or_b32 exec_lo, exec_lo, s40
	s_and_b32 s29, s29, exec_lo
                                        ; implicit-def: $vgpr11
	s_or_saveexec_b32 s13, s13
	v_mov_b32_e32 v10, 0x7f800001
	s_xor_b32 exec_lo, exec_lo, s13
	s_cbranch_execnz .LBB6_11591
.LBB6_11076:                            ;   in Loop: Header=BB6_9580 Depth=2
	s_or_b32 exec_lo, exec_lo, s13
	s_and_saveexec_b32 s13, s29
	s_cbranch_execz .LBB6_11078
.LBB6_11077:                            ;   in Loop: Header=BB6_9580 Depth=2
	v_bfe_u32 v10, v12, 16, 3
	v_bfe_u32 v11, v12, 19, 4
	v_ffbh_u32_e32 v103, v10
	v_cmp_eq_u32_e32 vcc_lo, 0, v11
	v_min_u32_e32 v103, 32, v103
	v_subrev_nc_u32_e32 v112, 28, v103
	v_sub_nc_u32_e32 v103, 29, v103
	v_lshlrev_b32_sdwa v112, v112, v12 dst_sel:DWORD dst_unused:UNUSED_PAD src0_sel:DWORD src1_sel:WORD_1
	v_cndmask_b32_e32 v11, v11, v103, vcc_lo
	v_lshlrev_b32_e32 v103, 8, v12
	v_and_b32_e32 v112, 7, v112
	v_lshl_add_u32 v11, v11, 23, 0x3b800000
	v_and_b32_e32 v103, 0x80000000, v103
	v_cndmask_b32_e32 v10, v10, v112, vcc_lo
	v_lshlrev_b32_e32 v10, 20, v10
	v_or3_b32 v10, v103, v11, v10
.LBB6_11078:                            ;   in Loop: Header=BB6_9580 Depth=2
	s_or_b32 exec_lo, exec_lo, s13
	v_mul_f32_e32 v10, s28, v10
	v_mov_b32_e32 v103, 0x80
	s_mov_b32 s29, exec_lo
	v_and_b32_e32 v11, 0x7f800000, v10
	v_cmpx_ne_u32_e32 0x7f800000, v11
	s_cbranch_execz .LBB6_11086
; %bb.11079:                            ;   in Loop: Header=BB6_9580 Depth=2
	v_mov_b32_e32 v103, 0
	s_mov_b32 s40, exec_lo
	v_cmpx_ne_u32_e32 0, v10
	s_cbranch_execz .LBB6_11085
; %bb.11080:                            ;   in Loop: Header=BB6_9580 Depth=2
	v_bfe_u32 v103, v10, 23, 8
	v_and_b32_e32 v11, 0x7fffff, v10
	v_cmp_gt_u32_e64 s13, 0x79, v103
	v_sub_nc_u32_e32 v112, 0x78, v103
	v_cmp_eq_u32_e32 vcc_lo, 0, v103
	v_or_b32_e32 v113, 0x800000, v11
	v_cndmask_b32_e64 v112, 0, v112, s13
	v_cndmask_b32_e32 v11, v113, v11, vcc_lo
	v_cndmask_b32_e64 v112, v112, 0x77, vcc_lo
	v_lshl_add_u32 v113, 0x100000, v112, -1
	v_lshlrev_b32_e64 v114, v112, 0x80000
	v_and_b32_e32 v113, v113, v11
	v_cmp_eq_u32_e64 s13, v113, v114
	v_lshrrev_b32_e32 v113, v112, v11
	v_add_nc_u32_e32 v11, 0xffffff89, v103
	v_lshrrev_b32_e32 v103, 23, v113
	v_cndmask_b32_e64 v11, v11, 0xffffff8a, vcc_lo
	v_xor_b32_e32 v103, 1, v103
	v_add_nc_u32_e32 v11, v112, v11
	v_bfe_u32 v112, v113, 20, 1
	v_add_nc_u32_e32 v112, -1, v112
	v_cndmask_b32_e64 v112, 0, v112, s13
	s_mov_b32 s13, exec_lo
	v_add_nc_u32_e32 v112, v112, v113
	v_and_b32_e32 v112, 0xfffff, v112
	v_add_nc_u32_e32 v112, v112, v113
                                        ; implicit-def: $vgpr113
	v_cmpx_ne_u32_e64 v11, v103
	s_xor_b32 s13, exec_lo, s13
; %bb.11081:                            ;   in Loop: Header=BB6_9580 Depth=2
	v_cmp_lt_u32_e32 vcc_lo, 0xffffff, v112
	v_sub_nc_u32_e32 v11, v11, v103
	v_cndmask_b32_e64 v103, 0, 1, vcc_lo
	v_add_co_ci_u32_e64 v113, null, 0, v11, vcc_lo
	v_lshrrev_b32_e32 v112, v103, v112
; %bb.11082:                            ;   in Loop: Header=BB6_9580 Depth=2
	s_andn2_saveexec_b32 s13, s13
; %bb.11083:                            ;   in Loop: Header=BB6_9580 Depth=2
	v_bfe_u32 v113, v112, 23, 1
; %bb.11084:                            ;   in Loop: Header=BB6_9580 Depth=2
	s_or_b32 exec_lo, exec_lo, s13
	v_lshrrev_b32_e32 v11, 20, v112
	v_min_i32_e32 v103, 15, v113
	v_cmp_gt_i32_e32 vcc_lo, 16, v113
	v_and_b32_sdwa v10, v10, v81 dst_sel:DWORD dst_unused:UNUSED_PAD src0_sel:BYTE_3 src1_sel:DWORD
	v_lshlrev_b32_e32 v103, 3, v103
	v_cndmask_b32_e32 v11, 7, v11, vcc_lo
	v_and_b32_e32 v103, 0xf8, v103
	v_or_b32_e32 v112, v113, v11
	v_and_b32_e32 v11, 7, v11
	v_cmp_ne_u32_e32 vcc_lo, 0, v112
	v_or3_b32 v10, v103, v10, v11
	v_cndmask_b32_e32 v103, 0, v10, vcc_lo
.LBB6_11085:                            ;   in Loop: Header=BB6_9580 Depth=2
	s_or_b32 exec_lo, exec_lo, s40
.LBB6_11086:                            ;   in Loop: Header=BB6_9580 Depth=2
	s_or_b32 exec_lo, exec_lo, s29
	v_cmp_gt_i16_sdwa s29, v12, v80 src0_sel:BYTE_3 src1_sel:DWORD
	s_mov_b32 s13, 0
	s_and_saveexec_b32 s40, s29
	s_xor_b32 s29, exec_lo, s40
	s_cbranch_execz .LBB6_11592
; %bb.11087:                            ;   in Loop: Header=BB6_9580 Depth=2
	v_cmp_eq_u16_sdwa s41, v12, v81 src0_sel:BYTE_3 src1_sel:DWORD
	s_mov_b32 s13, -1
	s_and_saveexec_b32 s40, s41
; %bb.11088:                            ;   in Loop: Header=BB6_9580 Depth=2
	s_xor_b32 s13, exec_lo, -1
; %bb.11089:                            ;   in Loop: Header=BB6_9580 Depth=2
	s_or_b32 exec_lo, exec_lo, s40
	s_and_b32 s13, s13, exec_lo
	s_or_saveexec_b32 s29, s29
	v_mov_b32_e32 v10, 0x7f800001
	s_xor_b32 exec_lo, exec_lo, s29
	s_cbranch_execnz .LBB6_11593
.LBB6_11090:                            ;   in Loop: Header=BB6_9580 Depth=2
	s_or_b32 exec_lo, exec_lo, s29
	s_and_saveexec_b32 s29, s13
	s_cbranch_execz .LBB6_11092
.LBB6_11091:                            ;   in Loop: Header=BB6_9580 Depth=2
	v_bfe_u32 v10, v12, 24, 3
	v_bfe_u32 v113, v12, 27, 4
	v_ffbh_u32_e32 v11, v10
	v_cmp_eq_u32_e32 vcc_lo, 0, v113
	v_min_u32_e32 v11, 32, v11
	v_subrev_nc_u32_e32 v112, 28, v11
	v_sub_nc_u32_e32 v11, 29, v11
	v_lshlrev_b32_sdwa v112, v112, v12 dst_sel:DWORD dst_unused:UNUSED_PAD src0_sel:DWORD src1_sel:BYTE_3
	v_cndmask_b32_e32 v11, v113, v11, vcc_lo
	v_and_b32_e32 v12, 0x80000000, v12
	v_and_b32_e32 v112, 7, v112
	v_lshl_add_u32 v11, v11, 23, 0x3b800000
	v_cndmask_b32_e32 v10, v10, v112, vcc_lo
	v_lshlrev_b32_e32 v10, 20, v10
	v_or3_b32 v10, v12, v11, v10
.LBB6_11092:                            ;   in Loop: Header=BB6_9580 Depth=2
	s_or_b32 exec_lo, exec_lo, s29
	v_mul_f32_e32 v10, s28, v10
	v_mov_b32_e32 v112, 0x8000
	s_mov_b32 s29, exec_lo
	v_and_b32_e32 v11, 0x7f800000, v10
	v_cmpx_ne_u32_e32 0x7f800000, v11
	s_cbranch_execz .LBB6_11100
; %bb.11093:                            ;   in Loop: Header=BB6_9580 Depth=2
	v_mov_b32_e32 v112, 0
	s_mov_b32 s40, exec_lo
	v_cmpx_ne_u32_e32 0, v10
	s_cbranch_execz .LBB6_11099
; %bb.11094:                            ;   in Loop: Header=BB6_9580 Depth=2
	v_bfe_u32 v12, v10, 23, 8
	v_and_b32_e32 v11, 0x7fffff, v10
	v_cmp_gt_u32_e64 s13, 0x79, v12
	v_sub_nc_u32_e32 v112, 0x78, v12
	v_cmp_eq_u32_e32 vcc_lo, 0, v12
	v_or_b32_e32 v113, 0x800000, v11
	v_cndmask_b32_e64 v112, 0, v112, s13
	v_cndmask_b32_e32 v11, v113, v11, vcc_lo
	v_cndmask_b32_e64 v112, v112, 0x77, vcc_lo
	v_lshl_add_u32 v113, 0x100000, v112, -1
	v_lshlrev_b32_e64 v114, v112, 0x80000
	v_and_b32_e32 v113, v113, v11
	v_cmp_eq_u32_e64 s13, v113, v114
	v_lshrrev_b32_e32 v113, v112, v11
	v_add_nc_u32_e32 v11, 0xffffff89, v12
	v_lshrrev_b32_e32 v12, 23, v113
	v_cndmask_b32_e64 v11, v11, 0xffffff8a, vcc_lo
	v_xor_b32_e32 v12, 1, v12
	v_add_nc_u32_e32 v11, v112, v11
	v_bfe_u32 v112, v113, 20, 1
	v_add_nc_u32_e32 v112, -1, v112
	v_cndmask_b32_e64 v112, 0, v112, s13
	s_mov_b32 s13, exec_lo
	v_add_nc_u32_e32 v112, v112, v113
	v_and_b32_e32 v112, 0xfffff, v112
	v_add_nc_u32_e32 v112, v112, v113
                                        ; implicit-def: $vgpr113
	v_cmpx_ne_u32_e64 v11, v12
	s_xor_b32 s13, exec_lo, s13
; %bb.11095:                            ;   in Loop: Header=BB6_9580 Depth=2
	v_cmp_lt_u32_e32 vcc_lo, 0xffffff, v112
	v_sub_nc_u32_e32 v11, v11, v12
	v_cndmask_b32_e64 v12, 0, 1, vcc_lo
	v_add_co_ci_u32_e64 v113, null, 0, v11, vcc_lo
	v_lshrrev_b32_e32 v112, v12, v112
; %bb.11096:                            ;   in Loop: Header=BB6_9580 Depth=2
	s_andn2_saveexec_b32 s13, s13
; %bb.11097:                            ;   in Loop: Header=BB6_9580 Depth=2
	v_bfe_u32 v113, v112, 23, 1
; %bb.11098:                            ;   in Loop: Header=BB6_9580 Depth=2
	s_or_b32 exec_lo, exec_lo, s13
	v_lshrrev_b32_e32 v11, 20, v112
	v_min_i32_e32 v12, 15, v113
	v_cmp_gt_i32_e32 vcc_lo, 16, v113
	v_and_b32_sdwa v10, v10, v81 dst_sel:DWORD dst_unused:UNUSED_PAD src0_sel:BYTE_3 src1_sel:DWORD
	v_lshlrev_b32_e32 v12, 3, v12
	v_cndmask_b32_e32 v11, 7, v11, vcc_lo
	v_and_b32_e32 v12, 0xf8, v12
	v_or_b32_e32 v112, v113, v11
	v_and_b32_e32 v11, 7, v11
	v_cmp_ne_u32_e32 vcc_lo, 0, v112
	v_or3_b32 v10, v10, v12, v11
	v_lshlrev_b32_e32 v10, 8, v10
	v_cndmask_b32_e32 v112, 0, v10, vcc_lo
.LBB6_11099:                            ;   in Loop: Header=BB6_9580 Depth=2
	s_or_b32 exec_lo, exec_lo, s40
.LBB6_11100:                            ;   in Loop: Header=BB6_9580 Depth=2
	s_or_b32 exec_lo, exec_lo, s29
	v_cmp_gt_i16_sdwa s13, v13, v80 src0_sel:BYTE_0 src1_sel:DWORD
	s_mov_b32 s29, 0
	s_and_saveexec_b32 s40, s13
	s_xor_b32 s13, exec_lo, s40
	s_cbranch_execz .LBB6_11594
; %bb.11101:                            ;   in Loop: Header=BB6_9580 Depth=2
	v_cmp_eq_u16_sdwa s41, v13, v81 src0_sel:BYTE_0 src1_sel:DWORD
	s_mov_b32 s29, -1
	s_and_saveexec_b32 s40, s41
; %bb.11102:                            ;   in Loop: Header=BB6_9580 Depth=2
	s_xor_b32 s29, exec_lo, -1
; %bb.11103:                            ;   in Loop: Header=BB6_9580 Depth=2
	s_or_b32 exec_lo, exec_lo, s40
	s_and_b32 s29, s29, exec_lo
	s_or_saveexec_b32 s13, s13
	v_mov_b32_e32 v10, 0x7f800001
	s_xor_b32 exec_lo, exec_lo, s13
	s_cbranch_execnz .LBB6_11595
.LBB6_11104:                            ;   in Loop: Header=BB6_9580 Depth=2
	s_or_b32 exec_lo, exec_lo, s13
	s_and_saveexec_b32 s13, s29
	s_cbranch_execz .LBB6_11106
.LBB6_11105:                            ;   in Loop: Header=BB6_9580 Depth=2
	v_and_b32_e32 v10, 7, v13
	v_bfe_u32 v11, v13, 3, 4
	v_ffbh_u32_e32 v12, v10
	v_cmp_eq_u32_e32 vcc_lo, 0, v11
	v_min_u32_e32 v12, 32, v12
	v_subrev_nc_u32_e32 v113, 28, v12
	v_sub_nc_u32_e32 v12, 29, v12
	v_lshlrev_b32_e32 v113, v113, v13
	v_cndmask_b32_e32 v11, v11, v12, vcc_lo
	v_lshlrev_b32_e32 v12, 24, v13
	v_and_b32_e32 v113, 7, v113
	v_lshl_add_u32 v11, v11, 23, 0x3b800000
	v_and_b32_e32 v12, 0x80000000, v12
	v_cndmask_b32_e32 v10, v10, v113, vcc_lo
	v_lshlrev_b32_e32 v10, 20, v10
	v_or3_b32 v10, v12, v11, v10
.LBB6_11106:                            ;   in Loop: Header=BB6_9580 Depth=2
	s_or_b32 exec_lo, exec_lo, s13
	v_mul_f32_e32 v10, s28, v10
	v_mov_b32_e32 v113, 0x80
	s_mov_b32 s29, exec_lo
	v_and_b32_e32 v11, 0x7f800000, v10
	v_cmpx_ne_u32_e32 0x7f800000, v11
	s_cbranch_execz .LBB6_11114
; %bb.11107:                            ;   in Loop: Header=BB6_9580 Depth=2
	v_mov_b32_e32 v113, 0
	s_mov_b32 s40, exec_lo
	v_cmpx_ne_u32_e32 0, v10
	s_cbranch_execz .LBB6_11113
; %bb.11108:                            ;   in Loop: Header=BB6_9580 Depth=2
	v_bfe_u32 v12, v10, 23, 8
	v_and_b32_e32 v11, 0x7fffff, v10
	v_cmp_gt_u32_e64 s13, 0x79, v12
	v_sub_nc_u32_e32 v113, 0x78, v12
	v_cmp_eq_u32_e32 vcc_lo, 0, v12
	v_or_b32_e32 v114, 0x800000, v11
	v_cndmask_b32_e64 v113, 0, v113, s13
	v_cndmask_b32_e32 v11, v114, v11, vcc_lo
	v_cndmask_b32_e64 v113, v113, 0x77, vcc_lo
	v_lshl_add_u32 v114, 0x100000, v113, -1
	v_lshlrev_b32_e64 v115, v113, 0x80000
	v_and_b32_e32 v114, v114, v11
	v_cmp_eq_u32_e64 s13, v114, v115
	v_lshrrev_b32_e32 v114, v113, v11
	v_add_nc_u32_e32 v11, 0xffffff89, v12
	v_lshrrev_b32_e32 v12, 23, v114
	v_cndmask_b32_e64 v11, v11, 0xffffff8a, vcc_lo
	v_xor_b32_e32 v12, 1, v12
	v_add_nc_u32_e32 v11, v113, v11
	v_bfe_u32 v113, v114, 20, 1
	v_add_nc_u32_e32 v113, -1, v113
	v_cndmask_b32_e64 v113, 0, v113, s13
	s_mov_b32 s13, exec_lo
	v_add_nc_u32_e32 v113, v113, v114
	v_and_b32_e32 v113, 0xfffff, v113
	v_add_nc_u32_e32 v113, v113, v114
                                        ; implicit-def: $vgpr114
	v_cmpx_ne_u32_e64 v11, v12
	s_xor_b32 s13, exec_lo, s13
; %bb.11109:                            ;   in Loop: Header=BB6_9580 Depth=2
	v_cmp_lt_u32_e32 vcc_lo, 0xffffff, v113
	v_sub_nc_u32_e32 v11, v11, v12
	v_cndmask_b32_e64 v12, 0, 1, vcc_lo
	v_add_co_ci_u32_e64 v114, null, 0, v11, vcc_lo
	v_lshrrev_b32_e32 v113, v12, v113
; %bb.11110:                            ;   in Loop: Header=BB6_9580 Depth=2
	s_andn2_saveexec_b32 s13, s13
; %bb.11111:                            ;   in Loop: Header=BB6_9580 Depth=2
	v_bfe_u32 v114, v113, 23, 1
; %bb.11112:                            ;   in Loop: Header=BB6_9580 Depth=2
	s_or_b32 exec_lo, exec_lo, s13
	v_lshrrev_b32_e32 v11, 20, v113
	v_min_i32_e32 v12, 15, v114
	v_cmp_gt_i32_e32 vcc_lo, 16, v114
	v_and_b32_sdwa v10, v10, v81 dst_sel:DWORD dst_unused:UNUSED_PAD src0_sel:BYTE_3 src1_sel:DWORD
	v_lshlrev_b32_e32 v12, 3, v12
	v_cndmask_b32_e32 v11, 7, v11, vcc_lo
	v_and_b32_e32 v12, 0xf8, v12
	v_or_b32_e32 v113, v114, v11
	v_and_b32_e32 v11, 7, v11
	v_cmp_ne_u32_e32 vcc_lo, 0, v113
	v_or3_b32 v10, v12, v10, v11
	v_cndmask_b32_e32 v113, 0, v10, vcc_lo
.LBB6_11113:                            ;   in Loop: Header=BB6_9580 Depth=2
	s_or_b32 exec_lo, exec_lo, s40
.LBB6_11114:                            ;   in Loop: Header=BB6_9580 Depth=2
	s_or_b32 exec_lo, exec_lo, s29
	v_cmp_gt_i16_sdwa s29, v13, v80 src0_sel:BYTE_1 src1_sel:DWORD
	s_mov_b32 s13, 0
	s_and_saveexec_b32 s40, s29
	s_xor_b32 s29, exec_lo, s40
	s_cbranch_execz .LBB6_11596
; %bb.11115:                            ;   in Loop: Header=BB6_9580 Depth=2
	v_cmp_eq_u16_sdwa s41, v13, v81 src0_sel:BYTE_1 src1_sel:DWORD
	s_mov_b32 s13, -1
	s_and_saveexec_b32 s40, s41
; %bb.11116:                            ;   in Loop: Header=BB6_9580 Depth=2
	s_xor_b32 s13, exec_lo, -1
; %bb.11117:                            ;   in Loop: Header=BB6_9580 Depth=2
	s_or_b32 exec_lo, exec_lo, s40
	s_and_b32 s13, s13, exec_lo
	s_or_saveexec_b32 s29, s29
	v_mov_b32_e32 v10, 0x7f800001
	s_xor_b32 exec_lo, exec_lo, s29
	s_cbranch_execnz .LBB6_11597
.LBB6_11118:                            ;   in Loop: Header=BB6_9580 Depth=2
	s_or_b32 exec_lo, exec_lo, s29
	s_and_saveexec_b32 s29, s13
	s_cbranch_execz .LBB6_11120
.LBB6_11119:                            ;   in Loop: Header=BB6_9580 Depth=2
	v_and_b32_sdwa v10, v82, v13 dst_sel:DWORD dst_unused:UNUSED_PAD src0_sel:DWORD src1_sel:BYTE_1
	v_and_b32_e32 v11, 7, v10
	v_bfe_u32 v115, v10, 3, 4
	v_ffbh_u32_e32 v12, v11
	v_cmp_eq_u32_e32 vcc_lo, 0, v115
	v_min_u32_e32 v12, 32, v12
	v_subrev_nc_u32_e32 v114, 28, v12
	v_sub_nc_u32_e32 v12, 29, v12
	v_lshlrev_b32_e32 v10, v114, v10
	v_lshlrev_b32_sdwa v114, v83, v13 dst_sel:DWORD dst_unused:UNUSED_PAD src0_sel:DWORD src1_sel:BYTE_1
	v_cndmask_b32_e32 v12, v115, v12, vcc_lo
	v_and_b32_e32 v10, 7, v10
	v_lshl_add_u32 v12, v12, 23, 0x3b800000
	v_cndmask_b32_e32 v10, v11, v10, vcc_lo
	v_and_b32_e32 v11, 0x80000000, v114
	v_lshlrev_b32_e32 v10, 20, v10
	v_or3_b32 v10, v11, v12, v10
.LBB6_11120:                            ;   in Loop: Header=BB6_9580 Depth=2
	s_or_b32 exec_lo, exec_lo, s29
	v_mul_f32_e32 v10, s28, v10
	v_mov_b32_e32 v114, 0x8000
	s_mov_b32 s29, exec_lo
	v_and_b32_e32 v11, 0x7f800000, v10
	v_cmpx_ne_u32_e32 0x7f800000, v11
	s_cbranch_execz .LBB6_11128
; %bb.11121:                            ;   in Loop: Header=BB6_9580 Depth=2
	v_mov_b32_e32 v114, 0
	s_mov_b32 s40, exec_lo
	v_cmpx_ne_u32_e32 0, v10
	s_cbranch_execz .LBB6_11127
; %bb.11122:                            ;   in Loop: Header=BB6_9580 Depth=2
	v_bfe_u32 v12, v10, 23, 8
	v_and_b32_e32 v11, 0x7fffff, v10
	v_cmp_gt_u32_e64 s13, 0x79, v12
	v_sub_nc_u32_e32 v114, 0x78, v12
	v_cmp_eq_u32_e32 vcc_lo, 0, v12
	v_or_b32_e32 v115, 0x800000, v11
	v_cndmask_b32_e64 v114, 0, v114, s13
	v_cndmask_b32_e32 v11, v115, v11, vcc_lo
	v_cndmask_b32_e64 v114, v114, 0x77, vcc_lo
	v_lshl_add_u32 v115, 0x100000, v114, -1
	v_lshlrev_b32_e64 v116, v114, 0x80000
	v_and_b32_e32 v115, v115, v11
	v_cmp_eq_u32_e64 s13, v115, v116
	v_lshrrev_b32_e32 v115, v114, v11
	v_add_nc_u32_e32 v11, 0xffffff89, v12
	v_lshrrev_b32_e32 v12, 23, v115
	v_cndmask_b32_e64 v11, v11, 0xffffff8a, vcc_lo
	v_xor_b32_e32 v12, 1, v12
	v_add_nc_u32_e32 v11, v114, v11
	v_bfe_u32 v114, v115, 20, 1
	v_add_nc_u32_e32 v114, -1, v114
	v_cndmask_b32_e64 v114, 0, v114, s13
	s_mov_b32 s13, exec_lo
	v_add_nc_u32_e32 v114, v114, v115
	v_and_b32_e32 v114, 0xfffff, v114
	v_add_nc_u32_e32 v114, v114, v115
                                        ; implicit-def: $vgpr115
	v_cmpx_ne_u32_e64 v11, v12
	s_xor_b32 s13, exec_lo, s13
; %bb.11123:                            ;   in Loop: Header=BB6_9580 Depth=2
	v_cmp_lt_u32_e32 vcc_lo, 0xffffff, v114
	v_sub_nc_u32_e32 v11, v11, v12
	v_cndmask_b32_e64 v12, 0, 1, vcc_lo
	v_add_co_ci_u32_e64 v115, null, 0, v11, vcc_lo
	v_lshrrev_b32_e32 v114, v12, v114
; %bb.11124:                            ;   in Loop: Header=BB6_9580 Depth=2
	s_andn2_saveexec_b32 s13, s13
; %bb.11125:                            ;   in Loop: Header=BB6_9580 Depth=2
	v_bfe_u32 v115, v114, 23, 1
; %bb.11126:                            ;   in Loop: Header=BB6_9580 Depth=2
	s_or_b32 exec_lo, exec_lo, s13
	v_lshrrev_b32_e32 v11, 20, v114
	v_min_i32_e32 v12, 15, v115
	v_cmp_gt_i32_e32 vcc_lo, 16, v115
	v_and_b32_sdwa v10, v10, v81 dst_sel:DWORD dst_unused:UNUSED_PAD src0_sel:BYTE_3 src1_sel:DWORD
	v_lshlrev_b32_e32 v12, 3, v12
	v_cndmask_b32_e32 v11, 7, v11, vcc_lo
	v_and_b32_e32 v12, 0xf8, v12
	v_or_b32_e32 v114, v115, v11
	v_and_b32_e32 v11, 7, v11
	v_cmp_ne_u32_e32 vcc_lo, 0, v114
	v_or3_b32 v10, v10, v12, v11
	v_lshlrev_b32_e32 v10, 8, v10
	v_cndmask_b32_e32 v114, 0, v10, vcc_lo
.LBB6_11127:                            ;   in Loop: Header=BB6_9580 Depth=2
	s_or_b32 exec_lo, exec_lo, s40
.LBB6_11128:                            ;   in Loop: Header=BB6_9580 Depth=2
	s_or_b32 exec_lo, exec_lo, s29
	v_and_b32_sdwa v11, v13, v86 dst_sel:DWORD dst_unused:UNUSED_PAD src0_sel:WORD_1 src1_sel:DWORD
	s_mov_b32 s29, 0
	s_mov_b32 s13, exec_lo
	v_cmpx_lt_i16_e32 0x7f, v11
	s_xor_b32 s13, exec_lo, s13
	s_cbranch_execz .LBB6_11598
; %bb.11129:                            ;   in Loop: Header=BB6_9580 Depth=2
	s_mov_b32 s29, -1
	s_mov_b32 s40, exec_lo
	v_cmpx_eq_u16_e32 0x80, v11
; %bb.11130:                            ;   in Loop: Header=BB6_9580 Depth=2
	s_xor_b32 s29, exec_lo, -1
; %bb.11131:                            ;   in Loop: Header=BB6_9580 Depth=2
	s_or_b32 exec_lo, exec_lo, s40
	s_and_b32 s29, s29, exec_lo
                                        ; implicit-def: $vgpr11
	s_or_saveexec_b32 s13, s13
	v_mov_b32_e32 v10, 0x7f800001
	s_xor_b32 exec_lo, exec_lo, s13
	s_cbranch_execnz .LBB6_11599
.LBB6_11132:                            ;   in Loop: Header=BB6_9580 Depth=2
	s_or_b32 exec_lo, exec_lo, s13
	s_and_saveexec_b32 s13, s29
	s_cbranch_execz .LBB6_11134
.LBB6_11133:                            ;   in Loop: Header=BB6_9580 Depth=2
	v_bfe_u32 v10, v13, 16, 3
	v_bfe_u32 v11, v13, 19, 4
	v_ffbh_u32_e32 v12, v10
	v_cmp_eq_u32_e32 vcc_lo, 0, v11
	v_min_u32_e32 v12, 32, v12
	v_subrev_nc_u32_e32 v115, 28, v12
	v_sub_nc_u32_e32 v12, 29, v12
	v_lshlrev_b32_sdwa v115, v115, v13 dst_sel:DWORD dst_unused:UNUSED_PAD src0_sel:DWORD src1_sel:WORD_1
	v_cndmask_b32_e32 v11, v11, v12, vcc_lo
	v_lshlrev_b32_e32 v12, 8, v13
	v_and_b32_e32 v115, 7, v115
	v_lshl_add_u32 v11, v11, 23, 0x3b800000
	v_and_b32_e32 v12, 0x80000000, v12
	v_cndmask_b32_e32 v10, v10, v115, vcc_lo
	v_lshlrev_b32_e32 v10, 20, v10
	v_or3_b32 v10, v12, v11, v10
.LBB6_11134:                            ;   in Loop: Header=BB6_9580 Depth=2
	s_or_b32 exec_lo, exec_lo, s13
	v_mul_f32_e32 v10, s28, v10
	v_mov_b32_e32 v115, 0x80
	s_mov_b32 s29, exec_lo
	v_and_b32_e32 v11, 0x7f800000, v10
	v_cmpx_ne_u32_e32 0x7f800000, v11
	s_cbranch_execz .LBB6_11142
; %bb.11135:                            ;   in Loop: Header=BB6_9580 Depth=2
	v_mov_b32_e32 v115, 0
	s_mov_b32 s40, exec_lo
	v_cmpx_ne_u32_e32 0, v10
	s_cbranch_execz .LBB6_11141
; %bb.11136:                            ;   in Loop: Header=BB6_9580 Depth=2
	v_bfe_u32 v12, v10, 23, 8
	v_and_b32_e32 v11, 0x7fffff, v10
	v_cmp_gt_u32_e64 s13, 0x79, v12
	v_sub_nc_u32_e32 v115, 0x78, v12
	v_cmp_eq_u32_e32 vcc_lo, 0, v12
	v_or_b32_e32 v116, 0x800000, v11
	v_cndmask_b32_e64 v115, 0, v115, s13
	v_cndmask_b32_e32 v11, v116, v11, vcc_lo
	v_cndmask_b32_e64 v115, v115, 0x77, vcc_lo
	v_lshl_add_u32 v116, 0x100000, v115, -1
	v_lshlrev_b32_e64 v117, v115, 0x80000
	v_and_b32_e32 v116, v116, v11
	v_cmp_eq_u32_e64 s13, v116, v117
	v_lshrrev_b32_e32 v116, v115, v11
	v_add_nc_u32_e32 v11, 0xffffff89, v12
	v_lshrrev_b32_e32 v12, 23, v116
	v_cndmask_b32_e64 v11, v11, 0xffffff8a, vcc_lo
	v_xor_b32_e32 v12, 1, v12
	v_add_nc_u32_e32 v11, v115, v11
	v_bfe_u32 v115, v116, 20, 1
	v_add_nc_u32_e32 v115, -1, v115
	v_cndmask_b32_e64 v115, 0, v115, s13
	s_mov_b32 s13, exec_lo
	v_add_nc_u32_e32 v115, v115, v116
	v_and_b32_e32 v115, 0xfffff, v115
	v_add_nc_u32_e32 v115, v115, v116
                                        ; implicit-def: $vgpr116
	v_cmpx_ne_u32_e64 v11, v12
	s_xor_b32 s13, exec_lo, s13
; %bb.11137:                            ;   in Loop: Header=BB6_9580 Depth=2
	v_cmp_lt_u32_e32 vcc_lo, 0xffffff, v115
	v_sub_nc_u32_e32 v11, v11, v12
	v_cndmask_b32_e64 v12, 0, 1, vcc_lo
	v_add_co_ci_u32_e64 v116, null, 0, v11, vcc_lo
	v_lshrrev_b32_e32 v115, v12, v115
; %bb.11138:                            ;   in Loop: Header=BB6_9580 Depth=2
	s_andn2_saveexec_b32 s13, s13
; %bb.11139:                            ;   in Loop: Header=BB6_9580 Depth=2
	v_bfe_u32 v116, v115, 23, 1
; %bb.11140:                            ;   in Loop: Header=BB6_9580 Depth=2
	s_or_b32 exec_lo, exec_lo, s13
	v_lshrrev_b32_e32 v11, 20, v115
	v_min_i32_e32 v12, 15, v116
	v_cmp_gt_i32_e32 vcc_lo, 16, v116
	v_and_b32_sdwa v10, v10, v81 dst_sel:DWORD dst_unused:UNUSED_PAD src0_sel:BYTE_3 src1_sel:DWORD
	v_lshlrev_b32_e32 v12, 3, v12
	v_cndmask_b32_e32 v11, 7, v11, vcc_lo
	v_and_b32_e32 v12, 0xf8, v12
	v_or_b32_e32 v115, v116, v11
	v_and_b32_e32 v11, 7, v11
	v_cmp_ne_u32_e32 vcc_lo, 0, v115
	v_or3_b32 v10, v12, v10, v11
	v_cndmask_b32_e32 v115, 0, v10, vcc_lo
.LBB6_11141:                            ;   in Loop: Header=BB6_9580 Depth=2
	s_or_b32 exec_lo, exec_lo, s40
.LBB6_11142:                            ;   in Loop: Header=BB6_9580 Depth=2
	s_or_b32 exec_lo, exec_lo, s29
	v_cmp_gt_i16_sdwa s29, v13, v80 src0_sel:BYTE_3 src1_sel:DWORD
	s_mov_b32 s13, 0
	s_and_saveexec_b32 s40, s29
	s_xor_b32 s29, exec_lo, s40
	s_cbranch_execz .LBB6_11600
; %bb.11143:                            ;   in Loop: Header=BB6_9580 Depth=2
	v_cmp_eq_u16_sdwa s41, v13, v81 src0_sel:BYTE_3 src1_sel:DWORD
	s_mov_b32 s13, -1
	s_and_saveexec_b32 s40, s41
; %bb.11144:                            ;   in Loop: Header=BB6_9580 Depth=2
	s_xor_b32 s13, exec_lo, -1
; %bb.11145:                            ;   in Loop: Header=BB6_9580 Depth=2
	s_or_b32 exec_lo, exec_lo, s40
	s_and_b32 s13, s13, exec_lo
	s_or_saveexec_b32 s29, s29
	v_mov_b32_e32 v10, 0x7f800001
	s_xor_b32 exec_lo, exec_lo, s29
	s_cbranch_execnz .LBB6_11601
.LBB6_11146:                            ;   in Loop: Header=BB6_9580 Depth=2
	s_or_b32 exec_lo, exec_lo, s29
	s_and_saveexec_b32 s29, s13
	s_cbranch_execz .LBB6_11148
.LBB6_11147:                            ;   in Loop: Header=BB6_9580 Depth=2
	v_bfe_u32 v10, v13, 24, 3
	v_bfe_u32 v116, v13, 27, 4
	v_ffbh_u32_e32 v11, v10
	v_cmp_eq_u32_e32 vcc_lo, 0, v116
	v_min_u32_e32 v11, 32, v11
	v_subrev_nc_u32_e32 v12, 28, v11
	v_sub_nc_u32_e32 v11, 29, v11
	v_lshlrev_b32_sdwa v12, v12, v13 dst_sel:DWORD dst_unused:UNUSED_PAD src0_sel:DWORD src1_sel:BYTE_3
	v_cndmask_b32_e32 v11, v116, v11, vcc_lo
	v_and_b32_e32 v12, 7, v12
	v_lshl_add_u32 v11, v11, 23, 0x3b800000
	v_cndmask_b32_e32 v10, v10, v12, vcc_lo
	v_and_b32_e32 v12, 0x80000000, v13
	v_lshlrev_b32_e32 v10, 20, v10
	v_or3_b32 v10, v12, v11, v10
.LBB6_11148:                            ;   in Loop: Header=BB6_9580 Depth=2
	s_or_b32 exec_lo, exec_lo, s29
	v_mul_f32_e32 v10, s28, v10
	v_mov_b32_e32 v116, 0x8000
	s_mov_b32 s29, exec_lo
	v_and_b32_e32 v11, 0x7f800000, v10
	v_cmpx_ne_u32_e32 0x7f800000, v11
	s_cbranch_execz .LBB6_11156
; %bb.11149:                            ;   in Loop: Header=BB6_9580 Depth=2
	v_mov_b32_e32 v116, 0
	s_mov_b32 s40, exec_lo
	v_cmpx_ne_u32_e32 0, v10
	s_cbranch_execz .LBB6_11155
; %bb.11150:                            ;   in Loop: Header=BB6_9580 Depth=2
	v_bfe_u32 v12, v10, 23, 8
	v_and_b32_e32 v11, 0x7fffff, v10
	v_cmp_gt_u32_e64 s13, 0x79, v12
	v_sub_nc_u32_e32 v13, 0x78, v12
	v_cmp_eq_u32_e32 vcc_lo, 0, v12
	v_or_b32_e32 v116, 0x800000, v11
	v_cndmask_b32_e64 v13, 0, v13, s13
	v_cndmask_b32_e32 v11, v116, v11, vcc_lo
	v_cndmask_b32_e64 v13, v13, 0x77, vcc_lo
	v_lshl_add_u32 v116, 0x100000, v13, -1
	v_lshlrev_b32_e64 v117, v13, 0x80000
	v_and_b32_e32 v116, v116, v11
	v_cmp_eq_u32_e64 s13, v116, v117
	v_lshrrev_b32_e32 v116, v13, v11
	v_add_nc_u32_e32 v11, 0xffffff89, v12
	v_lshrrev_b32_e32 v12, 23, v116
	v_cndmask_b32_e64 v11, v11, 0xffffff8a, vcc_lo
	v_xor_b32_e32 v12, 1, v12
	v_add_nc_u32_e32 v11, v13, v11
	v_bfe_u32 v13, v116, 20, 1
	v_add_nc_u32_e32 v13, -1, v13
	v_cndmask_b32_e64 v13, 0, v13, s13
	s_mov_b32 s13, exec_lo
	v_add_nc_u32_e32 v13, v13, v116
	v_and_b32_e32 v13, 0xfffff, v13
	v_add_nc_u32_e32 v13, v13, v116
                                        ; implicit-def: $vgpr116
	v_cmpx_ne_u32_e64 v11, v12
	s_xor_b32 s13, exec_lo, s13
; %bb.11151:                            ;   in Loop: Header=BB6_9580 Depth=2
	v_cmp_lt_u32_e32 vcc_lo, 0xffffff, v13
	v_sub_nc_u32_e32 v11, v11, v12
	v_cndmask_b32_e64 v12, 0, 1, vcc_lo
	v_add_co_ci_u32_e64 v116, null, 0, v11, vcc_lo
	v_lshrrev_b32_e32 v13, v12, v13
; %bb.11152:                            ;   in Loop: Header=BB6_9580 Depth=2
	s_andn2_saveexec_b32 s13, s13
; %bb.11153:                            ;   in Loop: Header=BB6_9580 Depth=2
	v_bfe_u32 v116, v13, 23, 1
; %bb.11154:                            ;   in Loop: Header=BB6_9580 Depth=2
	s_or_b32 exec_lo, exec_lo, s13
	v_lshrrev_b32_e32 v11, 20, v13
	v_min_i32_e32 v12, 15, v116
	v_cmp_gt_i32_e32 vcc_lo, 16, v116
	v_and_b32_sdwa v10, v10, v81 dst_sel:DWORD dst_unused:UNUSED_PAD src0_sel:BYTE_3 src1_sel:DWORD
	v_lshlrev_b32_e32 v12, 3, v12
	v_cndmask_b32_e32 v11, 7, v11, vcc_lo
	v_and_b32_e32 v12, 0xf8, v12
	v_or_b32_e32 v13, v116, v11
	v_and_b32_e32 v11, 7, v11
	v_cmp_ne_u32_e32 vcc_lo, 0, v13
	v_or3_b32 v10, v10, v12, v11
	v_lshlrev_b32_e32 v10, 8, v10
	v_cndmask_b32_e32 v116, 0, v10, vcc_lo
.LBB6_11155:                            ;   in Loop: Header=BB6_9580 Depth=2
	s_or_b32 exec_lo, exec_lo, s40
.LBB6_11156:                            ;   in Loop: Header=BB6_9580 Depth=2
	s_or_b32 exec_lo, exec_lo, s29
	global_load_dwordx4 v[10:13], v[54:55], off offset:1536 slc
	s_mov_b32 s29, 0
	s_waitcnt vmcnt(0)
	v_cmp_gt_i16_sdwa s13, v10, v80 src0_sel:BYTE_0 src1_sel:DWORD
	s_and_saveexec_b32 s40, s13
	s_xor_b32 s13, exec_lo, s40
	s_cbranch_execz .LBB6_11602
; %bb.11157:                            ;   in Loop: Header=BB6_9580 Depth=2
	v_cmp_eq_u16_sdwa s41, v10, v81 src0_sel:BYTE_0 src1_sel:DWORD
	s_mov_b32 s29, -1
	s_and_saveexec_b32 s40, s41
; %bb.11158:                            ;   in Loop: Header=BB6_9580 Depth=2
	s_xor_b32 s29, exec_lo, -1
; %bb.11159:                            ;   in Loop: Header=BB6_9580 Depth=2
	s_or_b32 exec_lo, exec_lo, s40
	s_and_b32 s29, s29, exec_lo
	s_or_saveexec_b32 s13, s13
	v_mov_b32_e32 v54, 0x7f800001
	s_xor_b32 exec_lo, exec_lo, s13
	s_cbranch_execnz .LBB6_11603
.LBB6_11160:                            ;   in Loop: Header=BB6_9580 Depth=2
	s_or_b32 exec_lo, exec_lo, s13
	s_and_saveexec_b32 s13, s29
	s_cbranch_execz .LBB6_11162
.LBB6_11161:                            ;   in Loop: Header=BB6_9580 Depth=2
	v_and_b32_e32 v54, 7, v10
	v_bfe_u32 v55, v10, 3, 4
	v_ffbh_u32_e32 v117, v54
	v_cmp_eq_u32_e32 vcc_lo, 0, v55
	v_min_u32_e32 v117, 32, v117
	v_subrev_nc_u32_e32 v118, 28, v117
	v_sub_nc_u32_e32 v117, 29, v117
	v_lshlrev_b32_e32 v118, v118, v10
	v_cndmask_b32_e32 v55, v55, v117, vcc_lo
	v_lshlrev_b32_e32 v117, 24, v10
	v_and_b32_e32 v118, 7, v118
	v_lshl_add_u32 v55, v55, 23, 0x3b800000
	v_and_b32_e32 v117, 0x80000000, v117
	v_cndmask_b32_e32 v54, v54, v118, vcc_lo
	v_lshlrev_b32_e32 v54, 20, v54
	v_or3_b32 v54, v117, v55, v54
.LBB6_11162:                            ;   in Loop: Header=BB6_9580 Depth=2
	s_or_b32 exec_lo, exec_lo, s13
	v_mul_f32_e32 v55, s28, v54
	v_and_b32_e32 v54, 0x7f800000, v55
	v_cmp_ne_u32_e32 vcc_lo, 0x7f800000, v54
	v_mov_b32_e32 v54, 0x80
	s_and_saveexec_b32 s29, vcc_lo
	s_cbranch_execz .LBB6_11170
; %bb.11163:                            ;   in Loop: Header=BB6_9580 Depth=2
	v_mov_b32_e32 v54, 0
	s_mov_b32 s40, exec_lo
	v_cmpx_ne_u32_e32 0, v55
	s_cbranch_execz .LBB6_11169
; %bb.11164:                            ;   in Loop: Header=BB6_9580 Depth=2
	v_bfe_u32 v117, v55, 23, 8
	v_and_b32_e32 v54, 0x7fffff, v55
	v_cmp_gt_u32_e64 s13, 0x79, v117
	v_sub_nc_u32_e32 v118, 0x78, v117
	v_cmp_eq_u32_e32 vcc_lo, 0, v117
	v_or_b32_e32 v119, 0x800000, v54
	v_cndmask_b32_e64 v118, 0, v118, s13
	v_cndmask_b32_e32 v54, v119, v54, vcc_lo
	v_cndmask_b32_e64 v118, v118, 0x77, vcc_lo
	v_lshl_add_u32 v119, 0x100000, v118, -1
	v_lshlrev_b32_e64 v40, v118, 0x80000
	v_and_b32_e32 v119, v119, v54
	v_cmp_eq_u32_e64 s13, v119, v40
	v_lshrrev_b32_e32 v119, v118, v54
	v_add_nc_u32_e32 v54, 0xffffff89, v117
	v_lshrrev_b32_e32 v117, 23, v119
	v_cndmask_b32_e64 v54, v54, 0xffffff8a, vcc_lo
	v_xor_b32_e32 v117, 1, v117
	v_add_nc_u32_e32 v54, v118, v54
	v_bfe_u32 v118, v119, 20, 1
	v_add_nc_u32_e32 v118, -1, v118
	v_cndmask_b32_e64 v118, 0, v118, s13
	s_mov_b32 s13, exec_lo
	v_add_nc_u32_e32 v118, v118, v119
	v_and_b32_e32 v118, 0xfffff, v118
	v_add_nc_u32_e32 v118, v118, v119
                                        ; implicit-def: $vgpr119
	v_cmpx_ne_u32_e64 v54, v117
	s_xor_b32 s13, exec_lo, s13
; %bb.11165:                            ;   in Loop: Header=BB6_9580 Depth=2
	v_cmp_lt_u32_e32 vcc_lo, 0xffffff, v118
	v_sub_nc_u32_e32 v54, v54, v117
	v_cndmask_b32_e64 v117, 0, 1, vcc_lo
	v_add_co_ci_u32_e64 v119, null, 0, v54, vcc_lo
	v_lshrrev_b32_e32 v118, v117, v118
; %bb.11166:                            ;   in Loop: Header=BB6_9580 Depth=2
	s_andn2_saveexec_b32 s13, s13
; %bb.11167:                            ;   in Loop: Header=BB6_9580 Depth=2
	v_bfe_u32 v119, v118, 23, 1
; %bb.11168:                            ;   in Loop: Header=BB6_9580 Depth=2
	s_or_b32 exec_lo, exec_lo, s13
	v_and_b32_sdwa v54, v55, v81 dst_sel:DWORD dst_unused:UNUSED_PAD src0_sel:BYTE_3 src1_sel:DWORD
	v_lshrrev_b32_e32 v55, 20, v118
	v_min_i32_e32 v117, 15, v119
	v_cmp_gt_i32_e32 vcc_lo, 16, v119
	v_lshlrev_b32_e32 v117, 3, v117
	v_cndmask_b32_e32 v55, 7, v55, vcc_lo
	v_and_b32_e32 v117, 0xf8, v117
	v_or_b32_e32 v118, v119, v55
	v_and_b32_e32 v55, 7, v55
	v_cmp_ne_u32_e32 vcc_lo, 0, v118
	v_or3_b32 v54, v117, v54, v55
	v_cndmask_b32_e32 v54, 0, v54, vcc_lo
.LBB6_11169:                            ;   in Loop: Header=BB6_9580 Depth=2
	s_or_b32 exec_lo, exec_lo, s40
.LBB6_11170:                            ;   in Loop: Header=BB6_9580 Depth=2
	s_or_b32 exec_lo, exec_lo, s29
	v_cmp_gt_i16_sdwa s29, v10, v80 src0_sel:BYTE_1 src1_sel:DWORD
	s_mov_b32 s13, 0
	s_and_saveexec_b32 s40, s29
	s_xor_b32 s29, exec_lo, s40
	s_cbranch_execz .LBB6_11604
; %bb.11171:                            ;   in Loop: Header=BB6_9580 Depth=2
	v_cmp_eq_u16_sdwa s41, v10, v81 src0_sel:BYTE_1 src1_sel:DWORD
	s_mov_b32 s13, -1
	s_and_saveexec_b32 s40, s41
; %bb.11172:                            ;   in Loop: Header=BB6_9580 Depth=2
	s_xor_b32 s13, exec_lo, -1
; %bb.11173:                            ;   in Loop: Header=BB6_9580 Depth=2
	s_or_b32 exec_lo, exec_lo, s40
	s_and_b32 s13, s13, exec_lo
	s_or_saveexec_b32 s29, s29
	v_mov_b32_e32 v55, 0x7f800001
	s_xor_b32 exec_lo, exec_lo, s29
	s_cbranch_execnz .LBB6_11605
.LBB6_11174:                            ;   in Loop: Header=BB6_9580 Depth=2
	s_or_b32 exec_lo, exec_lo, s29
	s_and_saveexec_b32 s29, s13
	s_cbranch_execz .LBB6_11176
.LBB6_11175:                            ;   in Loop: Header=BB6_9580 Depth=2
	v_and_b32_sdwa v55, v82, v10 dst_sel:DWORD dst_unused:UNUSED_PAD src0_sel:DWORD src1_sel:BYTE_1
	v_and_b32_e32 v117, 7, v55
	v_bfe_u32 v40, v55, 3, 4
	v_ffbh_u32_e32 v118, v117
	v_cmp_eq_u32_e32 vcc_lo, 0, v40
	v_min_u32_e32 v118, 32, v118
	v_subrev_nc_u32_e32 v119, 28, v118
	v_sub_nc_u32_e32 v118, 29, v118
	v_lshlrev_b32_e32 v55, v119, v55
	v_lshlrev_b32_sdwa v119, v83, v10 dst_sel:DWORD dst_unused:UNUSED_PAD src0_sel:DWORD src1_sel:BYTE_1
	v_cndmask_b32_e32 v118, v40, v118, vcc_lo
	v_and_b32_e32 v55, 7, v55
	v_lshl_add_u32 v118, v118, 23, 0x3b800000
	v_cndmask_b32_e32 v55, v117, v55, vcc_lo
	v_and_b32_e32 v117, 0x80000000, v119
	v_lshlrev_b32_e32 v55, 20, v55
	v_or3_b32 v55, v117, v118, v55
.LBB6_11176:                            ;   in Loop: Header=BB6_9580 Depth=2
	s_or_b32 exec_lo, exec_lo, s29
	v_mul_f32_e32 v117, s28, v55
	v_and_b32_e32 v55, 0x7f800000, v117
	v_cmp_ne_u32_e32 vcc_lo, 0x7f800000, v55
	v_mov_b32_e32 v55, 0x8000
	s_and_saveexec_b32 s29, vcc_lo
	s_cbranch_execz .LBB6_11184
; %bb.11177:                            ;   in Loop: Header=BB6_9580 Depth=2
	v_mov_b32_e32 v55, 0
	s_mov_b32 s40, exec_lo
	v_cmpx_ne_u32_e32 0, v117
	s_cbranch_execz .LBB6_11183
; %bb.11178:                            ;   in Loop: Header=BB6_9580 Depth=2
	v_bfe_u32 v118, v117, 23, 8
	v_and_b32_e32 v55, 0x7fffff, v117
	v_cmp_gt_u32_e64 s13, 0x79, v118
	v_sub_nc_u32_e32 v119, 0x78, v118
	v_cmp_eq_u32_e32 vcc_lo, 0, v118
	v_or_b32_e32 v40, 0x800000, v55
	v_cndmask_b32_e64 v119, 0, v119, s13
	v_cndmask_b32_e32 v55, v40, v55, vcc_lo
	v_cndmask_b32_e64 v119, v119, 0x77, vcc_lo
	v_lshl_add_u32 v40, 0x100000, v119, -1
	v_lshlrev_b32_e64 v41, v119, 0x80000
	v_and_b32_e32 v40, v40, v55
	v_cmp_eq_u32_e64 s13, v40, v41
	v_lshrrev_b32_e32 v40, v119, v55
	v_add_nc_u32_e32 v55, 0xffffff89, v118
	v_lshrrev_b32_e32 v118, 23, v40
	v_cndmask_b32_e64 v55, v55, 0xffffff8a, vcc_lo
	v_xor_b32_e32 v118, 1, v118
	v_add_nc_u32_e32 v55, v119, v55
	v_bfe_u32 v119, v40, 20, 1
	v_add_nc_u32_e32 v119, -1, v119
	v_cndmask_b32_e64 v119, 0, v119, s13
	s_mov_b32 s13, exec_lo
	v_add_nc_u32_e32 v119, v119, v40
	v_and_b32_e32 v119, 0xfffff, v119
	v_add_nc_u32_e32 v119, v119, v40
                                        ; implicit-def: $vgpr40
	v_cmpx_ne_u32_e64 v55, v118
	s_xor_b32 s13, exec_lo, s13
; %bb.11179:                            ;   in Loop: Header=BB6_9580 Depth=2
	v_cmp_lt_u32_e32 vcc_lo, 0xffffff, v119
	v_sub_nc_u32_e32 v55, v55, v118
	v_cndmask_b32_e64 v118, 0, 1, vcc_lo
	v_add_co_ci_u32_e64 v40, null, 0, v55, vcc_lo
	v_lshrrev_b32_e32 v119, v118, v119
; %bb.11180:                            ;   in Loop: Header=BB6_9580 Depth=2
	s_andn2_saveexec_b32 s13, s13
; %bb.11181:                            ;   in Loop: Header=BB6_9580 Depth=2
	v_bfe_u32 v40, v119, 23, 1
; %bb.11182:                            ;   in Loop: Header=BB6_9580 Depth=2
	s_or_b32 exec_lo, exec_lo, s13
	v_and_b32_sdwa v55, v117, v81 dst_sel:DWORD dst_unused:UNUSED_PAD src0_sel:BYTE_3 src1_sel:DWORD
	v_lshrrev_b32_e32 v117, 20, v119
	v_min_i32_e32 v118, 15, v40
	v_cmp_gt_i32_e32 vcc_lo, 16, v40
	v_lshlrev_b32_e32 v118, 3, v118
	v_cndmask_b32_e32 v117, 7, v117, vcc_lo
	v_and_b32_e32 v118, 0xf8, v118
	v_or_b32_e32 v119, v40, v117
	v_and_b32_e32 v117, 7, v117
	v_cmp_ne_u32_e32 vcc_lo, 0, v119
	v_or3_b32 v55, v55, v118, v117
	v_lshlrev_b32_e32 v55, 8, v55
	v_cndmask_b32_e32 v55, 0, v55, vcc_lo
.LBB6_11183:                            ;   in Loop: Header=BB6_9580 Depth=2
	s_or_b32 exec_lo, exec_lo, s40
.LBB6_11184:                            ;   in Loop: Header=BB6_9580 Depth=2
	s_or_b32 exec_lo, exec_lo, s29
	v_and_b32_sdwa v118, v10, v86 dst_sel:DWORD dst_unused:UNUSED_PAD src0_sel:WORD_1 src1_sel:DWORD
	s_mov_b32 s29, 0
	s_mov_b32 s13, exec_lo
	v_cmpx_lt_i16_e32 0x7f, v118
	s_xor_b32 s13, exec_lo, s13
	s_cbranch_execz .LBB6_11606
; %bb.11185:                            ;   in Loop: Header=BB6_9580 Depth=2
	s_mov_b32 s29, -1
	s_mov_b32 s40, exec_lo
	v_cmpx_eq_u16_e32 0x80, v118
; %bb.11186:                            ;   in Loop: Header=BB6_9580 Depth=2
	s_xor_b32 s29, exec_lo, -1
; %bb.11187:                            ;   in Loop: Header=BB6_9580 Depth=2
	s_or_b32 exec_lo, exec_lo, s40
	s_and_b32 s29, s29, exec_lo
                                        ; implicit-def: $vgpr118
	s_or_saveexec_b32 s13, s13
	v_mov_b32_e32 v117, 0x7f800001
	s_xor_b32 exec_lo, exec_lo, s13
	s_cbranch_execnz .LBB6_11607
.LBB6_11188:                            ;   in Loop: Header=BB6_9580 Depth=2
	s_or_b32 exec_lo, exec_lo, s13
	s_and_saveexec_b32 s13, s29
	s_cbranch_execz .LBB6_11190
.LBB6_11189:                            ;   in Loop: Header=BB6_9580 Depth=2
	v_bfe_u32 v117, v10, 16, 3
	v_bfe_u32 v118, v10, 19, 4
	v_ffbh_u32_e32 v119, v117
	v_cmp_eq_u32_e32 vcc_lo, 0, v118
	v_min_u32_e32 v119, 32, v119
	v_subrev_nc_u32_e32 v40, 28, v119
	v_sub_nc_u32_e32 v119, 29, v119
	v_lshlrev_b32_sdwa v40, v40, v10 dst_sel:DWORD dst_unused:UNUSED_PAD src0_sel:DWORD src1_sel:WORD_1
	v_cndmask_b32_e32 v118, v118, v119, vcc_lo
	v_lshlrev_b32_e32 v119, 8, v10
	v_and_b32_e32 v40, 7, v40
	v_lshl_add_u32 v118, v118, 23, 0x3b800000
	v_and_b32_e32 v119, 0x80000000, v119
	v_cndmask_b32_e32 v117, v117, v40, vcc_lo
	v_lshlrev_b32_e32 v117, 20, v117
	v_or3_b32 v117, v119, v118, v117
.LBB6_11190:                            ;   in Loop: Header=BB6_9580 Depth=2
	s_or_b32 exec_lo, exec_lo, s13
	v_mul_f32_e32 v118, s28, v117
	v_and_b32_e32 v117, 0x7f800000, v118
	v_cmp_ne_u32_e32 vcc_lo, 0x7f800000, v117
	v_mov_b32_e32 v117, 0x80
	s_and_saveexec_b32 s29, vcc_lo
	s_cbranch_execz .LBB6_11198
; %bb.11191:                            ;   in Loop: Header=BB6_9580 Depth=2
	v_mov_b32_e32 v117, 0
	s_mov_b32 s40, exec_lo
	v_cmpx_ne_u32_e32 0, v118
	s_cbranch_execz .LBB6_11197
; %bb.11192:                            ;   in Loop: Header=BB6_9580 Depth=2
	v_bfe_u32 v119, v118, 23, 8
	v_and_b32_e32 v117, 0x7fffff, v118
	v_cmp_gt_u32_e64 s13, 0x79, v119
	v_sub_nc_u32_e32 v40, 0x78, v119
	v_cmp_eq_u32_e32 vcc_lo, 0, v119
	v_or_b32_e32 v41, 0x800000, v117
	v_cndmask_b32_e64 v40, 0, v40, s13
	v_cndmask_b32_e32 v117, v41, v117, vcc_lo
	v_cndmask_b32_e64 v40, v40, 0x77, vcc_lo
	v_lshl_add_u32 v41, 0x100000, v40, -1
	v_lshlrev_b32_e64 v42, v40, 0x80000
	v_and_b32_e32 v41, v41, v117
	v_cmp_eq_u32_e64 s13, v41, v42
	v_lshrrev_b32_e32 v41, v40, v117
	v_add_nc_u32_e32 v117, 0xffffff89, v119
	v_lshrrev_b32_e32 v119, 23, v41
	v_cndmask_b32_e64 v117, v117, 0xffffff8a, vcc_lo
	v_xor_b32_e32 v119, 1, v119
	v_add_nc_u32_e32 v117, v40, v117
	v_bfe_u32 v40, v41, 20, 1
	v_add_nc_u32_e32 v40, -1, v40
	v_cndmask_b32_e64 v40, 0, v40, s13
	s_mov_b32 s13, exec_lo
	v_add_nc_u32_e32 v40, v40, v41
	v_and_b32_e32 v40, 0xfffff, v40
	v_add_nc_u32_e32 v40, v40, v41
                                        ; implicit-def: $vgpr41
	v_cmpx_ne_u32_e64 v117, v119
	s_xor_b32 s13, exec_lo, s13
; %bb.11193:                            ;   in Loop: Header=BB6_9580 Depth=2
	v_cmp_lt_u32_e32 vcc_lo, 0xffffff, v40
	v_sub_nc_u32_e32 v117, v117, v119
	v_cndmask_b32_e64 v119, 0, 1, vcc_lo
	v_add_co_ci_u32_e64 v41, null, 0, v117, vcc_lo
	v_lshrrev_b32_e32 v40, v119, v40
; %bb.11194:                            ;   in Loop: Header=BB6_9580 Depth=2
	s_andn2_saveexec_b32 s13, s13
; %bb.11195:                            ;   in Loop: Header=BB6_9580 Depth=2
	v_bfe_u32 v41, v40, 23, 1
; %bb.11196:                            ;   in Loop: Header=BB6_9580 Depth=2
	s_or_b32 exec_lo, exec_lo, s13
	v_and_b32_sdwa v117, v118, v81 dst_sel:DWORD dst_unused:UNUSED_PAD src0_sel:BYTE_3 src1_sel:DWORD
	v_lshrrev_b32_e32 v118, 20, v40
	v_min_i32_e32 v119, 15, v41
	v_cmp_gt_i32_e32 vcc_lo, 16, v41
	v_lshlrev_b32_e32 v119, 3, v119
	v_cndmask_b32_e32 v118, 7, v118, vcc_lo
	v_and_b32_e32 v119, 0xf8, v119
	v_or_b32_e32 v40, v41, v118
	v_and_b32_e32 v118, 7, v118
	v_cmp_ne_u32_e32 vcc_lo, 0, v40
	v_or3_b32 v117, v119, v117, v118
	v_cndmask_b32_e32 v117, 0, v117, vcc_lo
.LBB6_11197:                            ;   in Loop: Header=BB6_9580 Depth=2
	s_or_b32 exec_lo, exec_lo, s40
.LBB6_11198:                            ;   in Loop: Header=BB6_9580 Depth=2
	s_or_b32 exec_lo, exec_lo, s29
	v_cmp_gt_i16_sdwa s29, v10, v80 src0_sel:BYTE_3 src1_sel:DWORD
	s_mov_b32 s13, 0
	s_and_saveexec_b32 s40, s29
	s_xor_b32 s29, exec_lo, s40
	s_cbranch_execz .LBB6_11608
; %bb.11199:                            ;   in Loop: Header=BB6_9580 Depth=2
	v_cmp_eq_u16_sdwa s41, v10, v81 src0_sel:BYTE_3 src1_sel:DWORD
	s_mov_b32 s13, -1
	s_and_saveexec_b32 s40, s41
; %bb.11200:                            ;   in Loop: Header=BB6_9580 Depth=2
	s_xor_b32 s13, exec_lo, -1
; %bb.11201:                            ;   in Loop: Header=BB6_9580 Depth=2
	s_or_b32 exec_lo, exec_lo, s40
	s_and_b32 s13, s13, exec_lo
	s_or_saveexec_b32 s29, s29
	v_mov_b32_e32 v118, 0x7f800001
	s_xor_b32 exec_lo, exec_lo, s29
	s_cbranch_execnz .LBB6_11609
.LBB6_11202:                            ;   in Loop: Header=BB6_9580 Depth=2
	s_or_b32 exec_lo, exec_lo, s29
	s_and_saveexec_b32 s29, s13
	s_cbranch_execz .LBB6_11204
.LBB6_11203:                            ;   in Loop: Header=BB6_9580 Depth=2
	v_bfe_u32 v118, v10, 24, 3
	v_bfe_u32 v41, v10, 27, 4
	v_ffbh_u32_e32 v119, v118
	v_cmp_eq_u32_e32 vcc_lo, 0, v41
	v_min_u32_e32 v119, 32, v119
	v_subrev_nc_u32_e32 v40, 28, v119
	v_sub_nc_u32_e32 v119, 29, v119
	v_lshlrev_b32_sdwa v40, v40, v10 dst_sel:DWORD dst_unused:UNUSED_PAD src0_sel:DWORD src1_sel:BYTE_3
	v_cndmask_b32_e32 v119, v41, v119, vcc_lo
	v_and_b32_e32 v10, 0x80000000, v10
	v_and_b32_e32 v40, 7, v40
	v_lshl_add_u32 v119, v119, 23, 0x3b800000
	v_cndmask_b32_e32 v118, v118, v40, vcc_lo
	v_lshlrev_b32_e32 v118, 20, v118
	v_or3_b32 v118, v10, v119, v118
.LBB6_11204:                            ;   in Loop: Header=BB6_9580 Depth=2
	s_or_b32 exec_lo, exec_lo, s29
	v_mul_f32_e32 v118, s28, v118
	v_and_b32_e32 v10, 0x7f800000, v118
	v_cmp_ne_u32_e32 vcc_lo, 0x7f800000, v10
	v_mov_b32_e32 v10, 0x8000
	s_and_saveexec_b32 s29, vcc_lo
	s_cbranch_execz .LBB6_11212
; %bb.11205:                            ;   in Loop: Header=BB6_9580 Depth=2
	v_mov_b32_e32 v10, 0
	s_mov_b32 s40, exec_lo
	v_cmpx_ne_u32_e32 0, v118
	s_cbranch_execz .LBB6_11211
; %bb.11206:                            ;   in Loop: Header=BB6_9580 Depth=2
	v_bfe_u32 v119, v118, 23, 8
	v_and_b32_e32 v10, 0x7fffff, v118
	v_cmp_gt_u32_e64 s13, 0x79, v119
	v_sub_nc_u32_e32 v40, 0x78, v119
	v_cmp_eq_u32_e32 vcc_lo, 0, v119
	v_or_b32_e32 v41, 0x800000, v10
	v_cndmask_b32_e64 v40, 0, v40, s13
	v_cndmask_b32_e32 v10, v41, v10, vcc_lo
	v_cndmask_b32_e64 v40, v40, 0x77, vcc_lo
	v_lshl_add_u32 v41, 0x100000, v40, -1
	v_lshlrev_b32_e64 v42, v40, 0x80000
	v_and_b32_e32 v41, v41, v10
	v_cmp_eq_u32_e64 s13, v41, v42
	v_lshrrev_b32_e32 v41, v40, v10
	v_add_nc_u32_e32 v10, 0xffffff89, v119
	v_lshrrev_b32_e32 v119, 23, v41
	v_cndmask_b32_e64 v10, v10, 0xffffff8a, vcc_lo
	v_xor_b32_e32 v119, 1, v119
	v_add_nc_u32_e32 v10, v40, v10
	v_bfe_u32 v40, v41, 20, 1
	v_add_nc_u32_e32 v40, -1, v40
	v_cndmask_b32_e64 v40, 0, v40, s13
	s_mov_b32 s13, exec_lo
	v_add_nc_u32_e32 v40, v40, v41
	v_and_b32_e32 v40, 0xfffff, v40
	v_add_nc_u32_e32 v40, v40, v41
                                        ; implicit-def: $vgpr41
	v_cmpx_ne_u32_e64 v10, v119
	s_xor_b32 s13, exec_lo, s13
; %bb.11207:                            ;   in Loop: Header=BB6_9580 Depth=2
	v_cmp_lt_u32_e32 vcc_lo, 0xffffff, v40
	v_sub_nc_u32_e32 v10, v10, v119
	v_cndmask_b32_e64 v119, 0, 1, vcc_lo
	v_add_co_ci_u32_e64 v41, null, 0, v10, vcc_lo
	v_lshrrev_b32_e32 v40, v119, v40
; %bb.11208:                            ;   in Loop: Header=BB6_9580 Depth=2
	s_andn2_saveexec_b32 s13, s13
; %bb.11209:                            ;   in Loop: Header=BB6_9580 Depth=2
	v_bfe_u32 v41, v40, 23, 1
; %bb.11210:                            ;   in Loop: Header=BB6_9580 Depth=2
	s_or_b32 exec_lo, exec_lo, s13
	v_and_b32_sdwa v10, v118, v81 dst_sel:DWORD dst_unused:UNUSED_PAD src0_sel:BYTE_3 src1_sel:DWORD
	v_lshrrev_b32_e32 v118, 20, v40
	v_min_i32_e32 v119, 15, v41
	v_cmp_gt_i32_e32 vcc_lo, 16, v41
	v_lshlrev_b32_e32 v119, 3, v119
	v_cndmask_b32_e32 v118, 7, v118, vcc_lo
	v_and_b32_e32 v119, 0xf8, v119
	v_or_b32_e32 v40, v41, v118
	v_and_b32_e32 v118, 7, v118
	v_cmp_ne_u32_e32 vcc_lo, 0, v40
	v_or3_b32 v10, v10, v119, v118
	v_lshlrev_b32_e32 v10, 8, v10
	v_cndmask_b32_e32 v10, 0, v10, vcc_lo
.LBB6_11211:                            ;   in Loop: Header=BB6_9580 Depth=2
	s_or_b32 exec_lo, exec_lo, s40
.LBB6_11212:                            ;   in Loop: Header=BB6_9580 Depth=2
	s_or_b32 exec_lo, exec_lo, s29
	v_cmp_gt_i16_sdwa s13, v11, v80 src0_sel:BYTE_0 src1_sel:DWORD
	s_mov_b32 s29, 0
	s_and_saveexec_b32 s40, s13
	s_xor_b32 s13, exec_lo, s40
	s_cbranch_execz .LBB6_11610
; %bb.11213:                            ;   in Loop: Header=BB6_9580 Depth=2
	v_cmp_eq_u16_sdwa s41, v11, v81 src0_sel:BYTE_0 src1_sel:DWORD
	s_mov_b32 s29, -1
	s_and_saveexec_b32 s40, s41
; %bb.11214:                            ;   in Loop: Header=BB6_9580 Depth=2
	s_xor_b32 s29, exec_lo, -1
; %bb.11215:                            ;   in Loop: Header=BB6_9580 Depth=2
	s_or_b32 exec_lo, exec_lo, s40
	s_and_b32 s29, s29, exec_lo
	s_or_saveexec_b32 s13, s13
	v_mov_b32_e32 v118, 0x7f800001
	s_xor_b32 exec_lo, exec_lo, s13
	s_cbranch_execnz .LBB6_11611
.LBB6_11216:                            ;   in Loop: Header=BB6_9580 Depth=2
	s_or_b32 exec_lo, exec_lo, s13
	s_and_saveexec_b32 s13, s29
	s_cbranch_execz .LBB6_11218
.LBB6_11217:                            ;   in Loop: Header=BB6_9580 Depth=2
	v_and_b32_e32 v118, 7, v11
	v_bfe_u32 v119, v11, 3, 4
	v_ffbh_u32_e32 v40, v118
	v_cmp_eq_u32_e32 vcc_lo, 0, v119
	v_min_u32_e32 v40, 32, v40
	v_subrev_nc_u32_e32 v41, 28, v40
	v_sub_nc_u32_e32 v40, 29, v40
	v_lshlrev_b32_e32 v41, v41, v11
	v_cndmask_b32_e32 v119, v119, v40, vcc_lo
	v_lshlrev_b32_e32 v40, 24, v11
	v_and_b32_e32 v41, 7, v41
	v_lshl_add_u32 v119, v119, 23, 0x3b800000
	v_and_b32_e32 v40, 0x80000000, v40
	v_cndmask_b32_e32 v118, v118, v41, vcc_lo
	v_lshlrev_b32_e32 v118, 20, v118
	v_or3_b32 v118, v40, v119, v118
.LBB6_11218:                            ;   in Loop: Header=BB6_9580 Depth=2
	s_or_b32 exec_lo, exec_lo, s13
	v_mul_f32_e32 v119, s28, v118
	v_and_b32_e32 v118, 0x7f800000, v119
	v_cmp_ne_u32_e32 vcc_lo, 0x7f800000, v118
	v_mov_b32_e32 v118, 0x80
	s_and_saveexec_b32 s29, vcc_lo
	s_cbranch_execz .LBB6_11226
; %bb.11219:                            ;   in Loop: Header=BB6_9580 Depth=2
	v_mov_b32_e32 v118, 0
	s_mov_b32 s40, exec_lo
	v_cmpx_ne_u32_e32 0, v119
	s_cbranch_execz .LBB6_11225
; %bb.11220:                            ;   in Loop: Header=BB6_9580 Depth=2
	v_bfe_u32 v40, v119, 23, 8
	v_and_b32_e32 v118, 0x7fffff, v119
	v_cmp_gt_u32_e64 s13, 0x79, v40
	v_sub_nc_u32_e32 v41, 0x78, v40
	v_cmp_eq_u32_e32 vcc_lo, 0, v40
	v_or_b32_e32 v42, 0x800000, v118
	v_cndmask_b32_e64 v41, 0, v41, s13
	v_cndmask_b32_e32 v118, v42, v118, vcc_lo
	v_cndmask_b32_e64 v41, v41, 0x77, vcc_lo
	v_lshl_add_u32 v42, 0x100000, v41, -1
	v_lshlrev_b32_e64 v43, v41, 0x80000
	v_and_b32_e32 v42, v42, v118
	v_cmp_eq_u32_e64 s13, v42, v43
	v_lshrrev_b32_e32 v42, v41, v118
	v_add_nc_u32_e32 v118, 0xffffff89, v40
	v_lshrrev_b32_e32 v40, 23, v42
	v_cndmask_b32_e64 v118, v118, 0xffffff8a, vcc_lo
	v_xor_b32_e32 v40, 1, v40
	v_add_nc_u32_e32 v118, v41, v118
	v_bfe_u32 v41, v42, 20, 1
	v_add_nc_u32_e32 v41, -1, v41
	v_cndmask_b32_e64 v41, 0, v41, s13
	s_mov_b32 s13, exec_lo
	v_add_nc_u32_e32 v41, v41, v42
	v_and_b32_e32 v41, 0xfffff, v41
	v_add_nc_u32_e32 v41, v41, v42
                                        ; implicit-def: $vgpr42
	v_cmpx_ne_u32_e64 v118, v40
	s_xor_b32 s13, exec_lo, s13
; %bb.11221:                            ;   in Loop: Header=BB6_9580 Depth=2
	v_cmp_lt_u32_e32 vcc_lo, 0xffffff, v41
	v_sub_nc_u32_e32 v118, v118, v40
	v_cndmask_b32_e64 v40, 0, 1, vcc_lo
	v_add_co_ci_u32_e64 v42, null, 0, v118, vcc_lo
	v_lshrrev_b32_e32 v41, v40, v41
; %bb.11222:                            ;   in Loop: Header=BB6_9580 Depth=2
	s_andn2_saveexec_b32 s13, s13
; %bb.11223:                            ;   in Loop: Header=BB6_9580 Depth=2
	v_bfe_u32 v42, v41, 23, 1
; %bb.11224:                            ;   in Loop: Header=BB6_9580 Depth=2
	s_or_b32 exec_lo, exec_lo, s13
	v_and_b32_sdwa v118, v119, v81 dst_sel:DWORD dst_unused:UNUSED_PAD src0_sel:BYTE_3 src1_sel:DWORD
	v_lshrrev_b32_e32 v119, 20, v41
	v_min_i32_e32 v40, 15, v42
	v_cmp_gt_i32_e32 vcc_lo, 16, v42
	v_lshlrev_b32_e32 v40, 3, v40
	v_cndmask_b32_e32 v119, 7, v119, vcc_lo
	v_and_b32_e32 v40, 0xf8, v40
	v_or_b32_e32 v41, v42, v119
	v_and_b32_e32 v119, 7, v119
	v_cmp_ne_u32_e32 vcc_lo, 0, v41
	v_or3_b32 v118, v40, v118, v119
	v_cndmask_b32_e32 v118, 0, v118, vcc_lo
.LBB6_11225:                            ;   in Loop: Header=BB6_9580 Depth=2
	s_or_b32 exec_lo, exec_lo, s40
.LBB6_11226:                            ;   in Loop: Header=BB6_9580 Depth=2
	s_or_b32 exec_lo, exec_lo, s29
	v_cmp_gt_i16_sdwa s29, v11, v80 src0_sel:BYTE_1 src1_sel:DWORD
	s_mov_b32 s13, 0
	s_and_saveexec_b32 s40, s29
	s_xor_b32 s29, exec_lo, s40
	s_cbranch_execz .LBB6_11612
; %bb.11227:                            ;   in Loop: Header=BB6_9580 Depth=2
	v_cmp_eq_u16_sdwa s41, v11, v81 src0_sel:BYTE_1 src1_sel:DWORD
	s_mov_b32 s13, -1
	s_and_saveexec_b32 s40, s41
; %bb.11228:                            ;   in Loop: Header=BB6_9580 Depth=2
	s_xor_b32 s13, exec_lo, -1
; %bb.11229:                            ;   in Loop: Header=BB6_9580 Depth=2
	s_or_b32 exec_lo, exec_lo, s40
	s_and_b32 s13, s13, exec_lo
	s_or_saveexec_b32 s29, s29
	v_mov_b32_e32 v119, 0x7f800001
	s_xor_b32 exec_lo, exec_lo, s29
	s_cbranch_execnz .LBB6_11613
.LBB6_11230:                            ;   in Loop: Header=BB6_9580 Depth=2
	s_or_b32 exec_lo, exec_lo, s29
	s_and_saveexec_b32 s29, s13
	s_cbranch_execz .LBB6_11232
.LBB6_11231:                            ;   in Loop: Header=BB6_9580 Depth=2
	v_and_b32_sdwa v119, v82, v11 dst_sel:DWORD dst_unused:UNUSED_PAD src0_sel:DWORD src1_sel:BYTE_1
	v_and_b32_e32 v40, 7, v119
	v_bfe_u32 v43, v119, 3, 4
	v_ffbh_u32_e32 v41, v40
	v_cmp_eq_u32_e32 vcc_lo, 0, v43
	v_min_u32_e32 v41, 32, v41
	v_subrev_nc_u32_e32 v42, 28, v41
	v_sub_nc_u32_e32 v41, 29, v41
	v_lshlrev_b32_e32 v119, v42, v119
	v_lshlrev_b32_sdwa v42, v83, v11 dst_sel:DWORD dst_unused:UNUSED_PAD src0_sel:DWORD src1_sel:BYTE_1
	v_cndmask_b32_e32 v41, v43, v41, vcc_lo
	v_and_b32_e32 v119, 7, v119
	v_lshl_add_u32 v41, v41, 23, 0x3b800000
	v_cndmask_b32_e32 v119, v40, v119, vcc_lo
	v_and_b32_e32 v40, 0x80000000, v42
	v_lshlrev_b32_e32 v119, 20, v119
	v_or3_b32 v119, v40, v41, v119
.LBB6_11232:                            ;   in Loop: Header=BB6_9580 Depth=2
	s_or_b32 exec_lo, exec_lo, s29
	v_mul_f32_e32 v40, s28, v119
	v_and_b32_e32 v119, 0x7f800000, v40
	v_cmp_ne_u32_e32 vcc_lo, 0x7f800000, v119
	v_mov_b32_e32 v119, 0x8000
	s_and_saveexec_b32 s29, vcc_lo
	s_cbranch_execz .LBB6_11240
; %bb.11233:                            ;   in Loop: Header=BB6_9580 Depth=2
	v_mov_b32_e32 v119, 0
	s_mov_b32 s40, exec_lo
	v_cmpx_ne_u32_e32 0, v40
	s_cbranch_execz .LBB6_11239
; %bb.11234:                            ;   in Loop: Header=BB6_9580 Depth=2
	v_bfe_u32 v41, v40, 23, 8
	v_and_b32_e32 v119, 0x7fffff, v40
	v_cmp_gt_u32_e64 s13, 0x79, v41
	v_sub_nc_u32_e32 v42, 0x78, v41
	v_cmp_eq_u32_e32 vcc_lo, 0, v41
	v_or_b32_e32 v43, 0x800000, v119
	v_cndmask_b32_e64 v42, 0, v42, s13
	v_cndmask_b32_e32 v119, v43, v119, vcc_lo
	v_cndmask_b32_e64 v42, v42, 0x77, vcc_lo
	v_lshl_add_u32 v43, 0x100000, v42, -1
	v_lshlrev_b32_e64 v44, v42, 0x80000
	v_and_b32_e32 v43, v43, v119
	v_cmp_eq_u32_e64 s13, v43, v44
	v_lshrrev_b32_e32 v43, v42, v119
	v_add_nc_u32_e32 v119, 0xffffff89, v41
	v_lshrrev_b32_e32 v41, 23, v43
	v_cndmask_b32_e64 v119, v119, 0xffffff8a, vcc_lo
	v_xor_b32_e32 v41, 1, v41
	v_add_nc_u32_e32 v119, v42, v119
	v_bfe_u32 v42, v43, 20, 1
	v_add_nc_u32_e32 v42, -1, v42
	v_cndmask_b32_e64 v42, 0, v42, s13
	s_mov_b32 s13, exec_lo
	v_add_nc_u32_e32 v42, v42, v43
	v_and_b32_e32 v42, 0xfffff, v42
	v_add_nc_u32_e32 v42, v42, v43
                                        ; implicit-def: $vgpr43
	v_cmpx_ne_u32_e64 v119, v41
	s_xor_b32 s13, exec_lo, s13
; %bb.11235:                            ;   in Loop: Header=BB6_9580 Depth=2
	v_cmp_lt_u32_e32 vcc_lo, 0xffffff, v42
	v_sub_nc_u32_e32 v119, v119, v41
	v_cndmask_b32_e64 v41, 0, 1, vcc_lo
	v_add_co_ci_u32_e64 v43, null, 0, v119, vcc_lo
	v_lshrrev_b32_e32 v42, v41, v42
; %bb.11236:                            ;   in Loop: Header=BB6_9580 Depth=2
	s_andn2_saveexec_b32 s13, s13
; %bb.11237:                            ;   in Loop: Header=BB6_9580 Depth=2
	v_bfe_u32 v43, v42, 23, 1
; %bb.11238:                            ;   in Loop: Header=BB6_9580 Depth=2
	s_or_b32 exec_lo, exec_lo, s13
	v_and_b32_sdwa v119, v40, v81 dst_sel:DWORD dst_unused:UNUSED_PAD src0_sel:BYTE_3 src1_sel:DWORD
	v_lshrrev_b32_e32 v40, 20, v42
	v_min_i32_e32 v41, 15, v43
	v_cmp_gt_i32_e32 vcc_lo, 16, v43
	v_lshlrev_b32_e32 v41, 3, v41
	v_cndmask_b32_e32 v40, 7, v40, vcc_lo
	v_and_b32_e32 v41, 0xf8, v41
	v_or_b32_e32 v42, v43, v40
	v_and_b32_e32 v40, 7, v40
	v_cmp_ne_u32_e32 vcc_lo, 0, v42
	v_or3_b32 v119, v119, v41, v40
	v_lshlrev_b32_e32 v119, 8, v119
	v_cndmask_b32_e32 v119, 0, v119, vcc_lo
.LBB6_11239:                            ;   in Loop: Header=BB6_9580 Depth=2
	s_or_b32 exec_lo, exec_lo, s40
.LBB6_11240:                            ;   in Loop: Header=BB6_9580 Depth=2
	s_or_b32 exec_lo, exec_lo, s29
	v_and_b32_sdwa v41, v11, v86 dst_sel:DWORD dst_unused:UNUSED_PAD src0_sel:WORD_1 src1_sel:DWORD
	s_mov_b32 s29, 0
	s_mov_b32 s13, exec_lo
	v_cmpx_lt_i16_e32 0x7f, v41
	s_xor_b32 s13, exec_lo, s13
	s_cbranch_execz .LBB6_11614
; %bb.11241:                            ;   in Loop: Header=BB6_9580 Depth=2
	s_mov_b32 s29, -1
	s_mov_b32 s40, exec_lo
	v_cmpx_eq_u16_e32 0x80, v41
; %bb.11242:                            ;   in Loop: Header=BB6_9580 Depth=2
	s_xor_b32 s29, exec_lo, -1
; %bb.11243:                            ;   in Loop: Header=BB6_9580 Depth=2
	s_or_b32 exec_lo, exec_lo, s40
	s_and_b32 s29, s29, exec_lo
                                        ; implicit-def: $vgpr41
	s_or_saveexec_b32 s13, s13
	v_mov_b32_e32 v40, 0x7f800001
	s_xor_b32 exec_lo, exec_lo, s13
	s_cbranch_execnz .LBB6_11615
.LBB6_11244:                            ;   in Loop: Header=BB6_9580 Depth=2
	s_or_b32 exec_lo, exec_lo, s13
	s_and_saveexec_b32 s13, s29
	s_cbranch_execz .LBB6_11246
.LBB6_11245:                            ;   in Loop: Header=BB6_9580 Depth=2
	v_bfe_u32 v40, v11, 16, 3
	v_bfe_u32 v41, v11, 19, 4
	v_ffbh_u32_e32 v42, v40
	v_cmp_eq_u32_e32 vcc_lo, 0, v41
	v_min_u32_e32 v42, 32, v42
	v_subrev_nc_u32_e32 v43, 28, v42
	v_sub_nc_u32_e32 v42, 29, v42
	v_lshlrev_b32_sdwa v43, v43, v11 dst_sel:DWORD dst_unused:UNUSED_PAD src0_sel:DWORD src1_sel:WORD_1
	v_cndmask_b32_e32 v41, v41, v42, vcc_lo
	v_lshlrev_b32_e32 v42, 8, v11
	v_and_b32_e32 v43, 7, v43
	v_lshl_add_u32 v41, v41, 23, 0x3b800000
	v_and_b32_e32 v42, 0x80000000, v42
	v_cndmask_b32_e32 v40, v40, v43, vcc_lo
	v_lshlrev_b32_e32 v40, 20, v40
	v_or3_b32 v40, v42, v41, v40
.LBB6_11246:                            ;   in Loop: Header=BB6_9580 Depth=2
	s_or_b32 exec_lo, exec_lo, s13
	v_mul_f32_e32 v41, s28, v40
	v_and_b32_e32 v40, 0x7f800000, v41
	v_cmp_ne_u32_e32 vcc_lo, 0x7f800000, v40
	v_mov_b32_e32 v40, 0x80
	s_and_saveexec_b32 s29, vcc_lo
	s_cbranch_execz .LBB6_11254
; %bb.11247:                            ;   in Loop: Header=BB6_9580 Depth=2
	v_mov_b32_e32 v40, 0
	s_mov_b32 s40, exec_lo
	v_cmpx_ne_u32_e32 0, v41
	s_cbranch_execz .LBB6_11253
; %bb.11248:                            ;   in Loop: Header=BB6_9580 Depth=2
	v_bfe_u32 v42, v41, 23, 8
	v_and_b32_e32 v40, 0x7fffff, v41
	v_cmp_gt_u32_e64 s13, 0x79, v42
	v_sub_nc_u32_e32 v43, 0x78, v42
	v_cmp_eq_u32_e32 vcc_lo, 0, v42
	v_or_b32_e32 v44, 0x800000, v40
	v_cndmask_b32_e64 v43, 0, v43, s13
	v_cndmask_b32_e32 v40, v44, v40, vcc_lo
	v_cndmask_b32_e64 v43, v43, 0x77, vcc_lo
	v_lshl_add_u32 v44, 0x100000, v43, -1
	v_lshlrev_b32_e64 v45, v43, 0x80000
	v_and_b32_e32 v44, v44, v40
	v_cmp_eq_u32_e64 s13, v44, v45
	v_lshrrev_b32_e32 v44, v43, v40
	v_add_nc_u32_e32 v40, 0xffffff89, v42
	v_lshrrev_b32_e32 v42, 23, v44
	v_cndmask_b32_e64 v40, v40, 0xffffff8a, vcc_lo
	v_xor_b32_e32 v42, 1, v42
	v_add_nc_u32_e32 v40, v43, v40
	v_bfe_u32 v43, v44, 20, 1
	v_add_nc_u32_e32 v43, -1, v43
	v_cndmask_b32_e64 v43, 0, v43, s13
	s_mov_b32 s13, exec_lo
	v_add_nc_u32_e32 v43, v43, v44
	v_and_b32_e32 v43, 0xfffff, v43
	v_add_nc_u32_e32 v43, v43, v44
                                        ; implicit-def: $vgpr44
	v_cmpx_ne_u32_e64 v40, v42
	s_xor_b32 s13, exec_lo, s13
; %bb.11249:                            ;   in Loop: Header=BB6_9580 Depth=2
	v_cmp_lt_u32_e32 vcc_lo, 0xffffff, v43
	v_sub_nc_u32_e32 v40, v40, v42
	v_cndmask_b32_e64 v42, 0, 1, vcc_lo
	v_add_co_ci_u32_e64 v44, null, 0, v40, vcc_lo
	v_lshrrev_b32_e32 v43, v42, v43
; %bb.11250:                            ;   in Loop: Header=BB6_9580 Depth=2
	s_andn2_saveexec_b32 s13, s13
; %bb.11251:                            ;   in Loop: Header=BB6_9580 Depth=2
	v_bfe_u32 v44, v43, 23, 1
; %bb.11252:                            ;   in Loop: Header=BB6_9580 Depth=2
	s_or_b32 exec_lo, exec_lo, s13
	v_and_b32_sdwa v40, v41, v81 dst_sel:DWORD dst_unused:UNUSED_PAD src0_sel:BYTE_3 src1_sel:DWORD
	v_lshrrev_b32_e32 v41, 20, v43
	v_min_i32_e32 v42, 15, v44
	v_cmp_gt_i32_e32 vcc_lo, 16, v44
	v_lshlrev_b32_e32 v42, 3, v42
	v_cndmask_b32_e32 v41, 7, v41, vcc_lo
	v_and_b32_e32 v42, 0xf8, v42
	v_or_b32_e32 v43, v44, v41
	v_and_b32_e32 v41, 7, v41
	v_cmp_ne_u32_e32 vcc_lo, 0, v43
	v_or3_b32 v40, v42, v40, v41
	v_cndmask_b32_e32 v40, 0, v40, vcc_lo
.LBB6_11253:                            ;   in Loop: Header=BB6_9580 Depth=2
	s_or_b32 exec_lo, exec_lo, s40
.LBB6_11254:                            ;   in Loop: Header=BB6_9580 Depth=2
	s_or_b32 exec_lo, exec_lo, s29
	v_cmp_gt_i16_sdwa s29, v11, v80 src0_sel:BYTE_3 src1_sel:DWORD
	s_mov_b32 s13, 0
	s_and_saveexec_b32 s40, s29
	s_xor_b32 s29, exec_lo, s40
	s_cbranch_execz .LBB6_11616
; %bb.11255:                            ;   in Loop: Header=BB6_9580 Depth=2
	v_cmp_eq_u16_sdwa s41, v11, v81 src0_sel:BYTE_3 src1_sel:DWORD
	s_mov_b32 s13, -1
	s_and_saveexec_b32 s40, s41
; %bb.11256:                            ;   in Loop: Header=BB6_9580 Depth=2
	s_xor_b32 s13, exec_lo, -1
; %bb.11257:                            ;   in Loop: Header=BB6_9580 Depth=2
	s_or_b32 exec_lo, exec_lo, s40
	s_and_b32 s13, s13, exec_lo
	s_or_saveexec_b32 s29, s29
	v_mov_b32_e32 v41, 0x7f800001
	s_xor_b32 exec_lo, exec_lo, s29
	s_cbranch_execnz .LBB6_11617
.LBB6_11258:                            ;   in Loop: Header=BB6_9580 Depth=2
	s_or_b32 exec_lo, exec_lo, s29
	s_and_saveexec_b32 s29, s13
	s_cbranch_execz .LBB6_11260
.LBB6_11259:                            ;   in Loop: Header=BB6_9580 Depth=2
	v_bfe_u32 v41, v11, 24, 3
	v_bfe_u32 v44, v11, 27, 4
	v_ffbh_u32_e32 v42, v41
	v_cmp_eq_u32_e32 vcc_lo, 0, v44
	v_min_u32_e32 v42, 32, v42
	v_subrev_nc_u32_e32 v43, 28, v42
	v_sub_nc_u32_e32 v42, 29, v42
	v_lshlrev_b32_sdwa v43, v43, v11 dst_sel:DWORD dst_unused:UNUSED_PAD src0_sel:DWORD src1_sel:BYTE_3
	v_cndmask_b32_e32 v42, v44, v42, vcc_lo
	v_and_b32_e32 v11, 0x80000000, v11
	v_and_b32_e32 v43, 7, v43
	v_lshl_add_u32 v42, v42, 23, 0x3b800000
	v_cndmask_b32_e32 v41, v41, v43, vcc_lo
	v_lshlrev_b32_e32 v41, 20, v41
	v_or3_b32 v41, v11, v42, v41
.LBB6_11260:                            ;   in Loop: Header=BB6_9580 Depth=2
	s_or_b32 exec_lo, exec_lo, s29
	v_mul_f32_e32 v41, s28, v41
	v_and_b32_e32 v11, 0x7f800000, v41
	v_cmp_ne_u32_e32 vcc_lo, 0x7f800000, v11
	v_mov_b32_e32 v11, 0x8000
	s_and_saveexec_b32 s29, vcc_lo
	s_cbranch_execz .LBB6_11268
; %bb.11261:                            ;   in Loop: Header=BB6_9580 Depth=2
	v_mov_b32_e32 v11, 0
	s_mov_b32 s40, exec_lo
	v_cmpx_ne_u32_e32 0, v41
	s_cbranch_execz .LBB6_11267
; %bb.11262:                            ;   in Loop: Header=BB6_9580 Depth=2
	v_bfe_u32 v42, v41, 23, 8
	v_and_b32_e32 v11, 0x7fffff, v41
	v_cmp_gt_u32_e64 s13, 0x79, v42
	v_sub_nc_u32_e32 v43, 0x78, v42
	v_cmp_eq_u32_e32 vcc_lo, 0, v42
	v_or_b32_e32 v44, 0x800000, v11
	v_cndmask_b32_e64 v43, 0, v43, s13
	v_cndmask_b32_e32 v11, v44, v11, vcc_lo
	v_cndmask_b32_e64 v43, v43, 0x77, vcc_lo
	v_lshl_add_u32 v44, 0x100000, v43, -1
	v_lshlrev_b32_e64 v45, v43, 0x80000
	v_and_b32_e32 v44, v44, v11
	v_cmp_eq_u32_e64 s13, v44, v45
	v_lshrrev_b32_e32 v44, v43, v11
	v_add_nc_u32_e32 v11, 0xffffff89, v42
	v_lshrrev_b32_e32 v42, 23, v44
	v_cndmask_b32_e64 v11, v11, 0xffffff8a, vcc_lo
	v_xor_b32_e32 v42, 1, v42
	v_add_nc_u32_e32 v11, v43, v11
	v_bfe_u32 v43, v44, 20, 1
	v_add_nc_u32_e32 v43, -1, v43
	v_cndmask_b32_e64 v43, 0, v43, s13
	s_mov_b32 s13, exec_lo
	v_add_nc_u32_e32 v43, v43, v44
	v_and_b32_e32 v43, 0xfffff, v43
	v_add_nc_u32_e32 v43, v43, v44
                                        ; implicit-def: $vgpr44
	v_cmpx_ne_u32_e64 v11, v42
	s_xor_b32 s13, exec_lo, s13
; %bb.11263:                            ;   in Loop: Header=BB6_9580 Depth=2
	v_cmp_lt_u32_e32 vcc_lo, 0xffffff, v43
	v_sub_nc_u32_e32 v11, v11, v42
	v_cndmask_b32_e64 v42, 0, 1, vcc_lo
	v_add_co_ci_u32_e64 v44, null, 0, v11, vcc_lo
	v_lshrrev_b32_e32 v43, v42, v43
; %bb.11264:                            ;   in Loop: Header=BB6_9580 Depth=2
	s_andn2_saveexec_b32 s13, s13
; %bb.11265:                            ;   in Loop: Header=BB6_9580 Depth=2
	v_bfe_u32 v44, v43, 23, 1
; %bb.11266:                            ;   in Loop: Header=BB6_9580 Depth=2
	s_or_b32 exec_lo, exec_lo, s13
	v_and_b32_sdwa v11, v41, v81 dst_sel:DWORD dst_unused:UNUSED_PAD src0_sel:BYTE_3 src1_sel:DWORD
	v_lshrrev_b32_e32 v41, 20, v43
	v_min_i32_e32 v42, 15, v44
	v_cmp_gt_i32_e32 vcc_lo, 16, v44
	v_lshlrev_b32_e32 v42, 3, v42
	v_cndmask_b32_e32 v41, 7, v41, vcc_lo
	v_and_b32_e32 v42, 0xf8, v42
	v_or_b32_e32 v43, v44, v41
	v_and_b32_e32 v41, 7, v41
	v_cmp_ne_u32_e32 vcc_lo, 0, v43
	v_or3_b32 v11, v11, v42, v41
	v_lshlrev_b32_e32 v11, 8, v11
	v_cndmask_b32_e32 v11, 0, v11, vcc_lo
.LBB6_11267:                            ;   in Loop: Header=BB6_9580 Depth=2
	s_or_b32 exec_lo, exec_lo, s40
.LBB6_11268:                            ;   in Loop: Header=BB6_9580 Depth=2
	s_or_b32 exec_lo, exec_lo, s29
	v_cmp_gt_i16_sdwa s13, v12, v80 src0_sel:BYTE_0 src1_sel:DWORD
	s_mov_b32 s29, 0
	s_and_saveexec_b32 s40, s13
	s_xor_b32 s13, exec_lo, s40
	s_cbranch_execz .LBB6_11618
; %bb.11269:                            ;   in Loop: Header=BB6_9580 Depth=2
	v_cmp_eq_u16_sdwa s41, v12, v81 src0_sel:BYTE_0 src1_sel:DWORD
	s_mov_b32 s29, -1
	s_and_saveexec_b32 s40, s41
; %bb.11270:                            ;   in Loop: Header=BB6_9580 Depth=2
	s_xor_b32 s29, exec_lo, -1
; %bb.11271:                            ;   in Loop: Header=BB6_9580 Depth=2
	s_or_b32 exec_lo, exec_lo, s40
	s_and_b32 s29, s29, exec_lo
	s_or_saveexec_b32 s13, s13
	v_mov_b32_e32 v41, 0x7f800001
	s_xor_b32 exec_lo, exec_lo, s13
	s_cbranch_execnz .LBB6_11619
.LBB6_11272:                            ;   in Loop: Header=BB6_9580 Depth=2
	s_or_b32 exec_lo, exec_lo, s13
	s_and_saveexec_b32 s13, s29
	s_cbranch_execz .LBB6_11274
.LBB6_11273:                            ;   in Loop: Header=BB6_9580 Depth=2
	v_and_b32_e32 v41, 7, v12
	v_bfe_u32 v42, v12, 3, 4
	v_ffbh_u32_e32 v43, v41
	v_cmp_eq_u32_e32 vcc_lo, 0, v42
	v_min_u32_e32 v43, 32, v43
	v_subrev_nc_u32_e32 v44, 28, v43
	v_sub_nc_u32_e32 v43, 29, v43
	v_lshlrev_b32_e32 v44, v44, v12
	v_cndmask_b32_e32 v42, v42, v43, vcc_lo
	v_lshlrev_b32_e32 v43, 24, v12
	v_and_b32_e32 v44, 7, v44
	v_lshl_add_u32 v42, v42, 23, 0x3b800000
	v_and_b32_e32 v43, 0x80000000, v43
	v_cndmask_b32_e32 v41, v41, v44, vcc_lo
	v_lshlrev_b32_e32 v41, 20, v41
	v_or3_b32 v41, v43, v42, v41
.LBB6_11274:                            ;   in Loop: Header=BB6_9580 Depth=2
	s_or_b32 exec_lo, exec_lo, s13
	v_mul_f32_e32 v42, s28, v41
	v_and_b32_e32 v41, 0x7f800000, v42
	v_cmp_ne_u32_e32 vcc_lo, 0x7f800000, v41
	v_mov_b32_e32 v41, 0x80
	s_and_saveexec_b32 s29, vcc_lo
	s_cbranch_execz .LBB6_11282
; %bb.11275:                            ;   in Loop: Header=BB6_9580 Depth=2
	v_mov_b32_e32 v41, 0
	s_mov_b32 s40, exec_lo
	v_cmpx_ne_u32_e32 0, v42
	s_cbranch_execz .LBB6_11281
; %bb.11276:                            ;   in Loop: Header=BB6_9580 Depth=2
	v_bfe_u32 v43, v42, 23, 8
	v_and_b32_e32 v41, 0x7fffff, v42
	v_cmp_gt_u32_e64 s13, 0x79, v43
	v_sub_nc_u32_e32 v44, 0x78, v43
	v_cmp_eq_u32_e32 vcc_lo, 0, v43
	v_or_b32_e32 v45, 0x800000, v41
	v_cndmask_b32_e64 v44, 0, v44, s13
	v_cndmask_b32_e32 v41, v45, v41, vcc_lo
	v_cndmask_b32_e64 v44, v44, 0x77, vcc_lo
	v_lshl_add_u32 v45, 0x100000, v44, -1
	v_lshlrev_b32_e64 v46, v44, 0x80000
	v_and_b32_e32 v45, v45, v41
	v_cmp_eq_u32_e64 s13, v45, v46
	v_lshrrev_b32_e32 v45, v44, v41
	v_add_nc_u32_e32 v41, 0xffffff89, v43
	v_lshrrev_b32_e32 v43, 23, v45
	v_cndmask_b32_e64 v41, v41, 0xffffff8a, vcc_lo
	v_xor_b32_e32 v43, 1, v43
	v_add_nc_u32_e32 v41, v44, v41
	v_bfe_u32 v44, v45, 20, 1
	v_add_nc_u32_e32 v44, -1, v44
	v_cndmask_b32_e64 v44, 0, v44, s13
	s_mov_b32 s13, exec_lo
	v_add_nc_u32_e32 v44, v44, v45
	v_and_b32_e32 v44, 0xfffff, v44
	v_add_nc_u32_e32 v44, v44, v45
                                        ; implicit-def: $vgpr45
	v_cmpx_ne_u32_e64 v41, v43
	s_xor_b32 s13, exec_lo, s13
; %bb.11277:                            ;   in Loop: Header=BB6_9580 Depth=2
	v_cmp_lt_u32_e32 vcc_lo, 0xffffff, v44
	v_sub_nc_u32_e32 v41, v41, v43
	v_cndmask_b32_e64 v43, 0, 1, vcc_lo
	v_add_co_ci_u32_e64 v45, null, 0, v41, vcc_lo
	v_lshrrev_b32_e32 v44, v43, v44
; %bb.11278:                            ;   in Loop: Header=BB6_9580 Depth=2
	s_andn2_saveexec_b32 s13, s13
; %bb.11279:                            ;   in Loop: Header=BB6_9580 Depth=2
	v_bfe_u32 v45, v44, 23, 1
; %bb.11280:                            ;   in Loop: Header=BB6_9580 Depth=2
	s_or_b32 exec_lo, exec_lo, s13
	v_and_b32_sdwa v41, v42, v81 dst_sel:DWORD dst_unused:UNUSED_PAD src0_sel:BYTE_3 src1_sel:DWORD
	v_lshrrev_b32_e32 v42, 20, v44
	v_min_i32_e32 v43, 15, v45
	v_cmp_gt_i32_e32 vcc_lo, 16, v45
	v_lshlrev_b32_e32 v43, 3, v43
	v_cndmask_b32_e32 v42, 7, v42, vcc_lo
	v_and_b32_e32 v43, 0xf8, v43
	v_or_b32_e32 v44, v45, v42
	v_and_b32_e32 v42, 7, v42
	v_cmp_ne_u32_e32 vcc_lo, 0, v44
	v_or3_b32 v41, v43, v41, v42
	v_cndmask_b32_e32 v41, 0, v41, vcc_lo
.LBB6_11281:                            ;   in Loop: Header=BB6_9580 Depth=2
	s_or_b32 exec_lo, exec_lo, s40
.LBB6_11282:                            ;   in Loop: Header=BB6_9580 Depth=2
	s_or_b32 exec_lo, exec_lo, s29
	v_cmp_gt_i16_sdwa s29, v12, v80 src0_sel:BYTE_1 src1_sel:DWORD
	s_mov_b32 s13, 0
	s_and_saveexec_b32 s40, s29
	s_xor_b32 s29, exec_lo, s40
	s_cbranch_execz .LBB6_11620
; %bb.11283:                            ;   in Loop: Header=BB6_9580 Depth=2
	v_cmp_eq_u16_sdwa s41, v12, v81 src0_sel:BYTE_1 src1_sel:DWORD
	s_mov_b32 s13, -1
	s_and_saveexec_b32 s40, s41
; %bb.11284:                            ;   in Loop: Header=BB6_9580 Depth=2
	s_xor_b32 s13, exec_lo, -1
; %bb.11285:                            ;   in Loop: Header=BB6_9580 Depth=2
	s_or_b32 exec_lo, exec_lo, s40
	s_and_b32 s13, s13, exec_lo
	s_or_saveexec_b32 s29, s29
	v_mov_b32_e32 v42, 0x7f800001
	s_xor_b32 exec_lo, exec_lo, s29
	s_cbranch_execnz .LBB6_11621
.LBB6_11286:                            ;   in Loop: Header=BB6_9580 Depth=2
	s_or_b32 exec_lo, exec_lo, s29
	s_and_saveexec_b32 s29, s13
	s_cbranch_execz .LBB6_11288
.LBB6_11287:                            ;   in Loop: Header=BB6_9580 Depth=2
	v_and_b32_sdwa v42, v82, v12 dst_sel:DWORD dst_unused:UNUSED_PAD src0_sel:DWORD src1_sel:BYTE_1
	v_and_b32_e32 v43, 7, v42
	v_bfe_u32 v46, v42, 3, 4
	v_ffbh_u32_e32 v44, v43
	v_cmp_eq_u32_e32 vcc_lo, 0, v46
	v_min_u32_e32 v44, 32, v44
	v_subrev_nc_u32_e32 v45, 28, v44
	v_sub_nc_u32_e32 v44, 29, v44
	v_lshlrev_b32_e32 v42, v45, v42
	v_lshlrev_b32_sdwa v45, v83, v12 dst_sel:DWORD dst_unused:UNUSED_PAD src0_sel:DWORD src1_sel:BYTE_1
	v_cndmask_b32_e32 v44, v46, v44, vcc_lo
	v_and_b32_e32 v42, 7, v42
	v_lshl_add_u32 v44, v44, 23, 0x3b800000
	v_cndmask_b32_e32 v42, v43, v42, vcc_lo
	v_and_b32_e32 v43, 0x80000000, v45
	v_lshlrev_b32_e32 v42, 20, v42
	v_or3_b32 v42, v43, v44, v42
.LBB6_11288:                            ;   in Loop: Header=BB6_9580 Depth=2
	s_or_b32 exec_lo, exec_lo, s29
	v_mul_f32_e32 v43, s28, v42
	v_and_b32_e32 v42, 0x7f800000, v43
	v_cmp_ne_u32_e32 vcc_lo, 0x7f800000, v42
	v_mov_b32_e32 v42, 0x8000
	s_and_saveexec_b32 s29, vcc_lo
	s_cbranch_execz .LBB6_11296
; %bb.11289:                            ;   in Loop: Header=BB6_9580 Depth=2
	v_mov_b32_e32 v42, 0
	s_mov_b32 s40, exec_lo
	v_cmpx_ne_u32_e32 0, v43
	s_cbranch_execz .LBB6_11295
; %bb.11290:                            ;   in Loop: Header=BB6_9580 Depth=2
	v_bfe_u32 v44, v43, 23, 8
	v_and_b32_e32 v42, 0x7fffff, v43
	v_cmp_gt_u32_e64 s13, 0x79, v44
	v_sub_nc_u32_e32 v45, 0x78, v44
	v_cmp_eq_u32_e32 vcc_lo, 0, v44
	v_or_b32_e32 v46, 0x800000, v42
	v_cndmask_b32_e64 v45, 0, v45, s13
	v_cndmask_b32_e32 v42, v46, v42, vcc_lo
	v_cndmask_b32_e64 v45, v45, 0x77, vcc_lo
	v_lshl_add_u32 v46, 0x100000, v45, -1
	v_lshlrev_b32_e64 v47, v45, 0x80000
	v_and_b32_e32 v46, v46, v42
	v_cmp_eq_u32_e64 s13, v46, v47
	v_lshrrev_b32_e32 v46, v45, v42
	v_add_nc_u32_e32 v42, 0xffffff89, v44
	v_lshrrev_b32_e32 v44, 23, v46
	v_cndmask_b32_e64 v42, v42, 0xffffff8a, vcc_lo
	v_xor_b32_e32 v44, 1, v44
	v_add_nc_u32_e32 v42, v45, v42
	v_bfe_u32 v45, v46, 20, 1
	v_add_nc_u32_e32 v45, -1, v45
	v_cndmask_b32_e64 v45, 0, v45, s13
	s_mov_b32 s13, exec_lo
	v_add_nc_u32_e32 v45, v45, v46
	v_and_b32_e32 v45, 0xfffff, v45
	v_add_nc_u32_e32 v45, v45, v46
                                        ; implicit-def: $vgpr46
	v_cmpx_ne_u32_e64 v42, v44
	s_xor_b32 s13, exec_lo, s13
; %bb.11291:                            ;   in Loop: Header=BB6_9580 Depth=2
	v_cmp_lt_u32_e32 vcc_lo, 0xffffff, v45
	v_sub_nc_u32_e32 v42, v42, v44
	v_cndmask_b32_e64 v44, 0, 1, vcc_lo
	v_add_co_ci_u32_e64 v46, null, 0, v42, vcc_lo
	v_lshrrev_b32_e32 v45, v44, v45
; %bb.11292:                            ;   in Loop: Header=BB6_9580 Depth=2
	s_andn2_saveexec_b32 s13, s13
; %bb.11293:                            ;   in Loop: Header=BB6_9580 Depth=2
	v_bfe_u32 v46, v45, 23, 1
; %bb.11294:                            ;   in Loop: Header=BB6_9580 Depth=2
	s_or_b32 exec_lo, exec_lo, s13
	v_and_b32_sdwa v42, v43, v81 dst_sel:DWORD dst_unused:UNUSED_PAD src0_sel:BYTE_3 src1_sel:DWORD
	v_lshrrev_b32_e32 v43, 20, v45
	v_min_i32_e32 v44, 15, v46
	v_cmp_gt_i32_e32 vcc_lo, 16, v46
	v_lshlrev_b32_e32 v44, 3, v44
	v_cndmask_b32_e32 v43, 7, v43, vcc_lo
	v_and_b32_e32 v44, 0xf8, v44
	v_or_b32_e32 v45, v46, v43
	v_and_b32_e32 v43, 7, v43
	v_cmp_ne_u32_e32 vcc_lo, 0, v45
	v_or3_b32 v42, v42, v44, v43
	v_lshlrev_b32_e32 v42, 8, v42
	v_cndmask_b32_e32 v42, 0, v42, vcc_lo
.LBB6_11295:                            ;   in Loop: Header=BB6_9580 Depth=2
	s_or_b32 exec_lo, exec_lo, s40
.LBB6_11296:                            ;   in Loop: Header=BB6_9580 Depth=2
	s_or_b32 exec_lo, exec_lo, s29
	v_and_b32_sdwa v44, v12, v86 dst_sel:DWORD dst_unused:UNUSED_PAD src0_sel:WORD_1 src1_sel:DWORD
	s_mov_b32 s29, 0
	s_mov_b32 s13, exec_lo
	v_cmpx_lt_i16_e32 0x7f, v44
	s_xor_b32 s13, exec_lo, s13
	s_cbranch_execz .LBB6_11622
; %bb.11297:                            ;   in Loop: Header=BB6_9580 Depth=2
	s_mov_b32 s29, -1
	s_mov_b32 s40, exec_lo
	v_cmpx_eq_u16_e32 0x80, v44
; %bb.11298:                            ;   in Loop: Header=BB6_9580 Depth=2
	s_xor_b32 s29, exec_lo, -1
; %bb.11299:                            ;   in Loop: Header=BB6_9580 Depth=2
	s_or_b32 exec_lo, exec_lo, s40
	s_and_b32 s29, s29, exec_lo
                                        ; implicit-def: $vgpr44
	s_or_saveexec_b32 s13, s13
	v_mov_b32_e32 v43, 0x7f800001
	s_xor_b32 exec_lo, exec_lo, s13
	s_cbranch_execnz .LBB6_11623
.LBB6_11300:                            ;   in Loop: Header=BB6_9580 Depth=2
	s_or_b32 exec_lo, exec_lo, s13
	s_and_saveexec_b32 s13, s29
	s_cbranch_execz .LBB6_11302
.LBB6_11301:                            ;   in Loop: Header=BB6_9580 Depth=2
	v_bfe_u32 v43, v12, 16, 3
	v_bfe_u32 v44, v12, 19, 4
	v_ffbh_u32_e32 v45, v43
	v_cmp_eq_u32_e32 vcc_lo, 0, v44
	v_min_u32_e32 v45, 32, v45
	v_subrev_nc_u32_e32 v46, 28, v45
	v_sub_nc_u32_e32 v45, 29, v45
	v_lshlrev_b32_sdwa v46, v46, v12 dst_sel:DWORD dst_unused:UNUSED_PAD src0_sel:DWORD src1_sel:WORD_1
	v_cndmask_b32_e32 v44, v44, v45, vcc_lo
	v_lshlrev_b32_e32 v45, 8, v12
	v_and_b32_e32 v46, 7, v46
	v_lshl_add_u32 v44, v44, 23, 0x3b800000
	v_and_b32_e32 v45, 0x80000000, v45
	v_cndmask_b32_e32 v43, v43, v46, vcc_lo
	v_lshlrev_b32_e32 v43, 20, v43
	v_or3_b32 v43, v45, v44, v43
.LBB6_11302:                            ;   in Loop: Header=BB6_9580 Depth=2
	s_or_b32 exec_lo, exec_lo, s13
	v_mul_f32_e32 v44, s28, v43
	v_and_b32_e32 v43, 0x7f800000, v44
	v_cmp_ne_u32_e32 vcc_lo, 0x7f800000, v43
	v_mov_b32_e32 v43, 0x80
	s_and_saveexec_b32 s29, vcc_lo
	s_cbranch_execz .LBB6_11310
; %bb.11303:                            ;   in Loop: Header=BB6_9580 Depth=2
	v_mov_b32_e32 v43, 0
	s_mov_b32 s40, exec_lo
	v_cmpx_ne_u32_e32 0, v44
	s_cbranch_execz .LBB6_11309
; %bb.11304:                            ;   in Loop: Header=BB6_9580 Depth=2
	v_bfe_u32 v45, v44, 23, 8
	v_and_b32_e32 v43, 0x7fffff, v44
	v_cmp_gt_u32_e64 s13, 0x79, v45
	v_sub_nc_u32_e32 v46, 0x78, v45
	v_cmp_eq_u32_e32 vcc_lo, 0, v45
	v_or_b32_e32 v47, 0x800000, v43
	v_cndmask_b32_e64 v46, 0, v46, s13
	v_cndmask_b32_e32 v43, v47, v43, vcc_lo
	v_cndmask_b32_e64 v46, v46, 0x77, vcc_lo
	v_lshl_add_u32 v47, 0x100000, v46, -1
	v_lshlrev_b32_e64 v56, v46, 0x80000
	v_and_b32_e32 v47, v47, v43
	v_cmp_eq_u32_e64 s13, v47, v56
	v_lshrrev_b32_e32 v47, v46, v43
	v_add_nc_u32_e32 v43, 0xffffff89, v45
	v_lshrrev_b32_e32 v45, 23, v47
	v_cndmask_b32_e64 v43, v43, 0xffffff8a, vcc_lo
	v_xor_b32_e32 v45, 1, v45
	v_add_nc_u32_e32 v43, v46, v43
	v_bfe_u32 v46, v47, 20, 1
	v_add_nc_u32_e32 v46, -1, v46
	v_cndmask_b32_e64 v46, 0, v46, s13
	s_mov_b32 s13, exec_lo
	v_add_nc_u32_e32 v46, v46, v47
	v_and_b32_e32 v46, 0xfffff, v46
	v_add_nc_u32_e32 v46, v46, v47
                                        ; implicit-def: $vgpr47
	v_cmpx_ne_u32_e64 v43, v45
	s_xor_b32 s13, exec_lo, s13
; %bb.11305:                            ;   in Loop: Header=BB6_9580 Depth=2
	v_cmp_lt_u32_e32 vcc_lo, 0xffffff, v46
	v_sub_nc_u32_e32 v43, v43, v45
	v_cndmask_b32_e64 v45, 0, 1, vcc_lo
	v_add_co_ci_u32_e64 v47, null, 0, v43, vcc_lo
	v_lshrrev_b32_e32 v46, v45, v46
; %bb.11306:                            ;   in Loop: Header=BB6_9580 Depth=2
	s_andn2_saveexec_b32 s13, s13
; %bb.11307:                            ;   in Loop: Header=BB6_9580 Depth=2
	v_bfe_u32 v47, v46, 23, 1
; %bb.11308:                            ;   in Loop: Header=BB6_9580 Depth=2
	s_or_b32 exec_lo, exec_lo, s13
	v_and_b32_sdwa v43, v44, v81 dst_sel:DWORD dst_unused:UNUSED_PAD src0_sel:BYTE_3 src1_sel:DWORD
	v_lshrrev_b32_e32 v44, 20, v46
	v_min_i32_e32 v45, 15, v47
	v_cmp_gt_i32_e32 vcc_lo, 16, v47
	v_lshlrev_b32_e32 v45, 3, v45
	v_cndmask_b32_e32 v44, 7, v44, vcc_lo
	v_and_b32_e32 v45, 0xf8, v45
	v_or_b32_e32 v46, v47, v44
	v_and_b32_e32 v44, 7, v44
	v_cmp_ne_u32_e32 vcc_lo, 0, v46
	v_or3_b32 v43, v45, v43, v44
	v_cndmask_b32_e32 v43, 0, v43, vcc_lo
.LBB6_11309:                            ;   in Loop: Header=BB6_9580 Depth=2
	s_or_b32 exec_lo, exec_lo, s40
.LBB6_11310:                            ;   in Loop: Header=BB6_9580 Depth=2
	s_or_b32 exec_lo, exec_lo, s29
	v_cmp_gt_i16_sdwa s29, v12, v80 src0_sel:BYTE_3 src1_sel:DWORD
	s_mov_b32 s13, 0
	s_and_saveexec_b32 s40, s29
	s_xor_b32 s29, exec_lo, s40
	s_cbranch_execz .LBB6_11624
; %bb.11311:                            ;   in Loop: Header=BB6_9580 Depth=2
	v_cmp_eq_u16_sdwa s41, v12, v81 src0_sel:BYTE_3 src1_sel:DWORD
	s_mov_b32 s13, -1
	s_and_saveexec_b32 s40, s41
; %bb.11312:                            ;   in Loop: Header=BB6_9580 Depth=2
	s_xor_b32 s13, exec_lo, -1
; %bb.11313:                            ;   in Loop: Header=BB6_9580 Depth=2
	s_or_b32 exec_lo, exec_lo, s40
	s_and_b32 s13, s13, exec_lo
	s_or_saveexec_b32 s29, s29
	v_mov_b32_e32 v44, 0x7f800001
	s_xor_b32 exec_lo, exec_lo, s29
	s_cbranch_execnz .LBB6_11625
.LBB6_11314:                            ;   in Loop: Header=BB6_9580 Depth=2
	s_or_b32 exec_lo, exec_lo, s29
	s_and_saveexec_b32 s29, s13
	s_cbranch_execz .LBB6_11316
.LBB6_11315:                            ;   in Loop: Header=BB6_9580 Depth=2
	v_bfe_u32 v44, v12, 24, 3
	v_bfe_u32 v47, v12, 27, 4
	v_ffbh_u32_e32 v45, v44
	v_cmp_eq_u32_e32 vcc_lo, 0, v47
	v_min_u32_e32 v45, 32, v45
	v_subrev_nc_u32_e32 v46, 28, v45
	v_sub_nc_u32_e32 v45, 29, v45
	v_lshlrev_b32_sdwa v46, v46, v12 dst_sel:DWORD dst_unused:UNUSED_PAD src0_sel:DWORD src1_sel:BYTE_3
	v_cndmask_b32_e32 v45, v47, v45, vcc_lo
	v_and_b32_e32 v12, 0x80000000, v12
	v_and_b32_e32 v46, 7, v46
	v_lshl_add_u32 v45, v45, 23, 0x3b800000
	v_cndmask_b32_e32 v44, v44, v46, vcc_lo
	v_lshlrev_b32_e32 v44, 20, v44
	v_or3_b32 v44, v12, v45, v44
.LBB6_11316:                            ;   in Loop: Header=BB6_9580 Depth=2
	s_or_b32 exec_lo, exec_lo, s29
	v_mul_f32_e32 v44, s28, v44
	v_and_b32_e32 v12, 0x7f800000, v44
	v_cmp_ne_u32_e32 vcc_lo, 0x7f800000, v12
	v_mov_b32_e32 v12, 0x8000
	s_and_saveexec_b32 s29, vcc_lo
	s_cbranch_execz .LBB6_11324
; %bb.11317:                            ;   in Loop: Header=BB6_9580 Depth=2
	v_mov_b32_e32 v12, 0
	s_mov_b32 s40, exec_lo
	v_cmpx_ne_u32_e32 0, v44
	s_cbranch_execz .LBB6_11323
; %bb.11318:                            ;   in Loop: Header=BB6_9580 Depth=2
	v_bfe_u32 v45, v44, 23, 8
	v_and_b32_e32 v12, 0x7fffff, v44
	v_cmp_gt_u32_e64 s13, 0x79, v45
	v_sub_nc_u32_e32 v46, 0x78, v45
	v_cmp_eq_u32_e32 vcc_lo, 0, v45
	v_or_b32_e32 v47, 0x800000, v12
	v_cndmask_b32_e64 v46, 0, v46, s13
	v_cndmask_b32_e32 v12, v47, v12, vcc_lo
	v_cndmask_b32_e64 v46, v46, 0x77, vcc_lo
	v_lshl_add_u32 v47, 0x100000, v46, -1
	v_lshlrev_b32_e64 v56, v46, 0x80000
	v_and_b32_e32 v47, v47, v12
	v_cmp_eq_u32_e64 s13, v47, v56
	v_lshrrev_b32_e32 v47, v46, v12
	v_add_nc_u32_e32 v12, 0xffffff89, v45
	v_lshrrev_b32_e32 v45, 23, v47
	v_cndmask_b32_e64 v12, v12, 0xffffff8a, vcc_lo
	v_xor_b32_e32 v45, 1, v45
	v_add_nc_u32_e32 v12, v46, v12
	v_bfe_u32 v46, v47, 20, 1
	v_add_nc_u32_e32 v46, -1, v46
	v_cndmask_b32_e64 v46, 0, v46, s13
	s_mov_b32 s13, exec_lo
	v_add_nc_u32_e32 v46, v46, v47
	v_and_b32_e32 v46, 0xfffff, v46
	v_add_nc_u32_e32 v46, v46, v47
                                        ; implicit-def: $vgpr47
	v_cmpx_ne_u32_e64 v12, v45
	s_xor_b32 s13, exec_lo, s13
; %bb.11319:                            ;   in Loop: Header=BB6_9580 Depth=2
	v_cmp_lt_u32_e32 vcc_lo, 0xffffff, v46
	v_sub_nc_u32_e32 v12, v12, v45
	v_cndmask_b32_e64 v45, 0, 1, vcc_lo
	v_add_co_ci_u32_e64 v47, null, 0, v12, vcc_lo
	v_lshrrev_b32_e32 v46, v45, v46
; %bb.11320:                            ;   in Loop: Header=BB6_9580 Depth=2
	s_andn2_saveexec_b32 s13, s13
; %bb.11321:                            ;   in Loop: Header=BB6_9580 Depth=2
	v_bfe_u32 v47, v46, 23, 1
; %bb.11322:                            ;   in Loop: Header=BB6_9580 Depth=2
	s_or_b32 exec_lo, exec_lo, s13
	v_and_b32_sdwa v12, v44, v81 dst_sel:DWORD dst_unused:UNUSED_PAD src0_sel:BYTE_3 src1_sel:DWORD
	v_lshrrev_b32_e32 v44, 20, v46
	v_min_i32_e32 v45, 15, v47
	v_cmp_gt_i32_e32 vcc_lo, 16, v47
	v_lshlrev_b32_e32 v45, 3, v45
	v_cndmask_b32_e32 v44, 7, v44, vcc_lo
	v_and_b32_e32 v45, 0xf8, v45
	v_or_b32_e32 v46, v47, v44
	v_and_b32_e32 v44, 7, v44
	v_cmp_ne_u32_e32 vcc_lo, 0, v46
	v_or3_b32 v12, v12, v45, v44
	v_lshlrev_b32_e32 v12, 8, v12
	v_cndmask_b32_e32 v12, 0, v12, vcc_lo
.LBB6_11323:                            ;   in Loop: Header=BB6_9580 Depth=2
	s_or_b32 exec_lo, exec_lo, s40
.LBB6_11324:                            ;   in Loop: Header=BB6_9580 Depth=2
	s_or_b32 exec_lo, exec_lo, s29
	v_cmp_gt_i16_sdwa s13, v13, v80 src0_sel:BYTE_0 src1_sel:DWORD
	s_mov_b32 s29, 0
	s_and_saveexec_b32 s40, s13
	s_xor_b32 s13, exec_lo, s40
	s_cbranch_execz .LBB6_11626
; %bb.11325:                            ;   in Loop: Header=BB6_9580 Depth=2
	v_cmp_eq_u16_sdwa s41, v13, v81 src0_sel:BYTE_0 src1_sel:DWORD
	s_mov_b32 s29, -1
	s_and_saveexec_b32 s40, s41
; %bb.11326:                            ;   in Loop: Header=BB6_9580 Depth=2
	s_xor_b32 s29, exec_lo, -1
; %bb.11327:                            ;   in Loop: Header=BB6_9580 Depth=2
	s_or_b32 exec_lo, exec_lo, s40
	s_and_b32 s29, s29, exec_lo
	s_or_saveexec_b32 s13, s13
	v_mov_b32_e32 v44, 0x7f800001
	s_xor_b32 exec_lo, exec_lo, s13
	s_cbranch_execnz .LBB6_11627
.LBB6_11328:                            ;   in Loop: Header=BB6_9580 Depth=2
	s_or_b32 exec_lo, exec_lo, s13
	s_and_saveexec_b32 s13, s29
	s_cbranch_execz .LBB6_11330
.LBB6_11329:                            ;   in Loop: Header=BB6_9580 Depth=2
	v_and_b32_e32 v44, 7, v13
	v_bfe_u32 v45, v13, 3, 4
	v_ffbh_u32_e32 v46, v44
	v_cmp_eq_u32_e32 vcc_lo, 0, v45
	v_min_u32_e32 v46, 32, v46
	v_subrev_nc_u32_e32 v47, 28, v46
	v_sub_nc_u32_e32 v46, 29, v46
	v_lshlrev_b32_e32 v47, v47, v13
	v_cndmask_b32_e32 v45, v45, v46, vcc_lo
	v_lshlrev_b32_e32 v46, 24, v13
	v_and_b32_e32 v47, 7, v47
	v_lshl_add_u32 v45, v45, 23, 0x3b800000
	v_and_b32_e32 v46, 0x80000000, v46
	v_cndmask_b32_e32 v44, v44, v47, vcc_lo
	v_lshlrev_b32_e32 v44, 20, v44
	v_or3_b32 v44, v46, v45, v44
.LBB6_11330:                            ;   in Loop: Header=BB6_9580 Depth=2
	s_or_b32 exec_lo, exec_lo, s13
	v_mul_f32_e32 v45, s28, v44
	v_and_b32_e32 v44, 0x7f800000, v45
	v_cmp_ne_u32_e32 vcc_lo, 0x7f800000, v44
	v_mov_b32_e32 v44, 0x80
	s_and_saveexec_b32 s29, vcc_lo
	s_cbranch_execz .LBB6_11338
; %bb.11331:                            ;   in Loop: Header=BB6_9580 Depth=2
	v_mov_b32_e32 v44, 0
	s_mov_b32 s40, exec_lo
	v_cmpx_ne_u32_e32 0, v45
	s_cbranch_execz .LBB6_11337
; %bb.11332:                            ;   in Loop: Header=BB6_9580 Depth=2
	v_bfe_u32 v46, v45, 23, 8
	v_and_b32_e32 v44, 0x7fffff, v45
	v_cmp_gt_u32_e64 s13, 0x79, v46
	v_sub_nc_u32_e32 v47, 0x78, v46
	v_cmp_eq_u32_e32 vcc_lo, 0, v46
	v_or_b32_e32 v56, 0x800000, v44
	v_cndmask_b32_e64 v47, 0, v47, s13
	v_cndmask_b32_e32 v44, v56, v44, vcc_lo
	v_cndmask_b32_e64 v47, v47, 0x77, vcc_lo
	v_lshl_add_u32 v56, 0x100000, v47, -1
	v_lshlrev_b32_e64 v57, v47, 0x80000
	v_and_b32_e32 v56, v56, v44
	v_cmp_eq_u32_e64 s13, v56, v57
	v_lshrrev_b32_e32 v56, v47, v44
	v_add_nc_u32_e32 v44, 0xffffff89, v46
	v_lshrrev_b32_e32 v46, 23, v56
	v_cndmask_b32_e64 v44, v44, 0xffffff8a, vcc_lo
	v_xor_b32_e32 v46, 1, v46
	v_add_nc_u32_e32 v44, v47, v44
	v_bfe_u32 v47, v56, 20, 1
	v_add_nc_u32_e32 v47, -1, v47
	v_cndmask_b32_e64 v47, 0, v47, s13
	s_mov_b32 s13, exec_lo
	v_add_nc_u32_e32 v47, v47, v56
	v_and_b32_e32 v47, 0xfffff, v47
	v_add_nc_u32_e32 v47, v47, v56
                                        ; implicit-def: $vgpr56
	v_cmpx_ne_u32_e64 v44, v46
	s_xor_b32 s13, exec_lo, s13
; %bb.11333:                            ;   in Loop: Header=BB6_9580 Depth=2
	v_cmp_lt_u32_e32 vcc_lo, 0xffffff, v47
	v_sub_nc_u32_e32 v44, v44, v46
	v_cndmask_b32_e64 v46, 0, 1, vcc_lo
	v_add_co_ci_u32_e64 v56, null, 0, v44, vcc_lo
	v_lshrrev_b32_e32 v47, v46, v47
; %bb.11334:                            ;   in Loop: Header=BB6_9580 Depth=2
	s_andn2_saveexec_b32 s13, s13
; %bb.11335:                            ;   in Loop: Header=BB6_9580 Depth=2
	v_bfe_u32 v56, v47, 23, 1
; %bb.11336:                            ;   in Loop: Header=BB6_9580 Depth=2
	s_or_b32 exec_lo, exec_lo, s13
	v_and_b32_sdwa v44, v45, v81 dst_sel:DWORD dst_unused:UNUSED_PAD src0_sel:BYTE_3 src1_sel:DWORD
	v_lshrrev_b32_e32 v45, 20, v47
	v_min_i32_e32 v46, 15, v56
	v_cmp_gt_i32_e32 vcc_lo, 16, v56
	v_lshlrev_b32_e32 v46, 3, v46
	v_cndmask_b32_e32 v45, 7, v45, vcc_lo
	v_and_b32_e32 v46, 0xf8, v46
	v_or_b32_e32 v47, v56, v45
	v_and_b32_e32 v45, 7, v45
	v_cmp_ne_u32_e32 vcc_lo, 0, v47
	v_or3_b32 v44, v46, v44, v45
	v_cndmask_b32_e32 v44, 0, v44, vcc_lo
.LBB6_11337:                            ;   in Loop: Header=BB6_9580 Depth=2
	s_or_b32 exec_lo, exec_lo, s40
.LBB6_11338:                            ;   in Loop: Header=BB6_9580 Depth=2
	s_or_b32 exec_lo, exec_lo, s29
	v_cmp_gt_i16_sdwa s29, v13, v80 src0_sel:BYTE_1 src1_sel:DWORD
	s_mov_b32 s13, 0
	s_and_saveexec_b32 s40, s29
	s_xor_b32 s29, exec_lo, s40
	s_cbranch_execz .LBB6_11628
; %bb.11339:                            ;   in Loop: Header=BB6_9580 Depth=2
	v_cmp_eq_u16_sdwa s41, v13, v81 src0_sel:BYTE_1 src1_sel:DWORD
	s_mov_b32 s13, -1
	s_and_saveexec_b32 s40, s41
; %bb.11340:                            ;   in Loop: Header=BB6_9580 Depth=2
	s_xor_b32 s13, exec_lo, -1
; %bb.11341:                            ;   in Loop: Header=BB6_9580 Depth=2
	s_or_b32 exec_lo, exec_lo, s40
	s_and_b32 s13, s13, exec_lo
	s_or_saveexec_b32 s29, s29
	v_mov_b32_e32 v45, 0x7f800001
	s_xor_b32 exec_lo, exec_lo, s29
	s_cbranch_execnz .LBB6_11629
.LBB6_11342:                            ;   in Loop: Header=BB6_9580 Depth=2
	s_or_b32 exec_lo, exec_lo, s29
	s_and_saveexec_b32 s29, s13
	s_cbranch_execz .LBB6_11344
.LBB6_11343:                            ;   in Loop: Header=BB6_9580 Depth=2
	v_and_b32_sdwa v45, v82, v13 dst_sel:DWORD dst_unused:UNUSED_PAD src0_sel:DWORD src1_sel:BYTE_1
	v_and_b32_e32 v46, 7, v45
	v_bfe_u32 v57, v45, 3, 4
	v_ffbh_u32_e32 v47, v46
	v_cmp_eq_u32_e32 vcc_lo, 0, v57
	v_min_u32_e32 v47, 32, v47
	v_subrev_nc_u32_e32 v56, 28, v47
	v_sub_nc_u32_e32 v47, 29, v47
	v_lshlrev_b32_e32 v45, v56, v45
	v_lshlrev_b32_sdwa v56, v83, v13 dst_sel:DWORD dst_unused:UNUSED_PAD src0_sel:DWORD src1_sel:BYTE_1
	v_cndmask_b32_e32 v47, v57, v47, vcc_lo
	v_and_b32_e32 v45, 7, v45
	v_lshl_add_u32 v47, v47, 23, 0x3b800000
	v_cndmask_b32_e32 v45, v46, v45, vcc_lo
	v_and_b32_e32 v46, 0x80000000, v56
	v_lshlrev_b32_e32 v45, 20, v45
	v_or3_b32 v45, v46, v47, v45
.LBB6_11344:                            ;   in Loop: Header=BB6_9580 Depth=2
	s_or_b32 exec_lo, exec_lo, s29
	v_mul_f32_e32 v46, s28, v45
	v_and_b32_e32 v45, 0x7f800000, v46
	v_cmp_ne_u32_e32 vcc_lo, 0x7f800000, v45
	v_mov_b32_e32 v45, 0x8000
	s_and_saveexec_b32 s29, vcc_lo
	s_cbranch_execz .LBB6_11352
; %bb.11345:                            ;   in Loop: Header=BB6_9580 Depth=2
	v_mov_b32_e32 v45, 0
	s_mov_b32 s40, exec_lo
	v_cmpx_ne_u32_e32 0, v46
	s_cbranch_execz .LBB6_11351
; %bb.11346:                            ;   in Loop: Header=BB6_9580 Depth=2
	v_bfe_u32 v47, v46, 23, 8
	v_and_b32_e32 v45, 0x7fffff, v46
	v_cmp_gt_u32_e64 s13, 0x79, v47
	v_sub_nc_u32_e32 v56, 0x78, v47
	v_cmp_eq_u32_e32 vcc_lo, 0, v47
	v_or_b32_e32 v57, 0x800000, v45
	v_cndmask_b32_e64 v56, 0, v56, s13
	v_cndmask_b32_e32 v45, v57, v45, vcc_lo
	v_cndmask_b32_e64 v56, v56, 0x77, vcc_lo
	v_lshl_add_u32 v57, 0x100000, v56, -1
	v_lshlrev_b32_e64 v58, v56, 0x80000
	v_and_b32_e32 v57, v57, v45
	v_cmp_eq_u32_e64 s13, v57, v58
	v_lshrrev_b32_e32 v57, v56, v45
	v_add_nc_u32_e32 v45, 0xffffff89, v47
	v_lshrrev_b32_e32 v47, 23, v57
	v_cndmask_b32_e64 v45, v45, 0xffffff8a, vcc_lo
	v_xor_b32_e32 v47, 1, v47
	v_add_nc_u32_e32 v45, v56, v45
	v_bfe_u32 v56, v57, 20, 1
	v_add_nc_u32_e32 v56, -1, v56
	v_cndmask_b32_e64 v56, 0, v56, s13
	s_mov_b32 s13, exec_lo
	v_add_nc_u32_e32 v56, v56, v57
	v_and_b32_e32 v56, 0xfffff, v56
	v_add_nc_u32_e32 v56, v56, v57
                                        ; implicit-def: $vgpr57
	v_cmpx_ne_u32_e64 v45, v47
	s_xor_b32 s13, exec_lo, s13
; %bb.11347:                            ;   in Loop: Header=BB6_9580 Depth=2
	v_cmp_lt_u32_e32 vcc_lo, 0xffffff, v56
	v_sub_nc_u32_e32 v45, v45, v47
	v_cndmask_b32_e64 v47, 0, 1, vcc_lo
	v_add_co_ci_u32_e64 v57, null, 0, v45, vcc_lo
	v_lshrrev_b32_e32 v56, v47, v56
; %bb.11348:                            ;   in Loop: Header=BB6_9580 Depth=2
	s_andn2_saveexec_b32 s13, s13
; %bb.11349:                            ;   in Loop: Header=BB6_9580 Depth=2
	v_bfe_u32 v57, v56, 23, 1
; %bb.11350:                            ;   in Loop: Header=BB6_9580 Depth=2
	s_or_b32 exec_lo, exec_lo, s13
	v_and_b32_sdwa v45, v46, v81 dst_sel:DWORD dst_unused:UNUSED_PAD src0_sel:BYTE_3 src1_sel:DWORD
	v_lshrrev_b32_e32 v46, 20, v56
	v_min_i32_e32 v47, 15, v57
	v_cmp_gt_i32_e32 vcc_lo, 16, v57
	v_lshlrev_b32_e32 v47, 3, v47
	v_cndmask_b32_e32 v46, 7, v46, vcc_lo
	v_and_b32_e32 v47, 0xf8, v47
	v_or_b32_e32 v56, v57, v46
	v_and_b32_e32 v46, 7, v46
	v_cmp_ne_u32_e32 vcc_lo, 0, v56
	v_or3_b32 v45, v45, v47, v46
	v_lshlrev_b32_e32 v45, 8, v45
	v_cndmask_b32_e32 v45, 0, v45, vcc_lo
.LBB6_11351:                            ;   in Loop: Header=BB6_9580 Depth=2
	s_or_b32 exec_lo, exec_lo, s40
.LBB6_11352:                            ;   in Loop: Header=BB6_9580 Depth=2
	s_or_b32 exec_lo, exec_lo, s29
	v_and_b32_sdwa v47, v13, v86 dst_sel:DWORD dst_unused:UNUSED_PAD src0_sel:WORD_1 src1_sel:DWORD
	s_mov_b32 s29, 0
	s_mov_b32 s13, exec_lo
	v_cmpx_lt_i16_e32 0x7f, v47
	s_xor_b32 s13, exec_lo, s13
	s_cbranch_execz .LBB6_11630
; %bb.11353:                            ;   in Loop: Header=BB6_9580 Depth=2
	s_mov_b32 s29, -1
	s_mov_b32 s40, exec_lo
	v_cmpx_eq_u16_e32 0x80, v47
; %bb.11354:                            ;   in Loop: Header=BB6_9580 Depth=2
	s_xor_b32 s29, exec_lo, -1
; %bb.11355:                            ;   in Loop: Header=BB6_9580 Depth=2
	s_or_b32 exec_lo, exec_lo, s40
	s_and_b32 s29, s29, exec_lo
                                        ; implicit-def: $vgpr47
	s_or_saveexec_b32 s13, s13
	v_mov_b32_e32 v46, 0x7f800001
	s_xor_b32 exec_lo, exec_lo, s13
	s_cbranch_execnz .LBB6_11631
.LBB6_11356:                            ;   in Loop: Header=BB6_9580 Depth=2
	s_or_b32 exec_lo, exec_lo, s13
	s_and_saveexec_b32 s13, s29
	s_cbranch_execz .LBB6_11358
.LBB6_11357:                            ;   in Loop: Header=BB6_9580 Depth=2
	v_bfe_u32 v46, v13, 16, 3
	v_bfe_u32 v47, v13, 19, 4
	v_ffbh_u32_e32 v56, v46
	v_cmp_eq_u32_e32 vcc_lo, 0, v47
	v_min_u32_e32 v56, 32, v56
	v_subrev_nc_u32_e32 v57, 28, v56
	v_sub_nc_u32_e32 v56, 29, v56
	v_lshlrev_b32_sdwa v57, v57, v13 dst_sel:DWORD dst_unused:UNUSED_PAD src0_sel:DWORD src1_sel:WORD_1
	v_cndmask_b32_e32 v47, v47, v56, vcc_lo
	v_lshlrev_b32_e32 v56, 8, v13
	v_and_b32_e32 v57, 7, v57
	v_lshl_add_u32 v47, v47, 23, 0x3b800000
	v_and_b32_e32 v56, 0x80000000, v56
	v_cndmask_b32_e32 v46, v46, v57, vcc_lo
	v_lshlrev_b32_e32 v46, 20, v46
	v_or3_b32 v46, v56, v47, v46
.LBB6_11358:                            ;   in Loop: Header=BB6_9580 Depth=2
	s_or_b32 exec_lo, exec_lo, s13
	v_mul_f32_e32 v47, s28, v46
	v_and_b32_e32 v46, 0x7f800000, v47
	v_cmp_ne_u32_e32 vcc_lo, 0x7f800000, v46
	v_mov_b32_e32 v46, 0x80
	s_and_saveexec_b32 s29, vcc_lo
	s_cbranch_execz .LBB6_11366
; %bb.11359:                            ;   in Loop: Header=BB6_9580 Depth=2
	v_mov_b32_e32 v46, 0
	s_mov_b32 s40, exec_lo
	v_cmpx_ne_u32_e32 0, v47
	s_cbranch_execz .LBB6_11365
; %bb.11360:                            ;   in Loop: Header=BB6_9580 Depth=2
	v_bfe_u32 v56, v47, 23, 8
	v_and_b32_e32 v46, 0x7fffff, v47
	v_cmp_gt_u32_e64 s13, 0x79, v56
	v_sub_nc_u32_e32 v57, 0x78, v56
	v_cmp_eq_u32_e32 vcc_lo, 0, v56
	v_or_b32_e32 v58, 0x800000, v46
	v_cndmask_b32_e64 v57, 0, v57, s13
	v_cndmask_b32_e32 v46, v58, v46, vcc_lo
	v_cndmask_b32_e64 v57, v57, 0x77, vcc_lo
	v_lshl_add_u32 v58, 0x100000, v57, -1
	v_lshlrev_b32_e64 v59, v57, 0x80000
	v_and_b32_e32 v58, v58, v46
	v_cmp_eq_u32_e64 s13, v58, v59
	v_lshrrev_b32_e32 v58, v57, v46
	v_add_nc_u32_e32 v46, 0xffffff89, v56
	v_lshrrev_b32_e32 v56, 23, v58
	v_cndmask_b32_e64 v46, v46, 0xffffff8a, vcc_lo
	v_xor_b32_e32 v56, 1, v56
	v_add_nc_u32_e32 v46, v57, v46
	v_bfe_u32 v57, v58, 20, 1
	v_add_nc_u32_e32 v57, -1, v57
	v_cndmask_b32_e64 v57, 0, v57, s13
	s_mov_b32 s13, exec_lo
	v_add_nc_u32_e32 v57, v57, v58
	v_and_b32_e32 v57, 0xfffff, v57
	v_add_nc_u32_e32 v57, v57, v58
                                        ; implicit-def: $vgpr58
	v_cmpx_ne_u32_e64 v46, v56
	s_xor_b32 s13, exec_lo, s13
; %bb.11361:                            ;   in Loop: Header=BB6_9580 Depth=2
	v_cmp_lt_u32_e32 vcc_lo, 0xffffff, v57
	v_sub_nc_u32_e32 v46, v46, v56
	v_cndmask_b32_e64 v56, 0, 1, vcc_lo
	v_add_co_ci_u32_e64 v58, null, 0, v46, vcc_lo
	v_lshrrev_b32_e32 v57, v56, v57
; %bb.11362:                            ;   in Loop: Header=BB6_9580 Depth=2
	s_andn2_saveexec_b32 s13, s13
; %bb.11363:                            ;   in Loop: Header=BB6_9580 Depth=2
	v_bfe_u32 v58, v57, 23, 1
; %bb.11364:                            ;   in Loop: Header=BB6_9580 Depth=2
	s_or_b32 exec_lo, exec_lo, s13
	buffer_load_dword v59, off, s[0:3], s33 offset:388 ; 4-byte Folded Reload
	v_and_b32_sdwa v46, v47, v81 dst_sel:DWORD dst_unused:UNUSED_PAD src0_sel:BYTE_3 src1_sel:DWORD
	v_lshrrev_b32_e32 v47, 20, v57
	v_min_i32_e32 v56, 15, v58
	v_cmp_gt_i32_e32 vcc_lo, 16, v58
	v_lshlrev_b32_e32 v56, 3, v56
	v_cndmask_b32_e32 v47, 7, v47, vcc_lo
	v_and_b32_e32 v56, 0xf8, v56
	v_or_b32_e32 v57, v58, v47
	v_and_b32_e32 v47, 7, v47
	v_cmp_ne_u32_e32 vcc_lo, 0, v57
	v_or3_b32 v46, v56, v46, v47
	v_cndmask_b32_e32 v46, 0, v46, vcc_lo
.LBB6_11365:                            ;   in Loop: Header=BB6_9580 Depth=2
	s_or_b32 exec_lo, exec_lo, s40
.LBB6_11366:                            ;   in Loop: Header=BB6_9580 Depth=2
	s_or_b32 exec_lo, exec_lo, s29
	v_cmp_gt_i16_sdwa s29, v13, v80 src0_sel:BYTE_3 src1_sel:DWORD
	s_mov_b32 s13, 0
	s_and_saveexec_b32 s40, s29
	s_xor_b32 s29, exec_lo, s40
	s_cbranch_execz .LBB6_11632
; %bb.11367:                            ;   in Loop: Header=BB6_9580 Depth=2
	v_cmp_eq_u16_sdwa s41, v13, v81 src0_sel:BYTE_3 src1_sel:DWORD
	s_mov_b32 s13, -1
	s_and_saveexec_b32 s40, s41
; %bb.11368:                            ;   in Loop: Header=BB6_9580 Depth=2
	s_xor_b32 s13, exec_lo, -1
; %bb.11369:                            ;   in Loop: Header=BB6_9580 Depth=2
	s_or_b32 exec_lo, exec_lo, s40
	s_and_b32 s13, s13, exec_lo
	s_or_saveexec_b32 s29, s29
	v_mov_b32_e32 v47, 0x7f800001
	s_xor_b32 exec_lo, exec_lo, s29
	s_cbranch_execnz .LBB6_11633
.LBB6_11370:                            ;   in Loop: Header=BB6_9580 Depth=2
	s_or_b32 exec_lo, exec_lo, s29
	s_and_saveexec_b32 s29, s13
	s_cbranch_execz .LBB6_11372
.LBB6_11371:                            ;   in Loop: Header=BB6_9580 Depth=2
	v_bfe_u32 v47, v13, 24, 3
	v_bfe_u32 v58, v13, 27, 4
	v_ffbh_u32_e32 v56, v47
	v_cmp_eq_u32_e32 vcc_lo, 0, v58
	v_min_u32_e32 v56, 32, v56
	v_subrev_nc_u32_e32 v57, 28, v56
	v_sub_nc_u32_e32 v56, 29, v56
	v_lshlrev_b32_sdwa v57, v57, v13 dst_sel:DWORD dst_unused:UNUSED_PAD src0_sel:DWORD src1_sel:BYTE_3
	v_cndmask_b32_e32 v56, v58, v56, vcc_lo
	v_and_b32_e32 v13, 0x80000000, v13
	v_and_b32_e32 v57, 7, v57
	v_lshl_add_u32 v56, v56, 23, 0x3b800000
	v_cndmask_b32_e32 v47, v47, v57, vcc_lo
	v_lshlrev_b32_e32 v47, 20, v47
	v_or3_b32 v47, v13, v56, v47
.LBB6_11372:                            ;   in Loop: Header=BB6_9580 Depth=2
	s_or_b32 exec_lo, exec_lo, s29
	v_mul_f32_e32 v47, s28, v47
	v_and_b32_e32 v13, 0x7f800000, v47
	v_cmp_ne_u32_e32 vcc_lo, 0x7f800000, v13
	v_mov_b32_e32 v13, 0x8000
	s_and_saveexec_b32 s28, vcc_lo
	s_cbranch_execz .LBB6_9579
; %bb.11373:                            ;   in Loop: Header=BB6_9580 Depth=2
	v_mov_b32_e32 v13, 0
	s_mov_b32 s29, exec_lo
	v_cmpx_ne_u32_e32 0, v47
	s_cbranch_execz .LBB6_9578
; %bb.11374:                            ;   in Loop: Header=BB6_9580 Depth=2
	v_bfe_u32 v56, v47, 23, 8
	v_and_b32_e32 v13, 0x7fffff, v47
	v_cmp_gt_u32_e64 s13, 0x79, v56
	v_sub_nc_u32_e32 v57, 0x78, v56
	v_cmp_eq_u32_e32 vcc_lo, 0, v56
	v_or_b32_e32 v58, 0x800000, v13
	v_cndmask_b32_e64 v57, 0, v57, s13
	v_cndmask_b32_e32 v13, v58, v13, vcc_lo
	v_cndmask_b32_e64 v57, v57, 0x77, vcc_lo
	v_lshl_add_u32 v58, 0x100000, v57, -1
	s_waitcnt vmcnt(0)
	v_lshlrev_b32_e64 v59, v57, 0x80000
	v_and_b32_e32 v58, v58, v13
	v_cmp_eq_u32_e64 s13, v58, v59
	v_lshrrev_b32_e32 v58, v57, v13
	v_add_nc_u32_e32 v13, 0xffffff89, v56
	v_lshrrev_b32_e32 v56, 23, v58
	v_cndmask_b32_e64 v13, v13, 0xffffff8a, vcc_lo
	v_xor_b32_e32 v56, 1, v56
	v_add_nc_u32_e32 v13, v57, v13
	v_bfe_u32 v57, v58, 20, 1
	v_add_nc_u32_e32 v57, -1, v57
	v_cndmask_b32_e64 v57, 0, v57, s13
	s_mov_b32 s13, exec_lo
	v_add_nc_u32_e32 v57, v57, v58
	v_and_b32_e32 v57, 0xfffff, v57
	v_add_nc_u32_e32 v57, v57, v58
                                        ; implicit-def: $vgpr58
	v_cmpx_ne_u32_e64 v13, v56
	s_xor_b32 s13, exec_lo, s13
; %bb.11375:                            ;   in Loop: Header=BB6_9580 Depth=2
	v_cmp_lt_u32_e32 vcc_lo, 0xffffff, v57
	v_sub_nc_u32_e32 v13, v13, v56
	v_cndmask_b32_e64 v56, 0, 1, vcc_lo
	v_add_co_ci_u32_e64 v58, null, 0, v13, vcc_lo
	v_lshrrev_b32_e32 v57, v56, v57
; %bb.11376:                            ;   in Loop: Header=BB6_9580 Depth=2
	s_andn2_saveexec_b32 s13, s13
	s_cbranch_execz .LBB6_9577
; %bb.11377:                            ;   in Loop: Header=BB6_9580 Depth=2
	v_bfe_u32 v58, v57, 23, 1
	s_branch .LBB6_9577
.LBB6_11378:                            ;   in Loop: Header=BB6_9580 Depth=2
	s_or_saveexec_b32 s29, s29
	v_mov_b32_e32 v0, 0x7f800001
	s_xor_b32 exec_lo, exec_lo, s29
	s_cbranch_execz .LBB6_9592
.LBB6_11379:                            ;   in Loop: Header=BB6_9580 Depth=2
	v_cmp_ne_u16_sdwa s40, v10, v15 src0_sel:BYTE_0 src1_sel:DWORD
	v_mov_b32_e32 v0, 0
	s_andn2_b32 s13, s13, exec_lo
	s_and_b32 s40, s40, exec_lo
	s_or_b32 s13, s13, s40
	s_or_b32 exec_lo, exec_lo, s29
	s_and_saveexec_b32 s29, s13
	s_cbranch_execnz .LBB6_9593
	s_branch .LBB6_9594
.LBB6_11380:                            ;   in Loop: Header=BB6_9580 Depth=2
	s_or_saveexec_b32 s29, s29
	v_mov_b32_e32 v0, 0x7f800001
	s_xor_b32 exec_lo, exec_lo, s29
	s_cbranch_execz .LBB6_9606
.LBB6_11381:                            ;   in Loop: Header=BB6_9580 Depth=2
	v_cmp_ne_u16_sdwa s40, v10, v15 src0_sel:BYTE_1 src1_sel:DWORD
	v_mov_b32_e32 v0, 0
	s_andn2_b32 s13, s13, exec_lo
	s_and_b32 s40, s40, exec_lo
	s_or_b32 s13, s13, s40
	s_or_b32 exec_lo, exec_lo, s29
	s_and_saveexec_b32 s29, s13
	s_cbranch_execnz .LBB6_9607
	s_branch .LBB6_9608
.LBB6_11382:                            ;   in Loop: Header=BB6_9580 Depth=2
	s_or_saveexec_b32 s29, s29
	v_mov_b32_e32 v0, 0x7f800001
	s_xor_b32 exec_lo, exec_lo, s29
	s_cbranch_execz .LBB6_9620
.LBB6_11383:                            ;   in Loop: Header=BB6_9580 Depth=2
	v_cmp_ne_u16_e32 vcc_lo, 0, v1
	v_mov_b32_e32 v0, 0
	s_andn2_b32 s13, s13, exec_lo
	s_and_b32 s40, vcc_lo, exec_lo
	s_or_b32 s13, s13, s40
	s_or_b32 exec_lo, exec_lo, s29
	s_and_saveexec_b32 s29, s13
	s_cbranch_execnz .LBB6_9621
	s_branch .LBB6_9622
.LBB6_11384:                            ;   in Loop: Header=BB6_9580 Depth=2
	s_or_saveexec_b32 s29, s29
	v_mov_b32_e32 v0, 0x7f800001
	s_xor_b32 exec_lo, exec_lo, s29
	s_cbranch_execz .LBB6_9634
.LBB6_11385:                            ;   in Loop: Header=BB6_9580 Depth=2
	v_cmp_ne_u16_sdwa s40, v10, v15 src0_sel:BYTE_3 src1_sel:DWORD
	v_mov_b32_e32 v0, 0
	s_andn2_b32 s13, s13, exec_lo
	s_and_b32 s40, s40, exec_lo
	s_or_b32 s13, s13, s40
	s_or_b32 exec_lo, exec_lo, s29
	s_and_saveexec_b32 s29, s13
	s_cbranch_execnz .LBB6_9635
	s_branch .LBB6_9636
.LBB6_11386:                            ;   in Loop: Header=BB6_9580 Depth=2
	s_or_saveexec_b32 s29, s29
	v_mov_b32_e32 v0, 0x7f800001
	s_xor_b32 exec_lo, exec_lo, s29
	s_cbranch_execz .LBB6_9648
.LBB6_11387:                            ;   in Loop: Header=BB6_9580 Depth=2
	v_cmp_ne_u16_sdwa s40, v11, v15 src0_sel:BYTE_0 src1_sel:DWORD
	v_mov_b32_e32 v0, 0
	s_andn2_b32 s13, s13, exec_lo
	s_and_b32 s40, s40, exec_lo
	s_or_b32 s13, s13, s40
	s_or_b32 exec_lo, exec_lo, s29
	s_and_saveexec_b32 s29, s13
	s_cbranch_execnz .LBB6_9649
	s_branch .LBB6_9650
.LBB6_11388:                            ;   in Loop: Header=BB6_9580 Depth=2
	s_or_saveexec_b32 s29, s29
	v_mov_b32_e32 v0, 0x7f800001
	s_xor_b32 exec_lo, exec_lo, s29
	s_cbranch_execz .LBB6_9662
.LBB6_11389:                            ;   in Loop: Header=BB6_9580 Depth=2
	v_cmp_ne_u16_sdwa s40, v11, v15 src0_sel:BYTE_1 src1_sel:DWORD
	v_mov_b32_e32 v0, 0
	s_andn2_b32 s13, s13, exec_lo
	s_and_b32 s40, s40, exec_lo
	s_or_b32 s13, s13, s40
	s_or_b32 exec_lo, exec_lo, s29
	s_and_saveexec_b32 s29, s13
	s_cbranch_execnz .LBB6_9663
	s_branch .LBB6_9664
.LBB6_11390:                            ;   in Loop: Header=BB6_9580 Depth=2
	s_or_saveexec_b32 s29, s29
	v_mov_b32_e32 v0, 0x7f800001
	s_xor_b32 exec_lo, exec_lo, s29
	s_cbranch_execz .LBB6_9676
.LBB6_11391:                            ;   in Loop: Header=BB6_9580 Depth=2
	v_cmp_ne_u16_e32 vcc_lo, 0, v1
	v_mov_b32_e32 v0, 0
	s_andn2_b32 s13, s13, exec_lo
	s_and_b32 s40, vcc_lo, exec_lo
	s_or_b32 s13, s13, s40
	s_or_b32 exec_lo, exec_lo, s29
	s_and_saveexec_b32 s29, s13
	s_cbranch_execnz .LBB6_9677
	s_branch .LBB6_9678
.LBB6_11392:                            ;   in Loop: Header=BB6_9580 Depth=2
	s_or_saveexec_b32 s29, s29
	v_mov_b32_e32 v0, 0x7f800001
	s_xor_b32 exec_lo, exec_lo, s29
	s_cbranch_execz .LBB6_9690
.LBB6_11393:                            ;   in Loop: Header=BB6_9580 Depth=2
	v_cmp_ne_u16_sdwa s40, v11, v15 src0_sel:BYTE_3 src1_sel:DWORD
	v_mov_b32_e32 v0, 0
	s_andn2_b32 s13, s13, exec_lo
	s_and_b32 s40, s40, exec_lo
	s_or_b32 s13, s13, s40
	s_or_b32 exec_lo, exec_lo, s29
	s_and_saveexec_b32 s29, s13
	s_cbranch_execnz .LBB6_9691
	s_branch .LBB6_9692
.LBB6_11394:                            ;   in Loop: Header=BB6_9580 Depth=2
	s_or_saveexec_b32 s29, s29
	v_mov_b32_e32 v0, 0x7f800001
	s_xor_b32 exec_lo, exec_lo, s29
	s_cbranch_execz .LBB6_9704
.LBB6_11395:                            ;   in Loop: Header=BB6_9580 Depth=2
	v_cmp_ne_u16_sdwa s40, v12, v15 src0_sel:BYTE_0 src1_sel:DWORD
	v_mov_b32_e32 v0, 0
	s_andn2_b32 s13, s13, exec_lo
	s_and_b32 s40, s40, exec_lo
	s_or_b32 s13, s13, s40
	s_or_b32 exec_lo, exec_lo, s29
	s_and_saveexec_b32 s29, s13
	s_cbranch_execnz .LBB6_9705
	s_branch .LBB6_9706
.LBB6_11396:                            ;   in Loop: Header=BB6_9580 Depth=2
	s_or_saveexec_b32 s29, s29
	v_mov_b32_e32 v0, 0x7f800001
	s_xor_b32 exec_lo, exec_lo, s29
	s_cbranch_execz .LBB6_9718
.LBB6_11397:                            ;   in Loop: Header=BB6_9580 Depth=2
	v_cmp_ne_u16_sdwa s40, v12, v15 src0_sel:BYTE_1 src1_sel:DWORD
	v_mov_b32_e32 v0, 0
	s_andn2_b32 s13, s13, exec_lo
	s_and_b32 s40, s40, exec_lo
	s_or_b32 s13, s13, s40
	s_or_b32 exec_lo, exec_lo, s29
	s_and_saveexec_b32 s29, s13
	s_cbranch_execnz .LBB6_9719
	s_branch .LBB6_9720
.LBB6_11398:                            ;   in Loop: Header=BB6_9580 Depth=2
	s_or_saveexec_b32 s29, s29
	v_mov_b32_e32 v0, 0x7f800001
	s_xor_b32 exec_lo, exec_lo, s29
	s_cbranch_execz .LBB6_9732
.LBB6_11399:                            ;   in Loop: Header=BB6_9580 Depth=2
	v_cmp_ne_u16_e32 vcc_lo, 0, v1
	v_mov_b32_e32 v0, 0
	s_andn2_b32 s13, s13, exec_lo
	s_and_b32 s40, vcc_lo, exec_lo
	s_or_b32 s13, s13, s40
	s_or_b32 exec_lo, exec_lo, s29
	s_and_saveexec_b32 s29, s13
	s_cbranch_execnz .LBB6_9733
	s_branch .LBB6_9734
.LBB6_11400:                            ;   in Loop: Header=BB6_9580 Depth=2
	s_or_saveexec_b32 s29, s29
	v_mov_b32_e32 v0, 0x7f800001
	s_xor_b32 exec_lo, exec_lo, s29
	s_cbranch_execz .LBB6_9746
.LBB6_11401:                            ;   in Loop: Header=BB6_9580 Depth=2
	v_cmp_ne_u16_sdwa s40, v12, v15 src0_sel:BYTE_3 src1_sel:DWORD
	v_mov_b32_e32 v0, 0
	s_andn2_b32 s13, s13, exec_lo
	s_and_b32 s40, s40, exec_lo
	s_or_b32 s13, s13, s40
	s_or_b32 exec_lo, exec_lo, s29
	s_and_saveexec_b32 s29, s13
	s_cbranch_execnz .LBB6_9747
	s_branch .LBB6_9748
.LBB6_11402:                            ;   in Loop: Header=BB6_9580 Depth=2
	s_or_saveexec_b32 s29, s29
	v_mov_b32_e32 v0, 0x7f800001
	s_xor_b32 exec_lo, exec_lo, s29
	s_cbranch_execz .LBB6_9760
.LBB6_11403:                            ;   in Loop: Header=BB6_9580 Depth=2
	v_cmp_ne_u16_sdwa s40, v13, v15 src0_sel:BYTE_0 src1_sel:DWORD
	v_mov_b32_e32 v0, 0
	s_andn2_b32 s13, s13, exec_lo
	s_and_b32 s40, s40, exec_lo
	s_or_b32 s13, s13, s40
	s_or_b32 exec_lo, exec_lo, s29
	s_and_saveexec_b32 s29, s13
	s_cbranch_execnz .LBB6_9761
	s_branch .LBB6_9762
.LBB6_11404:                            ;   in Loop: Header=BB6_9580 Depth=2
	s_or_saveexec_b32 s29, s29
	v_mov_b32_e32 v0, 0x7f800001
	s_xor_b32 exec_lo, exec_lo, s29
	s_cbranch_execz .LBB6_9774
.LBB6_11405:                            ;   in Loop: Header=BB6_9580 Depth=2
	v_cmp_ne_u16_sdwa s40, v13, v15 src0_sel:BYTE_1 src1_sel:DWORD
	v_mov_b32_e32 v0, 0
	s_andn2_b32 s13, s13, exec_lo
	s_and_b32 s40, s40, exec_lo
	s_or_b32 s13, s13, s40
	s_or_b32 exec_lo, exec_lo, s29
	s_and_saveexec_b32 s29, s13
	s_cbranch_execnz .LBB6_9775
	s_branch .LBB6_9776
.LBB6_11406:                            ;   in Loop: Header=BB6_9580 Depth=2
	s_or_saveexec_b32 s29, s29
	v_mov_b32_e32 v0, 0x7f800001
	s_xor_b32 exec_lo, exec_lo, s29
	s_cbranch_execz .LBB6_9788
.LBB6_11407:                            ;   in Loop: Header=BB6_9580 Depth=2
	v_cmp_ne_u16_e32 vcc_lo, 0, v1
	v_mov_b32_e32 v0, 0
	s_andn2_b32 s13, s13, exec_lo
	s_and_b32 s40, vcc_lo, exec_lo
	s_or_b32 s13, s13, s40
	s_or_b32 exec_lo, exec_lo, s29
	s_and_saveexec_b32 s29, s13
	s_cbranch_execnz .LBB6_9789
	s_branch .LBB6_9790
.LBB6_11408:                            ;   in Loop: Header=BB6_9580 Depth=2
	s_or_saveexec_b32 s29, s29
	v_mov_b32_e32 v0, 0x7f800001
	s_xor_b32 exec_lo, exec_lo, s29
	s_cbranch_execz .LBB6_9802
.LBB6_11409:                            ;   in Loop: Header=BB6_9580 Depth=2
	v_cmp_ne_u16_sdwa s40, v13, v15 src0_sel:BYTE_3 src1_sel:DWORD
	v_mov_b32_e32 v0, 0
	s_andn2_b32 s13, s13, exec_lo
	s_and_b32 s40, s40, exec_lo
	s_or_b32 s13, s13, s40
	s_or_b32 exec_lo, exec_lo, s29
	s_and_saveexec_b32 s29, s13
	s_cbranch_execnz .LBB6_9803
	s_branch .LBB6_9804
.LBB6_11410:                            ;   in Loop: Header=BB6_9580 Depth=2
	s_or_saveexec_b32 s29, s29
	v_mov_b32_e32 v0, 0x7f800001
	s_xor_b32 exec_lo, exec_lo, s29
	s_cbranch_execz .LBB6_9816
.LBB6_11411:                            ;   in Loop: Header=BB6_9580 Depth=2
	v_cmp_ne_u16_sdwa s40, v10, v15 src0_sel:BYTE_0 src1_sel:DWORD
	v_mov_b32_e32 v0, 0
	s_andn2_b32 s13, s13, exec_lo
	s_and_b32 s40, s40, exec_lo
	s_or_b32 s13, s13, s40
	s_or_b32 exec_lo, exec_lo, s29
	s_and_saveexec_b32 s29, s13
	s_cbranch_execnz .LBB6_9817
	s_branch .LBB6_9818
.LBB6_11412:                            ;   in Loop: Header=BB6_9580 Depth=2
	s_or_saveexec_b32 s29, s29
	v_mov_b32_e32 v0, 0x7f800001
	s_xor_b32 exec_lo, exec_lo, s29
	s_cbranch_execz .LBB6_9830
.LBB6_11413:                            ;   in Loop: Header=BB6_9580 Depth=2
	v_cmp_ne_u16_sdwa s40, v10, v15 src0_sel:BYTE_1 src1_sel:DWORD
	v_mov_b32_e32 v0, 0
	s_andn2_b32 s13, s13, exec_lo
	s_and_b32 s40, s40, exec_lo
	s_or_b32 s13, s13, s40
	s_or_b32 exec_lo, exec_lo, s29
	s_and_saveexec_b32 s29, s13
	s_cbranch_execnz .LBB6_9831
	s_branch .LBB6_9832
.LBB6_11414:                            ;   in Loop: Header=BB6_9580 Depth=2
	s_or_saveexec_b32 s29, s29
	v_mov_b32_e32 v0, 0x7f800001
	s_xor_b32 exec_lo, exec_lo, s29
	s_cbranch_execz .LBB6_9844
.LBB6_11415:                            ;   in Loop: Header=BB6_9580 Depth=2
	v_cmp_ne_u16_e32 vcc_lo, 0, v1
	v_mov_b32_e32 v0, 0
	s_andn2_b32 s13, s13, exec_lo
	s_and_b32 s40, vcc_lo, exec_lo
	s_or_b32 s13, s13, s40
	s_or_b32 exec_lo, exec_lo, s29
	s_and_saveexec_b32 s29, s13
	s_cbranch_execnz .LBB6_9845
	s_branch .LBB6_9846
.LBB6_11416:                            ;   in Loop: Header=BB6_9580 Depth=2
	s_or_saveexec_b32 s29, s29
	v_mov_b32_e32 v0, 0x7f800001
	s_xor_b32 exec_lo, exec_lo, s29
	s_cbranch_execz .LBB6_9858
.LBB6_11417:                            ;   in Loop: Header=BB6_9580 Depth=2
	v_cmp_ne_u16_sdwa s40, v10, v15 src0_sel:BYTE_3 src1_sel:DWORD
	v_mov_b32_e32 v0, 0
	s_andn2_b32 s13, s13, exec_lo
	s_and_b32 s40, s40, exec_lo
	s_or_b32 s13, s13, s40
	s_or_b32 exec_lo, exec_lo, s29
	s_and_saveexec_b32 s29, s13
	s_cbranch_execnz .LBB6_9859
	s_branch .LBB6_9860
.LBB6_11418:                            ;   in Loop: Header=BB6_9580 Depth=2
	s_or_saveexec_b32 s29, s29
	v_mov_b32_e32 v0, 0x7f800001
	s_xor_b32 exec_lo, exec_lo, s29
	s_cbranch_execz .LBB6_9872
.LBB6_11419:                            ;   in Loop: Header=BB6_9580 Depth=2
	v_cmp_ne_u16_sdwa s40, v11, v15 src0_sel:BYTE_0 src1_sel:DWORD
	v_mov_b32_e32 v0, 0
	s_andn2_b32 s13, s13, exec_lo
	s_and_b32 s40, s40, exec_lo
	s_or_b32 s13, s13, s40
	s_or_b32 exec_lo, exec_lo, s29
	s_and_saveexec_b32 s29, s13
	s_cbranch_execnz .LBB6_9873
	s_branch .LBB6_9874
.LBB6_11420:                            ;   in Loop: Header=BB6_9580 Depth=2
	s_or_saveexec_b32 s29, s29
	v_mov_b32_e32 v0, 0x7f800001
	s_xor_b32 exec_lo, exec_lo, s29
	s_cbranch_execz .LBB6_9886
.LBB6_11421:                            ;   in Loop: Header=BB6_9580 Depth=2
	v_cmp_ne_u16_sdwa s40, v11, v15 src0_sel:BYTE_1 src1_sel:DWORD
	v_mov_b32_e32 v0, 0
	s_andn2_b32 s13, s13, exec_lo
	s_and_b32 s40, s40, exec_lo
	s_or_b32 s13, s13, s40
	s_or_b32 exec_lo, exec_lo, s29
	s_and_saveexec_b32 s29, s13
	s_cbranch_execnz .LBB6_9887
	s_branch .LBB6_9888
.LBB6_11422:                            ;   in Loop: Header=BB6_9580 Depth=2
	s_or_saveexec_b32 s29, s29
	v_mov_b32_e32 v0, 0x7f800001
	s_xor_b32 exec_lo, exec_lo, s29
	s_cbranch_execz .LBB6_9900
.LBB6_11423:                            ;   in Loop: Header=BB6_9580 Depth=2
	v_cmp_ne_u16_e32 vcc_lo, 0, v1
	v_mov_b32_e32 v0, 0
	s_andn2_b32 s13, s13, exec_lo
	s_and_b32 s40, vcc_lo, exec_lo
	s_or_b32 s13, s13, s40
	s_or_b32 exec_lo, exec_lo, s29
	s_and_saveexec_b32 s29, s13
	s_cbranch_execnz .LBB6_9901
	s_branch .LBB6_9902
.LBB6_11424:                            ;   in Loop: Header=BB6_9580 Depth=2
	s_or_saveexec_b32 s29, s29
	v_mov_b32_e32 v0, 0x7f800001
	s_xor_b32 exec_lo, exec_lo, s29
	s_cbranch_execz .LBB6_9914
.LBB6_11425:                            ;   in Loop: Header=BB6_9580 Depth=2
	v_cmp_ne_u16_sdwa s40, v11, v15 src0_sel:BYTE_3 src1_sel:DWORD
	v_mov_b32_e32 v0, 0
	s_andn2_b32 s13, s13, exec_lo
	s_and_b32 s40, s40, exec_lo
	s_or_b32 s13, s13, s40
	s_or_b32 exec_lo, exec_lo, s29
	s_and_saveexec_b32 s29, s13
	s_cbranch_execnz .LBB6_9915
	s_branch .LBB6_9916
.LBB6_11426:                            ;   in Loop: Header=BB6_9580 Depth=2
	s_or_saveexec_b32 s29, s29
	v_mov_b32_e32 v0, 0x7f800001
	s_xor_b32 exec_lo, exec_lo, s29
	s_cbranch_execz .LBB6_9928
.LBB6_11427:                            ;   in Loop: Header=BB6_9580 Depth=2
	v_cmp_ne_u16_sdwa s40, v12, v15 src0_sel:BYTE_0 src1_sel:DWORD
	v_mov_b32_e32 v0, 0
	s_andn2_b32 s13, s13, exec_lo
	s_and_b32 s40, s40, exec_lo
	s_or_b32 s13, s13, s40
	s_or_b32 exec_lo, exec_lo, s29
	s_and_saveexec_b32 s29, s13
	s_cbranch_execnz .LBB6_9929
	s_branch .LBB6_9930
.LBB6_11428:                            ;   in Loop: Header=BB6_9580 Depth=2
	s_or_saveexec_b32 s29, s29
	v_mov_b32_e32 v0, 0x7f800001
	s_xor_b32 exec_lo, exec_lo, s29
	s_cbranch_execz .LBB6_9942
.LBB6_11429:                            ;   in Loop: Header=BB6_9580 Depth=2
	v_cmp_ne_u16_sdwa s40, v12, v15 src0_sel:BYTE_1 src1_sel:DWORD
	v_mov_b32_e32 v0, 0
	s_andn2_b32 s13, s13, exec_lo
	s_and_b32 s40, s40, exec_lo
	s_or_b32 s13, s13, s40
	s_or_b32 exec_lo, exec_lo, s29
	s_and_saveexec_b32 s29, s13
	s_cbranch_execnz .LBB6_9943
	s_branch .LBB6_9944
.LBB6_11430:                            ;   in Loop: Header=BB6_9580 Depth=2
	s_or_saveexec_b32 s29, s29
	v_mov_b32_e32 v0, 0x7f800001
	s_xor_b32 exec_lo, exec_lo, s29
	s_cbranch_execz .LBB6_9956
.LBB6_11431:                            ;   in Loop: Header=BB6_9580 Depth=2
	v_cmp_ne_u16_e32 vcc_lo, 0, v1
	v_mov_b32_e32 v0, 0
	s_andn2_b32 s13, s13, exec_lo
	s_and_b32 s40, vcc_lo, exec_lo
	s_or_b32 s13, s13, s40
	s_or_b32 exec_lo, exec_lo, s29
	s_and_saveexec_b32 s29, s13
	s_cbranch_execnz .LBB6_9957
	s_branch .LBB6_9958
.LBB6_11432:                            ;   in Loop: Header=BB6_9580 Depth=2
	s_or_saveexec_b32 s29, s29
	v_mov_b32_e32 v0, 0x7f800001
	s_xor_b32 exec_lo, exec_lo, s29
	s_cbranch_execz .LBB6_9970
.LBB6_11433:                            ;   in Loop: Header=BB6_9580 Depth=2
	v_cmp_ne_u16_sdwa s40, v12, v15 src0_sel:BYTE_3 src1_sel:DWORD
	v_mov_b32_e32 v0, 0
	s_andn2_b32 s13, s13, exec_lo
	s_and_b32 s40, s40, exec_lo
	s_or_b32 s13, s13, s40
	s_or_b32 exec_lo, exec_lo, s29
	s_and_saveexec_b32 s29, s13
	s_cbranch_execnz .LBB6_9971
	s_branch .LBB6_9972
.LBB6_11434:                            ;   in Loop: Header=BB6_9580 Depth=2
	s_or_saveexec_b32 s29, s29
	v_mov_b32_e32 v0, 0x7f800001
	s_xor_b32 exec_lo, exec_lo, s29
	s_cbranch_execz .LBB6_9984
.LBB6_11435:                            ;   in Loop: Header=BB6_9580 Depth=2
	v_cmp_ne_u16_sdwa s40, v13, v15 src0_sel:BYTE_0 src1_sel:DWORD
	v_mov_b32_e32 v0, 0
	s_andn2_b32 s13, s13, exec_lo
	s_and_b32 s40, s40, exec_lo
	s_or_b32 s13, s13, s40
	s_or_b32 exec_lo, exec_lo, s29
	s_and_saveexec_b32 s29, s13
	s_cbranch_execnz .LBB6_9985
	s_branch .LBB6_9986
.LBB6_11436:                            ;   in Loop: Header=BB6_9580 Depth=2
	s_or_saveexec_b32 s29, s29
	v_mov_b32_e32 v0, 0x7f800001
	s_xor_b32 exec_lo, exec_lo, s29
	s_cbranch_execz .LBB6_9998
.LBB6_11437:                            ;   in Loop: Header=BB6_9580 Depth=2
	v_cmp_ne_u16_sdwa s40, v13, v15 src0_sel:BYTE_1 src1_sel:DWORD
	v_mov_b32_e32 v0, 0
	s_andn2_b32 s13, s13, exec_lo
	s_and_b32 s40, s40, exec_lo
	s_or_b32 s13, s13, s40
	s_or_b32 exec_lo, exec_lo, s29
	s_and_saveexec_b32 s29, s13
	s_cbranch_execnz .LBB6_9999
	s_branch .LBB6_10000
.LBB6_11438:                            ;   in Loop: Header=BB6_9580 Depth=2
	s_or_saveexec_b32 s29, s29
	v_mov_b32_e32 v0, 0x7f800001
	s_xor_b32 exec_lo, exec_lo, s29
	s_cbranch_execz .LBB6_10012
.LBB6_11439:                            ;   in Loop: Header=BB6_9580 Depth=2
	v_cmp_ne_u16_e32 vcc_lo, 0, v1
	v_mov_b32_e32 v0, 0
	s_andn2_b32 s13, s13, exec_lo
	s_and_b32 s40, vcc_lo, exec_lo
	s_or_b32 s13, s13, s40
	s_or_b32 exec_lo, exec_lo, s29
	s_and_saveexec_b32 s29, s13
	s_cbranch_execnz .LBB6_10013
	s_branch .LBB6_10014
.LBB6_11440:                            ;   in Loop: Header=BB6_9580 Depth=2
	s_or_saveexec_b32 s29, s29
	v_mov_b32_e32 v0, 0x7f800001
	s_xor_b32 exec_lo, exec_lo, s29
	s_cbranch_execz .LBB6_10026
.LBB6_11441:                            ;   in Loop: Header=BB6_9580 Depth=2
	v_cmp_ne_u16_sdwa s40, v13, v15 src0_sel:BYTE_3 src1_sel:DWORD
	v_mov_b32_e32 v0, 0
	s_andn2_b32 s13, s13, exec_lo
	s_and_b32 s40, s40, exec_lo
	s_or_b32 s13, s13, s40
	s_or_b32 exec_lo, exec_lo, s29
	s_and_saveexec_b32 s29, s13
	s_cbranch_execnz .LBB6_10027
	s_branch .LBB6_10028
.LBB6_11442:                            ;   in Loop: Header=BB6_9580 Depth=2
	s_or_saveexec_b32 s29, s29
	v_mov_b32_e32 v0, 0x7f800001
	s_xor_b32 exec_lo, exec_lo, s29
	s_cbranch_execz .LBB6_10040
.LBB6_11443:                            ;   in Loop: Header=BB6_9580 Depth=2
	v_cmp_ne_u16_sdwa s40, v10, v15 src0_sel:BYTE_0 src1_sel:DWORD
	v_mov_b32_e32 v0, 0
	s_andn2_b32 s13, s13, exec_lo
	s_and_b32 s40, s40, exec_lo
	s_or_b32 s13, s13, s40
	s_or_b32 exec_lo, exec_lo, s29
	s_and_saveexec_b32 s29, s13
	s_cbranch_execnz .LBB6_10041
	s_branch .LBB6_10042
.LBB6_11444:                            ;   in Loop: Header=BB6_9580 Depth=2
	s_or_saveexec_b32 s29, s29
	v_mov_b32_e32 v0, 0x7f800001
	s_xor_b32 exec_lo, exec_lo, s29
	s_cbranch_execz .LBB6_10054
.LBB6_11445:                            ;   in Loop: Header=BB6_9580 Depth=2
	v_cmp_ne_u16_sdwa s40, v10, v15 src0_sel:BYTE_1 src1_sel:DWORD
	v_mov_b32_e32 v0, 0
	s_andn2_b32 s13, s13, exec_lo
	s_and_b32 s40, s40, exec_lo
	s_or_b32 s13, s13, s40
	s_or_b32 exec_lo, exec_lo, s29
	s_and_saveexec_b32 s29, s13
	s_cbranch_execnz .LBB6_10055
	s_branch .LBB6_10056
.LBB6_11446:                            ;   in Loop: Header=BB6_9580 Depth=2
	s_or_saveexec_b32 s29, s29
	v_mov_b32_e32 v0, 0x7f800001
	s_xor_b32 exec_lo, exec_lo, s29
	s_cbranch_execz .LBB6_10068
.LBB6_11447:                            ;   in Loop: Header=BB6_9580 Depth=2
	v_cmp_ne_u16_e32 vcc_lo, 0, v1
	v_mov_b32_e32 v0, 0
	s_andn2_b32 s13, s13, exec_lo
	s_and_b32 s40, vcc_lo, exec_lo
	s_or_b32 s13, s13, s40
	s_or_b32 exec_lo, exec_lo, s29
	s_and_saveexec_b32 s29, s13
	s_cbranch_execnz .LBB6_10069
	s_branch .LBB6_10070
.LBB6_11448:                            ;   in Loop: Header=BB6_9580 Depth=2
	s_or_saveexec_b32 s29, s29
	v_mov_b32_e32 v0, 0x7f800001
	s_xor_b32 exec_lo, exec_lo, s29
	s_cbranch_execz .LBB6_10082
.LBB6_11449:                            ;   in Loop: Header=BB6_9580 Depth=2
	v_cmp_ne_u16_sdwa s40, v10, v15 src0_sel:BYTE_3 src1_sel:DWORD
	v_mov_b32_e32 v0, 0
	s_andn2_b32 s13, s13, exec_lo
	s_and_b32 s40, s40, exec_lo
	s_or_b32 s13, s13, s40
	s_or_b32 exec_lo, exec_lo, s29
	s_and_saveexec_b32 s29, s13
	s_cbranch_execnz .LBB6_10083
	s_branch .LBB6_10084
.LBB6_11450:                            ;   in Loop: Header=BB6_9580 Depth=2
	s_or_saveexec_b32 s29, s29
	v_mov_b32_e32 v0, 0x7f800001
	s_xor_b32 exec_lo, exec_lo, s29
	s_cbranch_execz .LBB6_10096
.LBB6_11451:                            ;   in Loop: Header=BB6_9580 Depth=2
	v_cmp_ne_u16_sdwa s40, v11, v15 src0_sel:BYTE_0 src1_sel:DWORD
	v_mov_b32_e32 v0, 0
	s_andn2_b32 s13, s13, exec_lo
	s_and_b32 s40, s40, exec_lo
	s_or_b32 s13, s13, s40
	s_or_b32 exec_lo, exec_lo, s29
	s_and_saveexec_b32 s29, s13
	s_cbranch_execnz .LBB6_10097
	s_branch .LBB6_10098
.LBB6_11452:                            ;   in Loop: Header=BB6_9580 Depth=2
	s_or_saveexec_b32 s29, s29
	v_mov_b32_e32 v0, 0x7f800001
	s_xor_b32 exec_lo, exec_lo, s29
	s_cbranch_execz .LBB6_10110
.LBB6_11453:                            ;   in Loop: Header=BB6_9580 Depth=2
	v_cmp_ne_u16_sdwa s40, v11, v15 src0_sel:BYTE_1 src1_sel:DWORD
	v_mov_b32_e32 v0, 0
	s_andn2_b32 s13, s13, exec_lo
	s_and_b32 s40, s40, exec_lo
	s_or_b32 s13, s13, s40
	s_or_b32 exec_lo, exec_lo, s29
	s_and_saveexec_b32 s29, s13
	s_cbranch_execnz .LBB6_10111
	s_branch .LBB6_10112
.LBB6_11454:                            ;   in Loop: Header=BB6_9580 Depth=2
	s_or_saveexec_b32 s29, s29
	v_mov_b32_e32 v0, 0x7f800001
	s_xor_b32 exec_lo, exec_lo, s29
	s_cbranch_execz .LBB6_10124
.LBB6_11455:                            ;   in Loop: Header=BB6_9580 Depth=2
	v_cmp_ne_u16_e32 vcc_lo, 0, v1
	v_mov_b32_e32 v0, 0
	s_andn2_b32 s13, s13, exec_lo
	s_and_b32 s40, vcc_lo, exec_lo
	s_or_b32 s13, s13, s40
	s_or_b32 exec_lo, exec_lo, s29
	s_and_saveexec_b32 s29, s13
	s_cbranch_execnz .LBB6_10125
	s_branch .LBB6_10126
.LBB6_11456:                            ;   in Loop: Header=BB6_9580 Depth=2
	s_or_saveexec_b32 s29, s29
	v_mov_b32_e32 v0, 0x7f800001
	s_xor_b32 exec_lo, exec_lo, s29
	s_cbranch_execz .LBB6_10138
.LBB6_11457:                            ;   in Loop: Header=BB6_9580 Depth=2
	v_cmp_ne_u16_sdwa s40, v11, v15 src0_sel:BYTE_3 src1_sel:DWORD
	v_mov_b32_e32 v0, 0
	s_andn2_b32 s13, s13, exec_lo
	s_and_b32 s40, s40, exec_lo
	s_or_b32 s13, s13, s40
	s_or_b32 exec_lo, exec_lo, s29
	s_and_saveexec_b32 s29, s13
	s_cbranch_execnz .LBB6_10139
	s_branch .LBB6_10140
.LBB6_11458:                            ;   in Loop: Header=BB6_9580 Depth=2
	s_or_saveexec_b32 s29, s29
	v_mov_b32_e32 v0, 0x7f800001
	s_xor_b32 exec_lo, exec_lo, s29
	s_cbranch_execz .LBB6_10152
.LBB6_11459:                            ;   in Loop: Header=BB6_9580 Depth=2
	v_cmp_ne_u16_sdwa s40, v12, v15 src0_sel:BYTE_0 src1_sel:DWORD
	v_mov_b32_e32 v0, 0
	s_andn2_b32 s13, s13, exec_lo
	s_and_b32 s40, s40, exec_lo
	s_or_b32 s13, s13, s40
	s_or_b32 exec_lo, exec_lo, s29
	s_and_saveexec_b32 s29, s13
	s_cbranch_execnz .LBB6_10153
	s_branch .LBB6_10154
.LBB6_11460:                            ;   in Loop: Header=BB6_9580 Depth=2
	s_or_saveexec_b32 s29, s29
	v_mov_b32_e32 v0, 0x7f800001
	s_xor_b32 exec_lo, exec_lo, s29
	s_cbranch_execz .LBB6_10166
.LBB6_11461:                            ;   in Loop: Header=BB6_9580 Depth=2
	v_cmp_ne_u16_sdwa s40, v12, v15 src0_sel:BYTE_1 src1_sel:DWORD
	v_mov_b32_e32 v0, 0
	s_andn2_b32 s13, s13, exec_lo
	s_and_b32 s40, s40, exec_lo
	s_or_b32 s13, s13, s40
	s_or_b32 exec_lo, exec_lo, s29
	s_and_saveexec_b32 s29, s13
	s_cbranch_execnz .LBB6_10167
	s_branch .LBB6_10168
.LBB6_11462:                            ;   in Loop: Header=BB6_9580 Depth=2
	s_or_saveexec_b32 s29, s29
	v_mov_b32_e32 v0, 0x7f800001
	s_xor_b32 exec_lo, exec_lo, s29
	s_cbranch_execz .LBB6_10180
.LBB6_11463:                            ;   in Loop: Header=BB6_9580 Depth=2
	v_cmp_ne_u16_e32 vcc_lo, 0, v1
	v_mov_b32_e32 v0, 0
	s_andn2_b32 s13, s13, exec_lo
	s_and_b32 s40, vcc_lo, exec_lo
	s_or_b32 s13, s13, s40
	s_or_b32 exec_lo, exec_lo, s29
	s_and_saveexec_b32 s29, s13
	s_cbranch_execnz .LBB6_10181
	s_branch .LBB6_10182
.LBB6_11464:                            ;   in Loop: Header=BB6_9580 Depth=2
	s_or_saveexec_b32 s29, s29
	v_mov_b32_e32 v0, 0x7f800001
	s_xor_b32 exec_lo, exec_lo, s29
	s_cbranch_execz .LBB6_10194
.LBB6_11465:                            ;   in Loop: Header=BB6_9580 Depth=2
	v_cmp_ne_u16_sdwa s40, v12, v15 src0_sel:BYTE_3 src1_sel:DWORD
	v_mov_b32_e32 v0, 0
	s_andn2_b32 s13, s13, exec_lo
	s_and_b32 s40, s40, exec_lo
	s_or_b32 s13, s13, s40
	s_or_b32 exec_lo, exec_lo, s29
	s_and_saveexec_b32 s29, s13
	s_cbranch_execnz .LBB6_10195
	s_branch .LBB6_10196
.LBB6_11466:                            ;   in Loop: Header=BB6_9580 Depth=2
	s_or_saveexec_b32 s29, s29
	v_mov_b32_e32 v0, 0x7f800001
	s_xor_b32 exec_lo, exec_lo, s29
	s_cbranch_execz .LBB6_10208
.LBB6_11467:                            ;   in Loop: Header=BB6_9580 Depth=2
	v_cmp_ne_u16_sdwa s40, v13, v15 src0_sel:BYTE_0 src1_sel:DWORD
	v_mov_b32_e32 v0, 0
	s_andn2_b32 s13, s13, exec_lo
	s_and_b32 s40, s40, exec_lo
	s_or_b32 s13, s13, s40
	s_or_b32 exec_lo, exec_lo, s29
	s_and_saveexec_b32 s29, s13
	s_cbranch_execnz .LBB6_10209
	s_branch .LBB6_10210
.LBB6_11468:                            ;   in Loop: Header=BB6_9580 Depth=2
	s_or_saveexec_b32 s29, s29
	v_mov_b32_e32 v0, 0x7f800001
	s_xor_b32 exec_lo, exec_lo, s29
	s_cbranch_execz .LBB6_10222
.LBB6_11469:                            ;   in Loop: Header=BB6_9580 Depth=2
	v_cmp_ne_u16_sdwa s40, v13, v15 src0_sel:BYTE_1 src1_sel:DWORD
	v_mov_b32_e32 v0, 0
	s_andn2_b32 s13, s13, exec_lo
	s_and_b32 s40, s40, exec_lo
	s_or_b32 s13, s13, s40
	s_or_b32 exec_lo, exec_lo, s29
	s_and_saveexec_b32 s29, s13
	s_cbranch_execnz .LBB6_10223
	s_branch .LBB6_10224
.LBB6_11470:                            ;   in Loop: Header=BB6_9580 Depth=2
	s_or_saveexec_b32 s29, s29
	v_mov_b32_e32 v0, 0x7f800001
	s_xor_b32 exec_lo, exec_lo, s29
	s_cbranch_execz .LBB6_10236
.LBB6_11471:                            ;   in Loop: Header=BB6_9580 Depth=2
	v_cmp_ne_u16_e32 vcc_lo, 0, v1
	v_mov_b32_e32 v0, 0
	s_andn2_b32 s13, s13, exec_lo
	s_and_b32 s40, vcc_lo, exec_lo
	s_or_b32 s13, s13, s40
	s_or_b32 exec_lo, exec_lo, s29
	s_and_saveexec_b32 s29, s13
	s_cbranch_execnz .LBB6_10237
	s_branch .LBB6_10238
.LBB6_11472:                            ;   in Loop: Header=BB6_9580 Depth=2
	s_or_saveexec_b32 s29, s29
	v_mov_b32_e32 v0, 0x7f800001
	s_xor_b32 exec_lo, exec_lo, s29
	s_cbranch_execz .LBB6_10250
.LBB6_11473:                            ;   in Loop: Header=BB6_9580 Depth=2
	v_cmp_ne_u16_sdwa s40, v13, v15 src0_sel:BYTE_3 src1_sel:DWORD
	v_mov_b32_e32 v0, 0
	s_andn2_b32 s13, s13, exec_lo
	s_and_b32 s40, s40, exec_lo
	s_or_b32 s13, s13, s40
	s_or_b32 exec_lo, exec_lo, s29
	s_and_saveexec_b32 s29, s13
	s_cbranch_execnz .LBB6_10251
	s_branch .LBB6_10252
.LBB6_11474:                            ;   in Loop: Header=BB6_9580 Depth=2
	s_or_saveexec_b32 s29, s29
	v_mov_b32_e32 v0, 0x7f800001
	s_xor_b32 exec_lo, exec_lo, s29
	s_cbranch_execz .LBB6_10264
.LBB6_11475:                            ;   in Loop: Header=BB6_9580 Depth=2
	v_cmp_ne_u16_sdwa s40, v10, v15 src0_sel:BYTE_0 src1_sel:DWORD
	v_mov_b32_e32 v0, 0
	s_andn2_b32 s13, s13, exec_lo
	s_and_b32 s40, s40, exec_lo
	s_or_b32 s13, s13, s40
	s_or_b32 exec_lo, exec_lo, s29
	s_and_saveexec_b32 s29, s13
	s_cbranch_execnz .LBB6_10265
	s_branch .LBB6_10266
.LBB6_11476:                            ;   in Loop: Header=BB6_9580 Depth=2
	s_or_saveexec_b32 s29, s29
	v_mov_b32_e32 v0, 0x7f800001
	s_xor_b32 exec_lo, exec_lo, s29
	s_cbranch_execz .LBB6_10278
.LBB6_11477:                            ;   in Loop: Header=BB6_9580 Depth=2
	v_cmp_ne_u16_sdwa s40, v10, v15 src0_sel:BYTE_1 src1_sel:DWORD
	v_mov_b32_e32 v0, 0
	s_andn2_b32 s13, s13, exec_lo
	s_and_b32 s40, s40, exec_lo
	s_or_b32 s13, s13, s40
	s_or_b32 exec_lo, exec_lo, s29
	s_and_saveexec_b32 s29, s13
	s_cbranch_execnz .LBB6_10279
	s_branch .LBB6_10280
.LBB6_11478:                            ;   in Loop: Header=BB6_9580 Depth=2
	s_or_saveexec_b32 s29, s29
	v_mov_b32_e32 v0, 0x7f800001
	s_xor_b32 exec_lo, exec_lo, s29
	s_cbranch_execz .LBB6_10292
.LBB6_11479:                            ;   in Loop: Header=BB6_9580 Depth=2
	v_cmp_ne_u16_e32 vcc_lo, 0, v1
	v_mov_b32_e32 v0, 0
	s_andn2_b32 s13, s13, exec_lo
	s_and_b32 s40, vcc_lo, exec_lo
	s_or_b32 s13, s13, s40
	s_or_b32 exec_lo, exec_lo, s29
	s_and_saveexec_b32 s29, s13
	s_cbranch_execnz .LBB6_10293
	s_branch .LBB6_10294
.LBB6_11480:                            ;   in Loop: Header=BB6_9580 Depth=2
	s_or_saveexec_b32 s29, s29
	v_mov_b32_e32 v0, 0x7f800001
	s_xor_b32 exec_lo, exec_lo, s29
	s_cbranch_execz .LBB6_10306
.LBB6_11481:                            ;   in Loop: Header=BB6_9580 Depth=2
	v_cmp_ne_u16_sdwa s40, v10, v15 src0_sel:BYTE_3 src1_sel:DWORD
	v_mov_b32_e32 v0, 0
	s_andn2_b32 s13, s13, exec_lo
	s_and_b32 s40, s40, exec_lo
	s_or_b32 s13, s13, s40
	s_or_b32 exec_lo, exec_lo, s29
	s_and_saveexec_b32 s29, s13
	s_cbranch_execnz .LBB6_10307
	s_branch .LBB6_10308
.LBB6_11482:                            ;   in Loop: Header=BB6_9580 Depth=2
	s_or_saveexec_b32 s29, s29
	v_mov_b32_e32 v0, 0x7f800001
	s_xor_b32 exec_lo, exec_lo, s29
	s_cbranch_execz .LBB6_10320
.LBB6_11483:                            ;   in Loop: Header=BB6_9580 Depth=2
	v_cmp_ne_u16_sdwa s40, v11, v15 src0_sel:BYTE_0 src1_sel:DWORD
	v_mov_b32_e32 v0, 0
	s_andn2_b32 s13, s13, exec_lo
	s_and_b32 s40, s40, exec_lo
	s_or_b32 s13, s13, s40
	s_or_b32 exec_lo, exec_lo, s29
	s_and_saveexec_b32 s29, s13
	s_cbranch_execnz .LBB6_10321
	s_branch .LBB6_10322
.LBB6_11484:                            ;   in Loop: Header=BB6_9580 Depth=2
	s_or_saveexec_b32 s29, s29
	v_mov_b32_e32 v0, 0x7f800001
	s_xor_b32 exec_lo, exec_lo, s29
	s_cbranch_execz .LBB6_10334
.LBB6_11485:                            ;   in Loop: Header=BB6_9580 Depth=2
	v_cmp_ne_u16_sdwa s40, v11, v15 src0_sel:BYTE_1 src1_sel:DWORD
	v_mov_b32_e32 v0, 0
	s_andn2_b32 s13, s13, exec_lo
	s_and_b32 s40, s40, exec_lo
	s_or_b32 s13, s13, s40
	s_or_b32 exec_lo, exec_lo, s29
	s_and_saveexec_b32 s29, s13
	s_cbranch_execnz .LBB6_10335
	s_branch .LBB6_10336
.LBB6_11486:                            ;   in Loop: Header=BB6_9580 Depth=2
	s_or_saveexec_b32 s29, s29
	v_mov_b32_e32 v0, 0x7f800001
	s_xor_b32 exec_lo, exec_lo, s29
	s_cbranch_execz .LBB6_10348
.LBB6_11487:                            ;   in Loop: Header=BB6_9580 Depth=2
	v_cmp_ne_u16_e32 vcc_lo, 0, v1
	v_mov_b32_e32 v0, 0
	s_andn2_b32 s13, s13, exec_lo
	s_and_b32 s40, vcc_lo, exec_lo
	s_or_b32 s13, s13, s40
	s_or_b32 exec_lo, exec_lo, s29
	s_and_saveexec_b32 s29, s13
	s_cbranch_execnz .LBB6_10349
	s_branch .LBB6_10350
.LBB6_11488:                            ;   in Loop: Header=BB6_9580 Depth=2
	s_or_saveexec_b32 s29, s29
	v_mov_b32_e32 v0, 0x7f800001
	s_xor_b32 exec_lo, exec_lo, s29
	s_cbranch_execz .LBB6_10362
.LBB6_11489:                            ;   in Loop: Header=BB6_9580 Depth=2
	v_cmp_ne_u16_sdwa s40, v11, v15 src0_sel:BYTE_3 src1_sel:DWORD
	v_mov_b32_e32 v0, 0
	s_andn2_b32 s13, s13, exec_lo
	s_and_b32 s40, s40, exec_lo
	s_or_b32 s13, s13, s40
	s_or_b32 exec_lo, exec_lo, s29
	s_and_saveexec_b32 s29, s13
	s_cbranch_execnz .LBB6_10363
	s_branch .LBB6_10364
.LBB6_11490:                            ;   in Loop: Header=BB6_9580 Depth=2
	s_or_saveexec_b32 s29, s29
	v_mov_b32_e32 v0, 0x7f800001
	s_xor_b32 exec_lo, exec_lo, s29
	s_cbranch_execz .LBB6_10376
.LBB6_11491:                            ;   in Loop: Header=BB6_9580 Depth=2
	v_cmp_ne_u16_sdwa s40, v12, v15 src0_sel:BYTE_0 src1_sel:DWORD
	v_mov_b32_e32 v0, 0
	s_andn2_b32 s13, s13, exec_lo
	s_and_b32 s40, s40, exec_lo
	s_or_b32 s13, s13, s40
	s_or_b32 exec_lo, exec_lo, s29
	s_and_saveexec_b32 s29, s13
	s_cbranch_execnz .LBB6_10377
	s_branch .LBB6_10378
.LBB6_11492:                            ;   in Loop: Header=BB6_9580 Depth=2
	s_or_saveexec_b32 s29, s29
	v_mov_b32_e32 v0, 0x7f800001
	s_xor_b32 exec_lo, exec_lo, s29
	s_cbranch_execz .LBB6_10390
.LBB6_11493:                            ;   in Loop: Header=BB6_9580 Depth=2
	v_cmp_ne_u16_sdwa s40, v12, v15 src0_sel:BYTE_1 src1_sel:DWORD
	v_mov_b32_e32 v0, 0
	s_andn2_b32 s13, s13, exec_lo
	s_and_b32 s40, s40, exec_lo
	s_or_b32 s13, s13, s40
	s_or_b32 exec_lo, exec_lo, s29
	s_and_saveexec_b32 s29, s13
	s_cbranch_execnz .LBB6_10391
	s_branch .LBB6_10392
.LBB6_11494:                            ;   in Loop: Header=BB6_9580 Depth=2
	s_or_saveexec_b32 s29, s29
	v_mov_b32_e32 v0, 0x7f800001
	s_xor_b32 exec_lo, exec_lo, s29
	s_cbranch_execz .LBB6_10404
.LBB6_11495:                            ;   in Loop: Header=BB6_9580 Depth=2
	v_cmp_ne_u16_e32 vcc_lo, 0, v1
	v_mov_b32_e32 v0, 0
	s_andn2_b32 s13, s13, exec_lo
	s_and_b32 s40, vcc_lo, exec_lo
	s_or_b32 s13, s13, s40
	s_or_b32 exec_lo, exec_lo, s29
	s_and_saveexec_b32 s29, s13
	s_cbranch_execnz .LBB6_10405
	s_branch .LBB6_10406
.LBB6_11496:                            ;   in Loop: Header=BB6_9580 Depth=2
	s_or_saveexec_b32 s29, s29
	v_mov_b32_e32 v0, 0x7f800001
	s_xor_b32 exec_lo, exec_lo, s29
	s_cbranch_execz .LBB6_10418
.LBB6_11497:                            ;   in Loop: Header=BB6_9580 Depth=2
	v_cmp_ne_u16_sdwa s40, v12, v15 src0_sel:BYTE_3 src1_sel:DWORD
	v_mov_b32_e32 v0, 0
	s_andn2_b32 s13, s13, exec_lo
	s_and_b32 s40, s40, exec_lo
	s_or_b32 s13, s13, s40
	s_or_b32 exec_lo, exec_lo, s29
	s_and_saveexec_b32 s29, s13
	s_cbranch_execnz .LBB6_10419
	s_branch .LBB6_10420
.LBB6_11498:                            ;   in Loop: Header=BB6_9580 Depth=2
	s_or_saveexec_b32 s29, s29
	v_mov_b32_e32 v0, 0x7f800001
	s_xor_b32 exec_lo, exec_lo, s29
	s_cbranch_execz .LBB6_10432
.LBB6_11499:                            ;   in Loop: Header=BB6_9580 Depth=2
	v_cmp_ne_u16_sdwa s40, v13, v15 src0_sel:BYTE_0 src1_sel:DWORD
	v_mov_b32_e32 v0, 0
	s_andn2_b32 s13, s13, exec_lo
	s_and_b32 s40, s40, exec_lo
	s_or_b32 s13, s13, s40
	s_or_b32 exec_lo, exec_lo, s29
	s_and_saveexec_b32 s29, s13
	s_cbranch_execnz .LBB6_10433
	s_branch .LBB6_10434
.LBB6_11500:                            ;   in Loop: Header=BB6_9580 Depth=2
	s_or_saveexec_b32 s29, s29
	v_mov_b32_e32 v0, 0x7f800001
	s_xor_b32 exec_lo, exec_lo, s29
	s_cbranch_execz .LBB6_10446
.LBB6_11501:                            ;   in Loop: Header=BB6_9580 Depth=2
	v_cmp_ne_u16_sdwa s40, v13, v15 src0_sel:BYTE_1 src1_sel:DWORD
	v_mov_b32_e32 v0, 0
	s_andn2_b32 s13, s13, exec_lo
	s_and_b32 s40, s40, exec_lo
	s_or_b32 s13, s13, s40
	s_or_b32 exec_lo, exec_lo, s29
	s_and_saveexec_b32 s29, s13
	s_cbranch_execnz .LBB6_10447
	s_branch .LBB6_10448
.LBB6_11502:                            ;   in Loop: Header=BB6_9580 Depth=2
	s_or_saveexec_b32 s13, s13
	v_mov_b32_e32 v0, 0x7f800001
	s_xor_b32 exec_lo, exec_lo, s13
	s_cbranch_execz .LBB6_10460
.LBB6_11503:                            ;   in Loop: Header=BB6_9580 Depth=2
	v_cmp_ne_u16_e32 vcc_lo, 0, v1
	v_mov_b32_e32 v0, 0
	s_andn2_b32 s29, s29, exec_lo
	s_and_b32 s40, vcc_lo, exec_lo
	s_or_b32 s29, s29, s40
	s_or_b32 exec_lo, exec_lo, s13
	s_and_saveexec_b32 s13, s29
	s_cbranch_execnz .LBB6_10461
	s_branch .LBB6_10462
.LBB6_11504:                            ;   in Loop: Header=BB6_9580 Depth=2
	s_or_saveexec_b32 s29, s29
	v_mov_b32_e32 v0, 0x7f800001
	s_xor_b32 exec_lo, exec_lo, s29
	s_cbranch_execz .LBB6_10474
.LBB6_11505:                            ;   in Loop: Header=BB6_9580 Depth=2
	v_cmp_ne_u16_sdwa s40, v13, v15 src0_sel:BYTE_3 src1_sel:DWORD
	v_mov_b32_e32 v0, 0
	s_andn2_b32 s13, s13, exec_lo
	s_and_b32 s40, s40, exec_lo
	s_or_b32 s13, s13, s40
	s_or_b32 exec_lo, exec_lo, s29
	s_and_saveexec_b32 s29, s13
	s_cbranch_execnz .LBB6_10475
	s_branch .LBB6_10476
.LBB6_11506:                            ;   in Loop: Header=BB6_9580 Depth=2
	s_or_saveexec_b32 s13, s13
	v_mov_b32_e32 v0, 0x7f800001
	s_xor_b32 exec_lo, exec_lo, s13
	s_cbranch_execz .LBB6_10488
.LBB6_11507:                            ;   in Loop: Header=BB6_9580 Depth=2
	v_cmp_ne_u16_sdwa s40, v10, v15 src0_sel:BYTE_0 src1_sel:DWORD
	v_mov_b32_e32 v0, 0
	s_andn2_b32 s29, s29, exec_lo
	s_and_b32 s40, s40, exec_lo
	s_or_b32 s29, s29, s40
	s_or_b32 exec_lo, exec_lo, s13
	s_and_saveexec_b32 s13, s29
	s_cbranch_execnz .LBB6_10489
	s_branch .LBB6_10490
.LBB6_11508:                            ;   in Loop: Header=BB6_9580 Depth=2
	s_or_saveexec_b32 s29, s29
	v_mov_b32_e32 v0, 0x7f800001
	s_xor_b32 exec_lo, exec_lo, s29
	s_cbranch_execz .LBB6_10502
.LBB6_11509:                            ;   in Loop: Header=BB6_9580 Depth=2
	v_cmp_ne_u16_sdwa s40, v10, v15 src0_sel:BYTE_1 src1_sel:DWORD
	v_mov_b32_e32 v0, 0
	s_andn2_b32 s13, s13, exec_lo
	s_and_b32 s40, s40, exec_lo
	s_or_b32 s13, s13, s40
	s_or_b32 exec_lo, exec_lo, s29
	s_and_saveexec_b32 s29, s13
	s_cbranch_execnz .LBB6_10503
	s_branch .LBB6_10504
.LBB6_11510:                            ;   in Loop: Header=BB6_9580 Depth=2
	s_or_saveexec_b32 s13, s13
	v_mov_b32_e32 v0, 0x7f800001
	s_xor_b32 exec_lo, exec_lo, s13
	s_cbranch_execz .LBB6_10516
.LBB6_11511:                            ;   in Loop: Header=BB6_9580 Depth=2
	v_cmp_ne_u16_e32 vcc_lo, 0, v1
	v_mov_b32_e32 v0, 0
	s_andn2_b32 s29, s29, exec_lo
	s_and_b32 s40, vcc_lo, exec_lo
	s_or_b32 s29, s29, s40
	s_or_b32 exec_lo, exec_lo, s13
	s_and_saveexec_b32 s13, s29
	s_cbranch_execnz .LBB6_10517
	s_branch .LBB6_10518
.LBB6_11512:                            ;   in Loop: Header=BB6_9580 Depth=2
	s_or_saveexec_b32 s29, s29
	v_mov_b32_e32 v0, 0x7f800001
	s_xor_b32 exec_lo, exec_lo, s29
	s_cbranch_execz .LBB6_10530
.LBB6_11513:                            ;   in Loop: Header=BB6_9580 Depth=2
	v_cmp_ne_u16_sdwa s40, v10, v15 src0_sel:BYTE_3 src1_sel:DWORD
	v_mov_b32_e32 v0, 0
	s_andn2_b32 s13, s13, exec_lo
	s_and_b32 s40, s40, exec_lo
	s_or_b32 s13, s13, s40
	s_or_b32 exec_lo, exec_lo, s29
	s_and_saveexec_b32 s29, s13
	s_cbranch_execnz .LBB6_10531
	s_branch .LBB6_10532
.LBB6_11514:                            ;   in Loop: Header=BB6_9580 Depth=2
	s_or_saveexec_b32 s13, s13
	v_mov_b32_e32 v0, 0x7f800001
	s_xor_b32 exec_lo, exec_lo, s13
	s_cbranch_execz .LBB6_10544
.LBB6_11515:                            ;   in Loop: Header=BB6_9580 Depth=2
	v_cmp_ne_u16_sdwa s40, v11, v15 src0_sel:BYTE_0 src1_sel:DWORD
	v_mov_b32_e32 v0, 0
	s_andn2_b32 s29, s29, exec_lo
	s_and_b32 s40, s40, exec_lo
	s_or_b32 s29, s29, s40
	s_or_b32 exec_lo, exec_lo, s13
	s_and_saveexec_b32 s13, s29
	s_cbranch_execnz .LBB6_10545
	s_branch .LBB6_10546
.LBB6_11516:                            ;   in Loop: Header=BB6_9580 Depth=2
	s_or_saveexec_b32 s29, s29
	v_mov_b32_e32 v0, 0x7f800001
	s_xor_b32 exec_lo, exec_lo, s29
	s_cbranch_execz .LBB6_10558
.LBB6_11517:                            ;   in Loop: Header=BB6_9580 Depth=2
	v_cmp_ne_u16_sdwa s40, v11, v15 src0_sel:BYTE_1 src1_sel:DWORD
	v_mov_b32_e32 v0, 0
	s_andn2_b32 s13, s13, exec_lo
	s_and_b32 s40, s40, exec_lo
	s_or_b32 s13, s13, s40
	s_or_b32 exec_lo, exec_lo, s29
	s_and_saveexec_b32 s29, s13
	s_cbranch_execnz .LBB6_10559
	s_branch .LBB6_10560
.LBB6_11518:                            ;   in Loop: Header=BB6_9580 Depth=2
	s_or_saveexec_b32 s13, s13
	v_mov_b32_e32 v0, 0x7f800001
	s_xor_b32 exec_lo, exec_lo, s13
	s_cbranch_execz .LBB6_10572
.LBB6_11519:                            ;   in Loop: Header=BB6_9580 Depth=2
	v_cmp_ne_u16_e32 vcc_lo, 0, v1
	v_mov_b32_e32 v0, 0
	s_andn2_b32 s29, s29, exec_lo
	s_and_b32 s40, vcc_lo, exec_lo
	s_or_b32 s29, s29, s40
	s_or_b32 exec_lo, exec_lo, s13
	s_and_saveexec_b32 s13, s29
	s_cbranch_execnz .LBB6_10573
	s_branch .LBB6_10574
.LBB6_11520:                            ;   in Loop: Header=BB6_9580 Depth=2
	s_or_saveexec_b32 s29, s29
	v_mov_b32_e32 v0, 0x7f800001
	s_xor_b32 exec_lo, exec_lo, s29
	s_cbranch_execz .LBB6_10586
.LBB6_11521:                            ;   in Loop: Header=BB6_9580 Depth=2
	v_cmp_ne_u16_sdwa s40, v11, v15 src0_sel:BYTE_3 src1_sel:DWORD
	v_mov_b32_e32 v0, 0
	s_andn2_b32 s13, s13, exec_lo
	s_and_b32 s40, s40, exec_lo
	s_or_b32 s13, s13, s40
	s_or_b32 exec_lo, exec_lo, s29
	s_and_saveexec_b32 s29, s13
	s_cbranch_execnz .LBB6_10587
	s_branch .LBB6_10588
.LBB6_11522:                            ;   in Loop: Header=BB6_9580 Depth=2
	s_or_saveexec_b32 s13, s13
	v_mov_b32_e32 v0, 0x7f800001
	s_xor_b32 exec_lo, exec_lo, s13
	s_cbranch_execz .LBB6_10600
.LBB6_11523:                            ;   in Loop: Header=BB6_9580 Depth=2
	v_cmp_ne_u16_sdwa s40, v12, v15 src0_sel:BYTE_0 src1_sel:DWORD
	v_mov_b32_e32 v0, 0
	s_andn2_b32 s29, s29, exec_lo
	s_and_b32 s40, s40, exec_lo
	s_or_b32 s29, s29, s40
	s_or_b32 exec_lo, exec_lo, s13
	s_and_saveexec_b32 s13, s29
	s_cbranch_execnz .LBB6_10601
	s_branch .LBB6_10602
.LBB6_11524:                            ;   in Loop: Header=BB6_9580 Depth=2
	s_or_saveexec_b32 s29, s29
	v_mov_b32_e32 v0, 0x7f800001
	s_xor_b32 exec_lo, exec_lo, s29
	s_cbranch_execz .LBB6_10614
.LBB6_11525:                            ;   in Loop: Header=BB6_9580 Depth=2
	v_cmp_ne_u16_sdwa s40, v12, v15 src0_sel:BYTE_1 src1_sel:DWORD
	v_mov_b32_e32 v0, 0
	s_andn2_b32 s13, s13, exec_lo
	s_and_b32 s40, s40, exec_lo
	s_or_b32 s13, s13, s40
	s_or_b32 exec_lo, exec_lo, s29
	s_and_saveexec_b32 s29, s13
	s_cbranch_execnz .LBB6_10615
	s_branch .LBB6_10616
.LBB6_11526:                            ;   in Loop: Header=BB6_9580 Depth=2
	s_or_saveexec_b32 s13, s13
	v_mov_b32_e32 v0, 0x7f800001
	s_xor_b32 exec_lo, exec_lo, s13
	s_cbranch_execz .LBB6_10628
.LBB6_11527:                            ;   in Loop: Header=BB6_9580 Depth=2
	v_cmp_ne_u16_e32 vcc_lo, 0, v1
	v_mov_b32_e32 v0, 0
	s_andn2_b32 s29, s29, exec_lo
	s_and_b32 s40, vcc_lo, exec_lo
	s_or_b32 s29, s29, s40
	s_or_b32 exec_lo, exec_lo, s13
	s_and_saveexec_b32 s13, s29
	s_cbranch_execnz .LBB6_10629
	s_branch .LBB6_10630
.LBB6_11528:                            ;   in Loop: Header=BB6_9580 Depth=2
	s_or_saveexec_b32 s29, s29
	v_mov_b32_e32 v0, 0x7f800001
	s_xor_b32 exec_lo, exec_lo, s29
	s_cbranch_execz .LBB6_10642
.LBB6_11529:                            ;   in Loop: Header=BB6_9580 Depth=2
	v_cmp_ne_u16_sdwa s40, v12, v15 src0_sel:BYTE_3 src1_sel:DWORD
	v_mov_b32_e32 v0, 0
	s_andn2_b32 s13, s13, exec_lo
	s_and_b32 s40, s40, exec_lo
	s_or_b32 s13, s13, s40
	s_or_b32 exec_lo, exec_lo, s29
	s_and_saveexec_b32 s29, s13
	s_cbranch_execnz .LBB6_10643
	s_branch .LBB6_10644
.LBB6_11530:                            ;   in Loop: Header=BB6_9580 Depth=2
	s_or_saveexec_b32 s13, s13
	v_mov_b32_e32 v0, 0x7f800001
	s_xor_b32 exec_lo, exec_lo, s13
	s_cbranch_execz .LBB6_10656
.LBB6_11531:                            ;   in Loop: Header=BB6_9580 Depth=2
	v_cmp_ne_u16_sdwa s40, v13, v15 src0_sel:BYTE_0 src1_sel:DWORD
	v_mov_b32_e32 v0, 0
	s_andn2_b32 s29, s29, exec_lo
	s_and_b32 s40, s40, exec_lo
	s_or_b32 s29, s29, s40
	s_or_b32 exec_lo, exec_lo, s13
	s_and_saveexec_b32 s13, s29
	s_cbranch_execnz .LBB6_10657
	s_branch .LBB6_10658
.LBB6_11532:                            ;   in Loop: Header=BB6_9580 Depth=2
	s_or_saveexec_b32 s29, s29
	v_mov_b32_e32 v1, 0x7f800001
	s_xor_b32 exec_lo, exec_lo, s29
	s_cbranch_execz .LBB6_10670
.LBB6_11533:                            ;   in Loop: Header=BB6_9580 Depth=2
	v_cmp_ne_u16_sdwa s40, v13, v15 src0_sel:BYTE_1 src1_sel:DWORD
	v_mov_b32_e32 v1, 0
	s_andn2_b32 s13, s13, exec_lo
	s_and_b32 s40, s40, exec_lo
	s_or_b32 s13, s13, s40
	s_or_b32 exec_lo, exec_lo, s29
	s_and_saveexec_b32 s29, s13
	s_cbranch_execnz .LBB6_10671
	s_branch .LBB6_10672
.LBB6_11534:                            ;   in Loop: Header=BB6_9580 Depth=2
	s_or_saveexec_b32 s13, s13
	v_mov_b32_e32 v4, 0x7f800001
	s_xor_b32 exec_lo, exec_lo, s13
	s_cbranch_execz .LBB6_10684
.LBB6_11535:                            ;   in Loop: Header=BB6_9580 Depth=2
	v_cmp_ne_u16_e32 vcc_lo, 0, v5
	v_mov_b32_e32 v4, 0
	s_andn2_b32 s29, s29, exec_lo
	s_and_b32 s40, vcc_lo, exec_lo
	s_or_b32 s29, s29, s40
	s_or_b32 exec_lo, exec_lo, s13
	s_and_saveexec_b32 s13, s29
	s_cbranch_execnz .LBB6_10685
	s_branch .LBB6_10686
.LBB6_11536:                            ;   in Loop: Header=BB6_9580 Depth=2
	s_or_saveexec_b32 s29, s29
	v_mov_b32_e32 v4, 0x7f800001
	s_xor_b32 exec_lo, exec_lo, s29
	s_cbranch_execz .LBB6_10698
.LBB6_11537:                            ;   in Loop: Header=BB6_9580 Depth=2
	v_cmp_ne_u16_sdwa s40, v13, v15 src0_sel:BYTE_3 src1_sel:DWORD
	v_mov_b32_e32 v4, 0
	s_andn2_b32 s13, s13, exec_lo
	s_and_b32 s40, s40, exec_lo
	s_or_b32 s13, s13, s40
	s_or_b32 exec_lo, exec_lo, s29
	s_and_saveexec_b32 s29, s13
	s_cbranch_execnz .LBB6_10699
	s_branch .LBB6_10700
.LBB6_11538:                            ;   in Loop: Header=BB6_9580 Depth=2
	s_or_saveexec_b32 s13, s13
	v_mov_b32_e32 v4, 0x7f800001
	s_xor_b32 exec_lo, exec_lo, s13
	s_cbranch_execz .LBB6_10712
.LBB6_11539:                            ;   in Loop: Header=BB6_9580 Depth=2
	v_cmp_ne_u16_sdwa s40, v10, v15 src0_sel:BYTE_0 src1_sel:DWORD
	v_mov_b32_e32 v4, 0
	s_andn2_b32 s29, s29, exec_lo
	s_and_b32 s40, s40, exec_lo
	s_or_b32 s29, s29, s40
	s_or_b32 exec_lo, exec_lo, s13
	s_and_saveexec_b32 s13, s29
	s_cbranch_execnz .LBB6_10713
	s_branch .LBB6_10714
.LBB6_11540:                            ;   in Loop: Header=BB6_9580 Depth=2
	s_or_saveexec_b32 s29, s29
	v_mov_b32_e32 v4, 0x7f800001
	s_xor_b32 exec_lo, exec_lo, s29
	s_cbranch_execz .LBB6_10726
.LBB6_11541:                            ;   in Loop: Header=BB6_9580 Depth=2
	v_cmp_ne_u16_sdwa s40, v10, v15 src0_sel:BYTE_1 src1_sel:DWORD
	v_mov_b32_e32 v4, 0
	s_andn2_b32 s13, s13, exec_lo
	s_and_b32 s40, s40, exec_lo
	s_or_b32 s13, s13, s40
	s_or_b32 exec_lo, exec_lo, s29
	s_and_saveexec_b32 s29, s13
	s_cbranch_execnz .LBB6_10727
	s_branch .LBB6_10728
.LBB6_11542:                            ;   in Loop: Header=BB6_9580 Depth=2
	s_or_saveexec_b32 s13, s13
	v_mov_b32_e32 v4, 0x7f800001
	s_xor_b32 exec_lo, exec_lo, s13
	s_cbranch_execz .LBB6_10740
.LBB6_11543:                            ;   in Loop: Header=BB6_9580 Depth=2
	v_cmp_ne_u16_e32 vcc_lo, 0, v5
	v_mov_b32_e32 v4, 0
	s_andn2_b32 s29, s29, exec_lo
	s_and_b32 s40, vcc_lo, exec_lo
	s_or_b32 s29, s29, s40
	s_or_b32 exec_lo, exec_lo, s13
	s_and_saveexec_b32 s13, s29
	s_cbranch_execnz .LBB6_10741
	s_branch .LBB6_10742
.LBB6_11544:                            ;   in Loop: Header=BB6_9580 Depth=2
	s_or_saveexec_b32 s29, s29
	v_mov_b32_e32 v4, 0x7f800001
	s_xor_b32 exec_lo, exec_lo, s29
	s_cbranch_execz .LBB6_10754
.LBB6_11545:                            ;   in Loop: Header=BB6_9580 Depth=2
	v_cmp_ne_u16_sdwa s40, v10, v15 src0_sel:BYTE_3 src1_sel:DWORD
	v_mov_b32_e32 v4, 0
	s_andn2_b32 s13, s13, exec_lo
	s_and_b32 s40, s40, exec_lo
	s_or_b32 s13, s13, s40
	s_or_b32 exec_lo, exec_lo, s29
	s_and_saveexec_b32 s29, s13
	s_cbranch_execnz .LBB6_10755
	s_branch .LBB6_10756
.LBB6_11546:                            ;   in Loop: Header=BB6_9580 Depth=2
	s_or_saveexec_b32 s13, s13
	v_mov_b32_e32 v4, 0x7f800001
	s_xor_b32 exec_lo, exec_lo, s13
	s_cbranch_execz .LBB6_10768
.LBB6_11547:                            ;   in Loop: Header=BB6_9580 Depth=2
	v_cmp_ne_u16_sdwa s40, v11, v15 src0_sel:BYTE_0 src1_sel:DWORD
	v_mov_b32_e32 v4, 0
	s_andn2_b32 s29, s29, exec_lo
	s_and_b32 s40, s40, exec_lo
	s_or_b32 s29, s29, s40
	s_or_b32 exec_lo, exec_lo, s13
	s_and_saveexec_b32 s13, s29
	s_cbranch_execnz .LBB6_10769
	s_branch .LBB6_10770
.LBB6_11548:                            ;   in Loop: Header=BB6_9580 Depth=2
	s_or_saveexec_b32 s29, s29
	v_mov_b32_e32 v4, 0x7f800001
	s_xor_b32 exec_lo, exec_lo, s29
	s_cbranch_execz .LBB6_10782
.LBB6_11549:                            ;   in Loop: Header=BB6_9580 Depth=2
	v_cmp_ne_u16_sdwa s40, v11, v15 src0_sel:BYTE_1 src1_sel:DWORD
	v_mov_b32_e32 v4, 0
	s_andn2_b32 s13, s13, exec_lo
	s_and_b32 s40, s40, exec_lo
	s_or_b32 s13, s13, s40
	s_or_b32 exec_lo, exec_lo, s29
	s_and_saveexec_b32 s29, s13
	s_cbranch_execnz .LBB6_10783
	s_branch .LBB6_10784
.LBB6_11550:                            ;   in Loop: Header=BB6_9580 Depth=2
	s_or_saveexec_b32 s13, s13
	v_mov_b32_e32 v4, 0x7f800001
	s_xor_b32 exec_lo, exec_lo, s13
	s_cbranch_execz .LBB6_10796
.LBB6_11551:                            ;   in Loop: Header=BB6_9580 Depth=2
	v_cmp_ne_u16_e32 vcc_lo, 0, v5
	v_mov_b32_e32 v4, 0
	s_andn2_b32 s29, s29, exec_lo
	s_and_b32 s40, vcc_lo, exec_lo
	s_or_b32 s29, s29, s40
	s_or_b32 exec_lo, exec_lo, s13
	s_and_saveexec_b32 s13, s29
	s_cbranch_execnz .LBB6_10797
	s_branch .LBB6_10798
.LBB6_11552:                            ;   in Loop: Header=BB6_9580 Depth=2
	s_or_saveexec_b32 s29, s29
	v_mov_b32_e32 v4, 0x7f800001
	s_xor_b32 exec_lo, exec_lo, s29
	s_cbranch_execz .LBB6_10810
.LBB6_11553:                            ;   in Loop: Header=BB6_9580 Depth=2
	v_cmp_ne_u16_sdwa s40, v11, v15 src0_sel:BYTE_3 src1_sel:DWORD
	v_mov_b32_e32 v4, 0
	s_andn2_b32 s13, s13, exec_lo
	s_and_b32 s40, s40, exec_lo
	s_or_b32 s13, s13, s40
	s_or_b32 exec_lo, exec_lo, s29
	s_and_saveexec_b32 s29, s13
	s_cbranch_execnz .LBB6_10811
	s_branch .LBB6_10812
.LBB6_11554:                            ;   in Loop: Header=BB6_9580 Depth=2
	s_or_saveexec_b32 s13, s13
	v_mov_b32_e32 v5, 0x7f800001
	s_xor_b32 exec_lo, exec_lo, s13
	s_cbranch_execz .LBB6_10824
.LBB6_11555:                            ;   in Loop: Header=BB6_9580 Depth=2
	v_cmp_ne_u16_sdwa s40, v12, v15 src0_sel:BYTE_0 src1_sel:DWORD
	v_mov_b32_e32 v5, 0
	s_andn2_b32 s29, s29, exec_lo
	s_and_b32 s40, s40, exec_lo
	s_or_b32 s29, s29, s40
	s_or_b32 exec_lo, exec_lo, s13
	s_and_saveexec_b32 s13, s29
	s_cbranch_execnz .LBB6_10825
	s_branch .LBB6_10826
.LBB6_11556:                            ;   in Loop: Header=BB6_9580 Depth=2
	s_or_saveexec_b32 s29, s29
	v_mov_b32_e32 v6, 0x7f800001
	s_xor_b32 exec_lo, exec_lo, s29
	s_cbranch_execz .LBB6_10838
.LBB6_11557:                            ;   in Loop: Header=BB6_9580 Depth=2
	v_cmp_ne_u16_sdwa s40, v12, v15 src0_sel:BYTE_1 src1_sel:DWORD
	v_mov_b32_e32 v6, 0
	s_andn2_b32 s13, s13, exec_lo
	s_and_b32 s40, s40, exec_lo
	s_or_b32 s13, s13, s40
	s_or_b32 exec_lo, exec_lo, s29
	s_and_saveexec_b32 s29, s13
	s_cbranch_execnz .LBB6_10839
	s_branch .LBB6_10840
.LBB6_11558:                            ;   in Loop: Header=BB6_9580 Depth=2
	s_or_saveexec_b32 s13, s13
	v_mov_b32_e32 v6, 0x7f800001
	s_xor_b32 exec_lo, exec_lo, s13
	s_cbranch_execz .LBB6_10852
.LBB6_11559:                            ;   in Loop: Header=BB6_9580 Depth=2
	v_cmp_ne_u16_e32 vcc_lo, 0, v7
	v_mov_b32_e32 v6, 0
	s_andn2_b32 s29, s29, exec_lo
	s_and_b32 s40, vcc_lo, exec_lo
	s_or_b32 s29, s29, s40
	s_or_b32 exec_lo, exec_lo, s13
	s_and_saveexec_b32 s13, s29
	s_cbranch_execnz .LBB6_10853
	s_branch .LBB6_10854
.LBB6_11560:                            ;   in Loop: Header=BB6_9580 Depth=2
	s_or_saveexec_b32 s29, s29
	v_mov_b32_e32 v6, 0x7f800001
	s_xor_b32 exec_lo, exec_lo, s29
	s_cbranch_execz .LBB6_10866
.LBB6_11561:                            ;   in Loop: Header=BB6_9580 Depth=2
	v_cmp_ne_u16_sdwa s40, v12, v15 src0_sel:BYTE_3 src1_sel:DWORD
	v_mov_b32_e32 v6, 0
	s_andn2_b32 s13, s13, exec_lo
	s_and_b32 s40, s40, exec_lo
	s_or_b32 s13, s13, s40
	s_or_b32 exec_lo, exec_lo, s29
	s_and_saveexec_b32 s29, s13
	s_cbranch_execnz .LBB6_10867
	s_branch .LBB6_10868
.LBB6_11562:                            ;   in Loop: Header=BB6_9580 Depth=2
	s_or_saveexec_b32 s13, s13
	v_mov_b32_e32 v6, 0x7f800001
	s_xor_b32 exec_lo, exec_lo, s13
	s_cbranch_execz .LBB6_10880
.LBB6_11563:                            ;   in Loop: Header=BB6_9580 Depth=2
	v_cmp_ne_u16_sdwa s40, v13, v15 src0_sel:BYTE_0 src1_sel:DWORD
	v_mov_b32_e32 v6, 0
	s_andn2_b32 s29, s29, exec_lo
	s_and_b32 s40, s40, exec_lo
	s_or_b32 s29, s29, s40
	s_or_b32 exec_lo, exec_lo, s13
	s_and_saveexec_b32 s13, s29
	s_cbranch_execnz .LBB6_10881
	s_branch .LBB6_10882
.LBB6_11564:                            ;   in Loop: Header=BB6_9580 Depth=2
	s_or_saveexec_b32 s29, s29
	v_mov_b32_e32 v6, 0x7f800001
	s_xor_b32 exec_lo, exec_lo, s29
	s_cbranch_execz .LBB6_10894
.LBB6_11565:                            ;   in Loop: Header=BB6_9580 Depth=2
	v_cmp_ne_u16_sdwa s40, v13, v15 src0_sel:BYTE_1 src1_sel:DWORD
	v_mov_b32_e32 v6, 0
	s_andn2_b32 s13, s13, exec_lo
	s_and_b32 s40, s40, exec_lo
	s_or_b32 s13, s13, s40
	s_or_b32 exec_lo, exec_lo, s29
	s_and_saveexec_b32 s29, s13
	s_cbranch_execnz .LBB6_10895
	s_branch .LBB6_10896
.LBB6_11566:                            ;   in Loop: Header=BB6_9580 Depth=2
	s_or_saveexec_b32 s13, s13
	v_mov_b32_e32 v6, 0x7f800001
	s_xor_b32 exec_lo, exec_lo, s13
	s_cbranch_execz .LBB6_10908
.LBB6_11567:                            ;   in Loop: Header=BB6_9580 Depth=2
	v_cmp_ne_u16_e32 vcc_lo, 0, v7
	v_mov_b32_e32 v6, 0
	s_andn2_b32 s29, s29, exec_lo
	s_and_b32 s40, vcc_lo, exec_lo
	s_or_b32 s29, s29, s40
	s_or_b32 exec_lo, exec_lo, s13
	s_and_saveexec_b32 s13, s29
	s_cbranch_execnz .LBB6_10909
	s_branch .LBB6_10910
.LBB6_11568:                            ;   in Loop: Header=BB6_9580 Depth=2
	s_or_saveexec_b32 s29, s29
	v_mov_b32_e32 v7, 0x7f800001
	s_xor_b32 exec_lo, exec_lo, s29
	s_cbranch_execz .LBB6_10922
.LBB6_11569:                            ;   in Loop: Header=BB6_9580 Depth=2
	v_cmp_ne_u16_sdwa s40, v13, v15 src0_sel:BYTE_3 src1_sel:DWORD
	v_mov_b32_e32 v7, 0
	s_andn2_b32 s13, s13, exec_lo
	s_and_b32 s40, s40, exec_lo
	s_or_b32 s13, s13, s40
	s_or_b32 exec_lo, exec_lo, s29
	s_and_saveexec_b32 s29, s13
	s_cbranch_execnz .LBB6_10923
	s_branch .LBB6_10924
.LBB6_11570:                            ;   in Loop: Header=BB6_9580 Depth=2
	s_or_saveexec_b32 s13, s13
	v_mov_b32_e32 v8, 0x7f800001
	s_xor_b32 exec_lo, exec_lo, s13
	s_cbranch_execz .LBB6_10936
.LBB6_11571:                            ;   in Loop: Header=BB6_9580 Depth=2
	v_cmp_ne_u16_sdwa s40, v10, v15 src0_sel:BYTE_0 src1_sel:DWORD
	v_mov_b32_e32 v8, 0
	s_andn2_b32 s29, s29, exec_lo
	s_and_b32 s40, s40, exec_lo
	s_or_b32 s29, s29, s40
	s_or_b32 exec_lo, exec_lo, s13
	s_and_saveexec_b32 s13, s29
	s_cbranch_execnz .LBB6_10937
	s_branch .LBB6_10938
.LBB6_11572:                            ;   in Loop: Header=BB6_9580 Depth=2
	s_or_saveexec_b32 s29, s29
	v_mov_b32_e32 v9, 0x7f800001
	s_xor_b32 exec_lo, exec_lo, s29
	s_cbranch_execz .LBB6_10950
.LBB6_11573:                            ;   in Loop: Header=BB6_9580 Depth=2
	v_cmp_ne_u16_sdwa s40, v10, v15 src0_sel:BYTE_1 src1_sel:DWORD
	v_mov_b32_e32 v9, 0
	s_andn2_b32 s13, s13, exec_lo
	s_and_b32 s40, s40, exec_lo
	s_or_b32 s13, s13, s40
	s_or_b32 exec_lo, exec_lo, s29
	s_and_saveexec_b32 s29, s13
	s_cbranch_execnz .LBB6_10951
	s_branch .LBB6_10952
.LBB6_11574:                            ;   in Loop: Header=BB6_9580 Depth=2
	s_or_saveexec_b32 s13, s13
	v_mov_b32_e32 v32, 0x7f800001
	s_xor_b32 exec_lo, exec_lo, s13
	s_cbranch_execz .LBB6_10964
.LBB6_11575:                            ;   in Loop: Header=BB6_9580 Depth=2
	v_cmp_ne_u16_e32 vcc_lo, 0, v33
	v_mov_b32_e32 v32, 0
	s_andn2_b32 s29, s29, exec_lo
	s_and_b32 s40, vcc_lo, exec_lo
	s_or_b32 s29, s29, s40
	s_or_b32 exec_lo, exec_lo, s13
	s_and_saveexec_b32 s13, s29
	s_cbranch_execnz .LBB6_10965
	s_branch .LBB6_10966
.LBB6_11576:                            ;   in Loop: Header=BB6_9580 Depth=2
	s_or_saveexec_b32 s29, s29
	v_mov_b32_e32 v33, 0x7f800001
	s_xor_b32 exec_lo, exec_lo, s29
	s_cbranch_execz .LBB6_10978
.LBB6_11577:                            ;   in Loop: Header=BB6_9580 Depth=2
	v_cmp_ne_u16_sdwa s40, v10, v15 src0_sel:BYTE_3 src1_sel:DWORD
	v_mov_b32_e32 v33, 0
	s_andn2_b32 s13, s13, exec_lo
	s_and_b32 s40, s40, exec_lo
	s_or_b32 s13, s13, s40
	s_or_b32 exec_lo, exec_lo, s29
	s_and_saveexec_b32 s29, s13
	s_cbranch_execnz .LBB6_10979
	s_branch .LBB6_10980
.LBB6_11578:                            ;   in Loop: Header=BB6_9580 Depth=2
	s_or_saveexec_b32 s13, s13
	v_mov_b32_e32 v10, 0x7f800001
	s_xor_b32 exec_lo, exec_lo, s13
	s_cbranch_execz .LBB6_10992
.LBB6_11579:                            ;   in Loop: Header=BB6_9580 Depth=2
	v_cmp_ne_u16_sdwa s40, v11, v15 src0_sel:BYTE_0 src1_sel:DWORD
	v_mov_b32_e32 v10, 0
	s_andn2_b32 s29, s29, exec_lo
	s_and_b32 s40, s40, exec_lo
	s_or_b32 s29, s29, s40
	s_or_b32 exec_lo, exec_lo, s13
	s_and_saveexec_b32 s13, s29
	s_cbranch_execnz .LBB6_10993
	s_branch .LBB6_10994
.LBB6_11580:                            ;   in Loop: Header=BB6_9580 Depth=2
	s_or_saveexec_b32 s29, s29
	v_mov_b32_e32 v10, 0x7f800001
	s_xor_b32 exec_lo, exec_lo, s29
	s_cbranch_execz .LBB6_11006
.LBB6_11581:                            ;   in Loop: Header=BB6_9580 Depth=2
	v_cmp_ne_u16_sdwa s40, v11, v15 src0_sel:BYTE_1 src1_sel:DWORD
	v_mov_b32_e32 v10, 0
	s_andn2_b32 s13, s13, exec_lo
	s_and_b32 s40, s40, exec_lo
	s_or_b32 s13, s13, s40
	s_or_b32 exec_lo, exec_lo, s29
	s_and_saveexec_b32 s29, s13
	s_cbranch_execnz .LBB6_11007
	s_branch .LBB6_11008
.LBB6_11582:                            ;   in Loop: Header=BB6_9580 Depth=2
	s_or_saveexec_b32 s13, s13
	v_mov_b32_e32 v10, 0x7f800001
	s_xor_b32 exec_lo, exec_lo, s13
	s_cbranch_execz .LBB6_11020
.LBB6_11583:                            ;   in Loop: Header=BB6_9580 Depth=2
	v_cmp_ne_u16_e32 vcc_lo, 0, v99
	v_mov_b32_e32 v10, 0
	s_andn2_b32 s29, s29, exec_lo
	s_and_b32 s40, vcc_lo, exec_lo
	s_or_b32 s29, s29, s40
	s_or_b32 exec_lo, exec_lo, s13
	s_and_saveexec_b32 s13, s29
	s_cbranch_execnz .LBB6_11021
	s_branch .LBB6_11022
.LBB6_11584:                            ;   in Loop: Header=BB6_9580 Depth=2
	s_or_saveexec_b32 s29, s29
	v_mov_b32_e32 v10, 0x7f800001
	s_xor_b32 exec_lo, exec_lo, s29
	s_cbranch_execz .LBB6_11034
.LBB6_11585:                            ;   in Loop: Header=BB6_9580 Depth=2
	v_cmp_ne_u16_sdwa s40, v11, v15 src0_sel:BYTE_3 src1_sel:DWORD
	v_mov_b32_e32 v10, 0
	s_andn2_b32 s13, s13, exec_lo
	s_and_b32 s40, s40, exec_lo
	s_or_b32 s13, s13, s40
	s_or_b32 exec_lo, exec_lo, s29
	s_and_saveexec_b32 s29, s13
	s_cbranch_execnz .LBB6_11035
	s_branch .LBB6_11036
.LBB6_11586:                            ;   in Loop: Header=BB6_9580 Depth=2
	s_or_saveexec_b32 s13, s13
	v_mov_b32_e32 v10, 0x7f800001
	s_xor_b32 exec_lo, exec_lo, s13
	s_cbranch_execz .LBB6_11048
.LBB6_11587:                            ;   in Loop: Header=BB6_9580 Depth=2
	v_cmp_ne_u16_sdwa s40, v12, v15 src0_sel:BYTE_0 src1_sel:DWORD
	v_mov_b32_e32 v10, 0
	s_andn2_b32 s29, s29, exec_lo
	s_and_b32 s40, s40, exec_lo
	s_or_b32 s29, s29, s40
	s_or_b32 exec_lo, exec_lo, s13
	s_and_saveexec_b32 s13, s29
	s_cbranch_execnz .LBB6_11049
	s_branch .LBB6_11050
.LBB6_11588:                            ;   in Loop: Header=BB6_9580 Depth=2
	s_or_saveexec_b32 s29, s29
	v_mov_b32_e32 v10, 0x7f800001
	s_xor_b32 exec_lo, exec_lo, s29
	s_cbranch_execz .LBB6_11062
.LBB6_11589:                            ;   in Loop: Header=BB6_9580 Depth=2
	v_cmp_ne_u16_sdwa s40, v12, v15 src0_sel:BYTE_1 src1_sel:DWORD
	v_mov_b32_e32 v10, 0
	s_andn2_b32 s13, s13, exec_lo
	s_and_b32 s40, s40, exec_lo
	s_or_b32 s13, s13, s40
	s_or_b32 exec_lo, exec_lo, s29
	s_and_saveexec_b32 s29, s13
	s_cbranch_execnz .LBB6_11063
	s_branch .LBB6_11064
.LBB6_11590:                            ;   in Loop: Header=BB6_9580 Depth=2
	s_or_saveexec_b32 s13, s13
	v_mov_b32_e32 v10, 0x7f800001
	s_xor_b32 exec_lo, exec_lo, s13
	s_cbranch_execz .LBB6_11076
.LBB6_11591:                            ;   in Loop: Header=BB6_9580 Depth=2
	v_cmp_ne_u16_e32 vcc_lo, 0, v11
	v_mov_b32_e32 v10, 0
	s_andn2_b32 s29, s29, exec_lo
	s_and_b32 s40, vcc_lo, exec_lo
	s_or_b32 s29, s29, s40
	s_or_b32 exec_lo, exec_lo, s13
	s_and_saveexec_b32 s13, s29
	s_cbranch_execnz .LBB6_11077
	s_branch .LBB6_11078
.LBB6_11592:                            ;   in Loop: Header=BB6_9580 Depth=2
	s_or_saveexec_b32 s29, s29
	v_mov_b32_e32 v10, 0x7f800001
	s_xor_b32 exec_lo, exec_lo, s29
	s_cbranch_execz .LBB6_11090
.LBB6_11593:                            ;   in Loop: Header=BB6_9580 Depth=2
	v_cmp_ne_u16_sdwa s40, v12, v15 src0_sel:BYTE_3 src1_sel:DWORD
	v_mov_b32_e32 v10, 0
	s_andn2_b32 s13, s13, exec_lo
	s_and_b32 s40, s40, exec_lo
	s_or_b32 s13, s13, s40
	s_or_b32 exec_lo, exec_lo, s29
	s_and_saveexec_b32 s29, s13
	s_cbranch_execnz .LBB6_11091
	s_branch .LBB6_11092
.LBB6_11594:                            ;   in Loop: Header=BB6_9580 Depth=2
	s_or_saveexec_b32 s13, s13
	v_mov_b32_e32 v10, 0x7f800001
	s_xor_b32 exec_lo, exec_lo, s13
	s_cbranch_execz .LBB6_11104
.LBB6_11595:                            ;   in Loop: Header=BB6_9580 Depth=2
	v_cmp_ne_u16_sdwa s40, v13, v15 src0_sel:BYTE_0 src1_sel:DWORD
	v_mov_b32_e32 v10, 0
	s_andn2_b32 s29, s29, exec_lo
	s_and_b32 s40, s40, exec_lo
	s_or_b32 s29, s29, s40
	s_or_b32 exec_lo, exec_lo, s13
	s_and_saveexec_b32 s13, s29
	s_cbranch_execnz .LBB6_11105
	s_branch .LBB6_11106
.LBB6_11596:                            ;   in Loop: Header=BB6_9580 Depth=2
	s_or_saveexec_b32 s29, s29
	v_mov_b32_e32 v10, 0x7f800001
	s_xor_b32 exec_lo, exec_lo, s29
	s_cbranch_execz .LBB6_11118
.LBB6_11597:                            ;   in Loop: Header=BB6_9580 Depth=2
	v_cmp_ne_u16_sdwa s40, v13, v15 src0_sel:BYTE_1 src1_sel:DWORD
	v_mov_b32_e32 v10, 0
	s_andn2_b32 s13, s13, exec_lo
	s_and_b32 s40, s40, exec_lo
	s_or_b32 s13, s13, s40
	s_or_b32 exec_lo, exec_lo, s29
	s_and_saveexec_b32 s29, s13
	s_cbranch_execnz .LBB6_11119
	s_branch .LBB6_11120
.LBB6_11598:                            ;   in Loop: Header=BB6_9580 Depth=2
	s_or_saveexec_b32 s13, s13
	v_mov_b32_e32 v10, 0x7f800001
	s_xor_b32 exec_lo, exec_lo, s13
	s_cbranch_execz .LBB6_11132
.LBB6_11599:                            ;   in Loop: Header=BB6_9580 Depth=2
	v_cmp_ne_u16_e32 vcc_lo, 0, v11
	v_mov_b32_e32 v10, 0
	s_andn2_b32 s29, s29, exec_lo
	s_and_b32 s40, vcc_lo, exec_lo
	s_or_b32 s29, s29, s40
	s_or_b32 exec_lo, exec_lo, s13
	s_and_saveexec_b32 s13, s29
	s_cbranch_execnz .LBB6_11133
	s_branch .LBB6_11134
.LBB6_11600:                            ;   in Loop: Header=BB6_9580 Depth=2
	s_or_saveexec_b32 s29, s29
	v_mov_b32_e32 v10, 0x7f800001
	s_xor_b32 exec_lo, exec_lo, s29
	s_cbranch_execz .LBB6_11146
.LBB6_11601:                            ;   in Loop: Header=BB6_9580 Depth=2
	v_cmp_ne_u16_sdwa s40, v13, v15 src0_sel:BYTE_3 src1_sel:DWORD
	v_mov_b32_e32 v10, 0
	s_andn2_b32 s13, s13, exec_lo
	s_and_b32 s40, s40, exec_lo
	s_or_b32 s13, s13, s40
	s_or_b32 exec_lo, exec_lo, s29
	s_and_saveexec_b32 s29, s13
	s_cbranch_execnz .LBB6_11147
	s_branch .LBB6_11148
.LBB6_11602:                            ;   in Loop: Header=BB6_9580 Depth=2
	s_or_saveexec_b32 s13, s13
	v_mov_b32_e32 v54, 0x7f800001
	s_xor_b32 exec_lo, exec_lo, s13
	s_cbranch_execz .LBB6_11160
.LBB6_11603:                            ;   in Loop: Header=BB6_9580 Depth=2
	v_cmp_ne_u16_sdwa s40, v10, v15 src0_sel:BYTE_0 src1_sel:DWORD
	v_mov_b32_e32 v54, 0
	s_andn2_b32 s29, s29, exec_lo
	s_and_b32 s40, s40, exec_lo
	s_or_b32 s29, s29, s40
	s_or_b32 exec_lo, exec_lo, s13
	s_and_saveexec_b32 s13, s29
	s_cbranch_execnz .LBB6_11161
	s_branch .LBB6_11162
.LBB6_11604:                            ;   in Loop: Header=BB6_9580 Depth=2
	s_or_saveexec_b32 s29, s29
	v_mov_b32_e32 v55, 0x7f800001
	s_xor_b32 exec_lo, exec_lo, s29
	s_cbranch_execz .LBB6_11174
.LBB6_11605:                            ;   in Loop: Header=BB6_9580 Depth=2
	v_cmp_ne_u16_sdwa s40, v10, v15 src0_sel:BYTE_1 src1_sel:DWORD
	v_mov_b32_e32 v55, 0
	s_andn2_b32 s13, s13, exec_lo
	s_and_b32 s40, s40, exec_lo
	s_or_b32 s13, s13, s40
	s_or_b32 exec_lo, exec_lo, s29
	s_and_saveexec_b32 s29, s13
	s_cbranch_execnz .LBB6_11175
	s_branch .LBB6_11176
.LBB6_11606:                            ;   in Loop: Header=BB6_9580 Depth=2
	s_or_saveexec_b32 s13, s13
	v_mov_b32_e32 v117, 0x7f800001
	s_xor_b32 exec_lo, exec_lo, s13
	s_cbranch_execz .LBB6_11188
.LBB6_11607:                            ;   in Loop: Header=BB6_9580 Depth=2
	v_cmp_ne_u16_e32 vcc_lo, 0, v118
	v_mov_b32_e32 v117, 0
	s_andn2_b32 s29, s29, exec_lo
	s_and_b32 s40, vcc_lo, exec_lo
	s_or_b32 s29, s29, s40
	s_or_b32 exec_lo, exec_lo, s13
	s_and_saveexec_b32 s13, s29
	s_cbranch_execnz .LBB6_11189
	s_branch .LBB6_11190
.LBB6_11608:                            ;   in Loop: Header=BB6_9580 Depth=2
	s_or_saveexec_b32 s29, s29
	v_mov_b32_e32 v118, 0x7f800001
	s_xor_b32 exec_lo, exec_lo, s29
	s_cbranch_execz .LBB6_11202
.LBB6_11609:                            ;   in Loop: Header=BB6_9580 Depth=2
	v_cmp_ne_u16_sdwa s40, v10, v15 src0_sel:BYTE_3 src1_sel:DWORD
	v_mov_b32_e32 v118, 0
	s_andn2_b32 s13, s13, exec_lo
	s_and_b32 s40, s40, exec_lo
	s_or_b32 s13, s13, s40
	s_or_b32 exec_lo, exec_lo, s29
	s_and_saveexec_b32 s29, s13
	s_cbranch_execnz .LBB6_11203
	s_branch .LBB6_11204
.LBB6_11610:                            ;   in Loop: Header=BB6_9580 Depth=2
	s_or_saveexec_b32 s13, s13
	v_mov_b32_e32 v118, 0x7f800001
	s_xor_b32 exec_lo, exec_lo, s13
	s_cbranch_execz .LBB6_11216
.LBB6_11611:                            ;   in Loop: Header=BB6_9580 Depth=2
	v_cmp_ne_u16_sdwa s40, v11, v15 src0_sel:BYTE_0 src1_sel:DWORD
	v_mov_b32_e32 v118, 0
	s_andn2_b32 s29, s29, exec_lo
	s_and_b32 s40, s40, exec_lo
	s_or_b32 s29, s29, s40
	s_or_b32 exec_lo, exec_lo, s13
	s_and_saveexec_b32 s13, s29
	s_cbranch_execnz .LBB6_11217
	s_branch .LBB6_11218
.LBB6_11612:                            ;   in Loop: Header=BB6_9580 Depth=2
	s_or_saveexec_b32 s29, s29
	v_mov_b32_e32 v119, 0x7f800001
	s_xor_b32 exec_lo, exec_lo, s29
	s_cbranch_execz .LBB6_11230
.LBB6_11613:                            ;   in Loop: Header=BB6_9580 Depth=2
	v_cmp_ne_u16_sdwa s40, v11, v15 src0_sel:BYTE_1 src1_sel:DWORD
	v_mov_b32_e32 v119, 0
	s_andn2_b32 s13, s13, exec_lo
	s_and_b32 s40, s40, exec_lo
	s_or_b32 s13, s13, s40
	s_or_b32 exec_lo, exec_lo, s29
	s_and_saveexec_b32 s29, s13
	s_cbranch_execnz .LBB6_11231
	s_branch .LBB6_11232
.LBB6_11614:                            ;   in Loop: Header=BB6_9580 Depth=2
	s_or_saveexec_b32 s13, s13
	v_mov_b32_e32 v40, 0x7f800001
	s_xor_b32 exec_lo, exec_lo, s13
	s_cbranch_execz .LBB6_11244
.LBB6_11615:                            ;   in Loop: Header=BB6_9580 Depth=2
	v_cmp_ne_u16_e32 vcc_lo, 0, v41
	v_mov_b32_e32 v40, 0
	s_andn2_b32 s29, s29, exec_lo
	s_and_b32 s40, vcc_lo, exec_lo
	s_or_b32 s29, s29, s40
	s_or_b32 exec_lo, exec_lo, s13
	s_and_saveexec_b32 s13, s29
	s_cbranch_execnz .LBB6_11245
	s_branch .LBB6_11246
.LBB6_11616:                            ;   in Loop: Header=BB6_9580 Depth=2
	s_or_saveexec_b32 s29, s29
	v_mov_b32_e32 v41, 0x7f800001
	s_xor_b32 exec_lo, exec_lo, s29
	s_cbranch_execz .LBB6_11258
.LBB6_11617:                            ;   in Loop: Header=BB6_9580 Depth=2
	v_cmp_ne_u16_sdwa s40, v11, v15 src0_sel:BYTE_3 src1_sel:DWORD
	v_mov_b32_e32 v41, 0
	s_andn2_b32 s13, s13, exec_lo
	s_and_b32 s40, s40, exec_lo
	s_or_b32 s13, s13, s40
	s_or_b32 exec_lo, exec_lo, s29
	s_and_saveexec_b32 s29, s13
	s_cbranch_execnz .LBB6_11259
	s_branch .LBB6_11260
.LBB6_11618:                            ;   in Loop: Header=BB6_9580 Depth=2
	s_or_saveexec_b32 s13, s13
	v_mov_b32_e32 v41, 0x7f800001
	s_xor_b32 exec_lo, exec_lo, s13
	s_cbranch_execz .LBB6_11272
.LBB6_11619:                            ;   in Loop: Header=BB6_9580 Depth=2
	v_cmp_ne_u16_sdwa s40, v12, v15 src0_sel:BYTE_0 src1_sel:DWORD
	v_mov_b32_e32 v41, 0
	s_andn2_b32 s29, s29, exec_lo
	s_and_b32 s40, s40, exec_lo
	s_or_b32 s29, s29, s40
	s_or_b32 exec_lo, exec_lo, s13
	s_and_saveexec_b32 s13, s29
	s_cbranch_execnz .LBB6_11273
	s_branch .LBB6_11274
.LBB6_11620:                            ;   in Loop: Header=BB6_9580 Depth=2
	s_or_saveexec_b32 s29, s29
	v_mov_b32_e32 v42, 0x7f800001
	s_xor_b32 exec_lo, exec_lo, s29
	s_cbranch_execz .LBB6_11286
.LBB6_11621:                            ;   in Loop: Header=BB6_9580 Depth=2
	v_cmp_ne_u16_sdwa s40, v12, v15 src0_sel:BYTE_1 src1_sel:DWORD
	v_mov_b32_e32 v42, 0
	s_andn2_b32 s13, s13, exec_lo
	s_and_b32 s40, s40, exec_lo
	s_or_b32 s13, s13, s40
	s_or_b32 exec_lo, exec_lo, s29
	s_and_saveexec_b32 s29, s13
	s_cbranch_execnz .LBB6_11287
	s_branch .LBB6_11288
.LBB6_11622:                            ;   in Loop: Header=BB6_9580 Depth=2
	s_or_saveexec_b32 s13, s13
	v_mov_b32_e32 v43, 0x7f800001
	s_xor_b32 exec_lo, exec_lo, s13
	s_cbranch_execz .LBB6_11300
.LBB6_11623:                            ;   in Loop: Header=BB6_9580 Depth=2
	v_cmp_ne_u16_e32 vcc_lo, 0, v44
	v_mov_b32_e32 v43, 0
	s_andn2_b32 s29, s29, exec_lo
	s_and_b32 s40, vcc_lo, exec_lo
	s_or_b32 s29, s29, s40
	s_or_b32 exec_lo, exec_lo, s13
	s_and_saveexec_b32 s13, s29
	s_cbranch_execnz .LBB6_11301
	s_branch .LBB6_11302
.LBB6_11624:                            ;   in Loop: Header=BB6_9580 Depth=2
	s_or_saveexec_b32 s29, s29
	v_mov_b32_e32 v44, 0x7f800001
	s_xor_b32 exec_lo, exec_lo, s29
	s_cbranch_execz .LBB6_11314
.LBB6_11625:                            ;   in Loop: Header=BB6_9580 Depth=2
	v_cmp_ne_u16_sdwa s40, v12, v15 src0_sel:BYTE_3 src1_sel:DWORD
	v_mov_b32_e32 v44, 0
	s_andn2_b32 s13, s13, exec_lo
	s_and_b32 s40, s40, exec_lo
	s_or_b32 s13, s13, s40
	s_or_b32 exec_lo, exec_lo, s29
	s_and_saveexec_b32 s29, s13
	s_cbranch_execnz .LBB6_11315
	s_branch .LBB6_11316
.LBB6_11626:                            ;   in Loop: Header=BB6_9580 Depth=2
	s_or_saveexec_b32 s13, s13
	v_mov_b32_e32 v44, 0x7f800001
	s_xor_b32 exec_lo, exec_lo, s13
	s_cbranch_execz .LBB6_11328
.LBB6_11627:                            ;   in Loop: Header=BB6_9580 Depth=2
	v_cmp_ne_u16_sdwa s40, v13, v15 src0_sel:BYTE_0 src1_sel:DWORD
	v_mov_b32_e32 v44, 0
	s_andn2_b32 s29, s29, exec_lo
	s_and_b32 s40, s40, exec_lo
	s_or_b32 s29, s29, s40
	s_or_b32 exec_lo, exec_lo, s13
	s_and_saveexec_b32 s13, s29
	s_cbranch_execnz .LBB6_11329
	s_branch .LBB6_11330
.LBB6_11628:                            ;   in Loop: Header=BB6_9580 Depth=2
	s_or_saveexec_b32 s29, s29
	v_mov_b32_e32 v45, 0x7f800001
	s_xor_b32 exec_lo, exec_lo, s29
	s_cbranch_execz .LBB6_11342
.LBB6_11629:                            ;   in Loop: Header=BB6_9580 Depth=2
	v_cmp_ne_u16_sdwa s40, v13, v15 src0_sel:BYTE_1 src1_sel:DWORD
	v_mov_b32_e32 v45, 0
	s_andn2_b32 s13, s13, exec_lo
	s_and_b32 s40, s40, exec_lo
	s_or_b32 s13, s13, s40
	s_or_b32 exec_lo, exec_lo, s29
	s_and_saveexec_b32 s29, s13
	s_cbranch_execnz .LBB6_11343
	s_branch .LBB6_11344
.LBB6_11630:                            ;   in Loop: Header=BB6_9580 Depth=2
	s_or_saveexec_b32 s13, s13
	v_mov_b32_e32 v46, 0x7f800001
	s_xor_b32 exec_lo, exec_lo, s13
	s_cbranch_execz .LBB6_11356
.LBB6_11631:                            ;   in Loop: Header=BB6_9580 Depth=2
	v_cmp_ne_u16_e32 vcc_lo, 0, v47
	v_mov_b32_e32 v46, 0
	s_andn2_b32 s29, s29, exec_lo
	s_and_b32 s40, vcc_lo, exec_lo
	s_or_b32 s29, s29, s40
	s_or_b32 exec_lo, exec_lo, s13
	s_and_saveexec_b32 s13, s29
	s_cbranch_execnz .LBB6_11357
	s_branch .LBB6_11358
.LBB6_11632:                            ;   in Loop: Header=BB6_9580 Depth=2
	s_or_saveexec_b32 s29, s29
	v_mov_b32_e32 v47, 0x7f800001
	s_xor_b32 exec_lo, exec_lo, s29
	s_cbranch_execz .LBB6_11370
.LBB6_11633:                            ;   in Loop: Header=BB6_9580 Depth=2
	v_cmp_ne_u16_sdwa s40, v13, v15 src0_sel:BYTE_3 src1_sel:DWORD
	v_mov_b32_e32 v47, 0
	s_andn2_b32 s13, s13, exec_lo
	s_and_b32 s40, s40, exec_lo
	s_or_b32 s13, s13, s40
	s_or_b32 exec_lo, exec_lo, s29
	s_and_saveexec_b32 s29, s13
	s_cbranch_execnz .LBB6_11371
	s_branch .LBB6_11372
.LBB6_11634:                            ;   in Loop: Header=BB6_9503 Depth=1
	s_or_b32 exec_lo, exec_lo, s24
.LBB6_11635:                            ;   in Loop: Header=BB6_9503 Depth=1
	s_or_b32 exec_lo, exec_lo, s14
	buffer_load_dword v0, off, s[0:3], s33 offset:392 ; 4-byte Folded Reload
	s_mov_b32 s13, 0
                                        ; implicit-def: $vgpr1
                                        ; implicit-def: $vgpr2
	s_waitcnt vmcnt(0)
	v_and_b32_e32 v4, 0x3ffff000, v0
	v_cmp_ne_u32_e32 vcc_lo, v0, v4
	v_mov_b32_e32 v0, 0
	s_and_saveexec_b32 s24, vcc_lo
	s_cbranch_execz .LBB6_11905
; %bb.11636:                            ;   in Loop: Header=BB6_9503 Depth=1
	s_clause 0x1
	buffer_load_dword v1, off, s[0:3], s33 offset:436
	buffer_load_dword v5, off, s[0:3], s33 offset:392
	v_lshlrev_b32_e32 v0, 5, v96
	s_mov_b32 s25, exec_lo
	s_waitcnt vmcnt(1)
	v_sub_nc_u32_e32 v0, v1, v0
	s_waitcnt vmcnt(0)
	v_bfe_u32 v7, v5, 9, 3
	v_and_b32_e32 v6, 0xfff, v5
	v_ashrrev_i32_e32 v1, 31, v0
	v_lshrrev_b32_e32 v1, 27, v1
	v_add_nc_u32_e32 v1, v0, v1
	v_and_b32_e32 v2, 0xffffffe0, v1
	v_ashrrev_i32_e32 v3, 5, v1
	v_sub_nc_u32_e32 v2, v0, v2
	v_and_b32_e32 v0, 0x1ff, v5
	v_lshlrev_b32_e32 v1, 4, v2
	v_cmp_lt_u32_e64 s13, 15, v0
	v_lshl_add_u32 v5, v3, 9, v1
	v_add_co_ci_u32_e64 v7, null, 0, v7, s13
	v_sub_nc_u32_e32 v1, v6, v5
	v_sub_nc_u32_e32 v3, v7, v3
	v_cmpx_lt_i32_e32 15, v1
	s_cbranch_execz .LBB6_11904
; %bb.11637:                            ;   in Loop: Header=BB6_9503 Depth=1
	s_trap 2
	buffer_load_dword v48, off, s[0:3], s33 offset:448 ; 4-byte Folded Reload
	ds_read_b64 v[6:7], v0
	v_add_nc_u32_e32 v4, v5, v4
	v_ashrrev_i32_e32 v5, 31, v4
	s_waitcnt lgkmcnt(0)
	v_readfirstlane_b32 s14, v6
	s_and_b32 s26, s14, 7
	s_bfe_u32 s29, s14, 0x40003
	s_flbit_i32_b32 s27, s26
	s_min_u32 s27, s27, 32
	s_sub_i32 s28, s27, 28
	s_sub_i32 s27, 29, s27
	s_lshl_b32 s28, s14, s28
	s_and_b32 s28, s28, 7
	s_cmp_eq_u32 s29, 0
	s_cselect_b32 s27, s27, s29
	s_cselect_b32 s26, s28, s26
	s_lshl_b32 s28, s14, 24
	s_lshl_b32 s27, s27, 23
	s_and_b32 s28, s28, 0x80000000
	s_add_i32 s27, s27, 0x3b800000
	s_lshl_b32 s29, s26, 20
	s_or_b32 s27, s28, s27
	s_mov_b32 s26, 0
	s_or_b32 s27, s27, s29
	s_and_b32 s28, s14, 0xff
	s_branch .LBB6_11641
.LBB6_11638:                            ;   in Loop: Header=BB6_11641 Depth=2
	s_or_b32 exec_lo, exec_lo, s14
	v_lshrrev_b32_e32 v32, 20, v32
	v_min_i32_e32 v33, 15, v31
	v_cmp_gt_i32_e32 vcc_lo, 16, v31
	v_and_b32_sdwa v13, v13, v81 dst_sel:DWORD dst_unused:UNUSED_PAD src0_sel:BYTE_3 src1_sel:DWORD
	v_lshlrev_b32_e32 v33, 3, v33
	v_cndmask_b32_e32 v32, 7, v32, vcc_lo
	v_and_b32_e32 v33, 0xf8, v33
	v_and_b32_e32 v34, 7, v32
	v_or_b32_e32 v31, v31, v32
	v_or3_b32 v13, v13, v33, v34
	v_cmp_ne_u32_e32 vcc_lo, 0, v31
	v_lshlrev_b32_e32 v13, 8, v13
	v_cndmask_b32_e32 v31, 0, v13, vcc_lo
.LBB6_11639:                            ;   in Loop: Header=BB6_11641 Depth=2
	s_or_b32 exec_lo, exec_lo, s40
.LBB6_11640:                            ;   in Loop: Header=BB6_11641 Depth=2
	s_or_b32 exec_lo, exec_lo, s29
	v_sub_nc_u32_e32 v1, v1, v48
	v_or_b32_sdwa v11, v11, v24 dst_sel:WORD_1 dst_unused:UNUSED_PAD src0_sel:DWORD src1_sel:DWORD
	v_or_b32_sdwa v9, v9, v8 dst_sel:WORD_1 dst_unused:UNUSED_PAD src0_sel:DWORD src1_sel:DWORD
	;; [unrolled: 1-line block ×4, first 2 shown]
	v_add_co_u32 v32, vcc_lo, v21, v4
	v_add_co_ci_u32_e64 v33, null, v22, v5, vcc_lo
	v_cmp_gt_i32_e32 vcc_lo, 16, v1
	v_add_co_u32 v4, s14, v4, v48
	v_or3_b32 v8, v23, v10, v11
	v_or3_b32 v7, v7, v6, v9
	;; [unrolled: 1-line block ×4, first 2 shown]
	v_sub_nc_u32_e32 v3, v3, v59
	v_add_co_ci_u32_e64 v5, null, 0, v5, s14
	s_or_b32 s26, vcc_lo, s26
	global_store_dwordx4 v[32:33], v[7:10], off glc slc
	s_andn2_b32 exec_lo, exec_lo, s26
	s_cbranch_execz .LBB6_11903
.LBB6_11641:                            ;   Parent Loop BB6_9503 Depth=1
                                        ; =>  This Inner Loop Header: Depth=2
	s_cmpk_lt_i32 s28, 0x80
	s_cbranch_scc1 .LBB6_11645
; %bb.11642:                            ;   in Loop: Header=BB6_11641 Depth=2
	s_and_b32 s14, 0xffff, s28
	s_cmpk_eq_i32 s14, 0x80
	s_mov_b32 s14, -1
	s_cbranch_scc0 .LBB6_11644
; %bb.11643:                            ;   in Loop: Header=BB6_11641 Depth=2
	s_mov_b32 s14, 0
.LBB6_11644:                            ;   in Loop: Header=BB6_11641 Depth=2
	s_mov_b32 s29, 0x7f800001
	s_branch .LBB6_11647
.LBB6_11645:                            ;   in Loop: Header=BB6_11641 Depth=2
	s_mov_b32 s14, 0
	s_mov_b32 s29, 0x7f800001
	s_cbranch_execz .LBB6_11647
; %bb.11646:                            ;   in Loop: Header=BB6_11641 Depth=2
	s_and_b32 s14, 0xffff, s28
	s_mov_b32 s29, 0
	s_cmp_lg_u32 s14, 0
	s_cselect_b32 s14, -1, 0
.LBB6_11647:                            ;   in Loop: Header=BB6_11641 Depth=2
	s_andn2_b32 vcc_lo, exec_lo, s14
	s_cbranch_vccnz .LBB6_11649
; %bb.11648:                            ;   in Loop: Header=BB6_11641 Depth=2
	s_mov_b32 s29, s27
.LBB6_11649:                            ;   in Loop: Header=BB6_11641 Depth=2
	v_add_co_u32 v6, vcc_lo, v19, v4
	v_add_co_ci_u32_e64 v7, null, v20, v5, vcc_lo
	s_mov_b32 s14, 0
	global_load_dwordx4 v[10:13], v[6:7], off slc
	s_waitcnt vmcnt(0)
	v_cmp_gt_i16_sdwa s40, v10, v80 src0_sel:BYTE_0 src1_sel:DWORD
	s_and_saveexec_b32 s41, s40
	s_xor_b32 s40, exec_lo, s41
	s_cbranch_execz .LBB6_11871
; %bb.11650:                            ;   in Loop: Header=BB6_11641 Depth=2
	v_cmp_eq_u16_sdwa s42, v10, v81 src0_sel:BYTE_0 src1_sel:DWORD
	s_mov_b32 s14, -1
	s_and_saveexec_b32 s41, s42
; %bb.11651:                            ;   in Loop: Header=BB6_11641 Depth=2
	s_xor_b32 s14, exec_lo, -1
; %bb.11652:                            ;   in Loop: Header=BB6_11641 Depth=2
	s_or_b32 exec_lo, exec_lo, s41
	s_and_b32 s14, s14, exec_lo
	s_or_saveexec_b32 s40, s40
	v_mov_b32_e32 v6, 0x7f800001
	s_xor_b32 exec_lo, exec_lo, s40
	s_cbranch_execnz .LBB6_11872
.LBB6_11653:                            ;   in Loop: Header=BB6_11641 Depth=2
	s_or_b32 exec_lo, exec_lo, s40
	s_and_saveexec_b32 s40, s14
	s_cbranch_execz .LBB6_11655
.LBB6_11654:                            ;   in Loop: Header=BB6_11641 Depth=2
	v_and_b32_e32 v6, 7, v10
	v_bfe_u32 v9, v10, 3, 4
	v_lshlrev_b32_e32 v23, 24, v10
	v_ffbh_u32_e32 v7, v6
	v_cmp_eq_u32_e32 vcc_lo, 0, v9
	v_min_u32_e32 v7, 32, v7
	v_subrev_nc_u32_e32 v8, 28, v7
	v_sub_nc_u32_e32 v7, 29, v7
	v_lshlrev_b32_e32 v8, v8, v10
	v_cndmask_b32_e32 v7, v9, v7, vcc_lo
	v_and_b32_e32 v8, 7, v8
	v_lshl_add_u32 v7, v7, 23, 0x3b800000
	v_cndmask_b32_e32 v6, v6, v8, vcc_lo
	v_and_b32_e32 v8, 0x80000000, v23
	v_lshlrev_b32_e32 v6, 20, v6
	v_or3_b32 v6, v8, v7, v6
.LBB6_11655:                            ;   in Loop: Header=BB6_11641 Depth=2
	s_or_b32 exec_lo, exec_lo, s40
	v_mul_f32_e32 v7, s29, v6
	v_and_b32_e32 v6, 0x7f800000, v7
	v_cmp_ne_u32_e32 vcc_lo, 0x7f800000, v6
	v_mov_b32_e32 v6, 0x80
	s_and_saveexec_b32 s40, vcc_lo
	s_cbranch_execz .LBB6_11663
; %bb.11656:                            ;   in Loop: Header=BB6_11641 Depth=2
	v_mov_b32_e32 v6, 0
	s_mov_b32 s41, exec_lo
	v_cmpx_ne_u32_e32 0, v7
	s_cbranch_execz .LBB6_11662
; %bb.11657:                            ;   in Loop: Header=BB6_11641 Depth=2
	v_bfe_u32 v6, v7, 23, 8
	v_and_b32_e32 v8, 0x7fffff, v7
	v_sub_nc_u32_e32 v9, 0x78, v6
	v_cmp_gt_u32_e32 vcc_lo, 0x79, v6
	v_or_b32_e32 v23, 0x800000, v8
	v_cndmask_b32_e32 v9, 0, v9, vcc_lo
	v_cmp_eq_u32_e32 vcc_lo, 0, v6
	v_add_nc_u32_e32 v6, 0xffffff89, v6
	v_cndmask_b32_e64 v9, v9, 0x77, vcc_lo
	v_cndmask_b32_e32 v8, v23, v8, vcc_lo
	v_cndmask_b32_e64 v6, v6, 0xffffff8a, vcc_lo
	v_lshl_add_u32 v23, 0x100000, v9, -1
	v_lshrrev_b32_e32 v24, v9, v8
	v_lshlrev_b32_e64 v26, v9, 0x80000
	v_add_nc_u32_e32 v9, v9, v6
	v_and_b32_e32 v8, v23, v8
	v_bfe_u32 v25, v24, 20, 1
	v_cmp_eq_u32_e64 s14, v8, v26
	v_add_nc_u32_e32 v23, -1, v25
	v_cndmask_b32_e64 v8, 0, v23, s14
	v_lshrrev_b32_e32 v23, 23, v24
	s_mov_b32 s14, exec_lo
	v_add_nc_u32_e32 v8, v8, v24
	v_xor_b32_e32 v23, 1, v23
	v_and_b32_e32 v6, 0xfffff, v8
	v_add_nc_u32_e32 v8, v6, v24
                                        ; implicit-def: $vgpr6
	v_cmpx_ne_u32_e64 v9, v23
	s_xor_b32 s14, exec_lo, s14
; %bb.11658:                            ;   in Loop: Header=BB6_11641 Depth=2
	v_cmp_lt_u32_e32 vcc_lo, 0xffffff, v8
	v_sub_nc_u32_e32 v6, v9, v23
	v_cndmask_b32_e64 v9, 0, 1, vcc_lo
	v_add_co_ci_u32_e64 v6, null, 0, v6, vcc_lo
	v_lshrrev_b32_e32 v8, v9, v8
; %bb.11659:                            ;   in Loop: Header=BB6_11641 Depth=2
	s_andn2_saveexec_b32 s14, s14
; %bb.11660:                            ;   in Loop: Header=BB6_11641 Depth=2
	v_bfe_u32 v6, v8, 23, 1
; %bb.11661:                            ;   in Loop: Header=BB6_11641 Depth=2
	s_or_b32 exec_lo, exec_lo, s14
	v_lshrrev_b32_e32 v8, 20, v8
	v_min_i32_e32 v9, 15, v6
	v_cmp_gt_i32_e32 vcc_lo, 16, v6
	v_and_b32_sdwa v7, v7, v81 dst_sel:DWORD dst_unused:UNUSED_PAD src0_sel:BYTE_3 src1_sel:DWORD
	v_lshlrev_b32_e32 v9, 3, v9
	v_cndmask_b32_e32 v8, 7, v8, vcc_lo
	v_and_b32_e32 v9, 0xf8, v9
	v_and_b32_e32 v23, 7, v8
	v_or_b32_e32 v6, v6, v8
	v_or3_b32 v7, v9, v7, v23
	v_cmp_ne_u32_e32 vcc_lo, 0, v6
	v_cndmask_b32_e32 v6, 0, v7, vcc_lo
.LBB6_11662:                            ;   in Loop: Header=BB6_11641 Depth=2
	s_or_b32 exec_lo, exec_lo, s41
.LBB6_11663:                            ;   in Loop: Header=BB6_11641 Depth=2
	s_or_b32 exec_lo, exec_lo, s40
	v_cmp_gt_i16_sdwa s40, v10, v80 src0_sel:BYTE_1 src1_sel:DWORD
	s_mov_b32 s14, 0
	s_and_saveexec_b32 s41, s40
	s_xor_b32 s40, exec_lo, s41
	s_cbranch_execz .LBB6_11873
; %bb.11664:                            ;   in Loop: Header=BB6_11641 Depth=2
	v_cmp_eq_u16_sdwa s42, v10, v81 src0_sel:BYTE_1 src1_sel:DWORD
	s_mov_b32 s14, -1
	s_and_saveexec_b32 s41, s42
; %bb.11665:                            ;   in Loop: Header=BB6_11641 Depth=2
	s_xor_b32 s14, exec_lo, -1
; %bb.11666:                            ;   in Loop: Header=BB6_11641 Depth=2
	s_or_b32 exec_lo, exec_lo, s41
	s_and_b32 s14, s14, exec_lo
	s_or_saveexec_b32 s40, s40
	v_mov_b32_e32 v7, 0x7f800001
	s_xor_b32 exec_lo, exec_lo, s40
	s_cbranch_execnz .LBB6_11874
.LBB6_11667:                            ;   in Loop: Header=BB6_11641 Depth=2
	s_or_b32 exec_lo, exec_lo, s40
	s_and_saveexec_b32 s40, s14
	s_cbranch_execz .LBB6_11669
.LBB6_11668:                            ;   in Loop: Header=BB6_11641 Depth=2
	v_and_b32_sdwa v7, v82, v10 dst_sel:DWORD dst_unused:UNUSED_PAD src0_sel:DWORD src1_sel:BYTE_1
	v_and_b32_e32 v8, 7, v7
	v_bfe_u32 v24, v7, 3, 4
	v_ffbh_u32_e32 v9, v8
	v_cmp_eq_u32_e32 vcc_lo, 0, v24
	v_min_u32_e32 v9, 32, v9
	v_subrev_nc_u32_e32 v23, 28, v9
	v_sub_nc_u32_e32 v9, 29, v9
	v_lshlrev_b32_e32 v7, v23, v7
	v_lshlrev_b32_sdwa v23, v83, v10 dst_sel:DWORD dst_unused:UNUSED_PAD src0_sel:DWORD src1_sel:BYTE_1
	v_cndmask_b32_e32 v9, v24, v9, vcc_lo
	v_and_b32_e32 v7, 7, v7
	v_lshl_add_u32 v9, v9, 23, 0x3b800000
	v_cndmask_b32_e32 v7, v8, v7, vcc_lo
	v_and_b32_e32 v8, 0x80000000, v23
	v_lshlrev_b32_e32 v7, 20, v7
	v_or3_b32 v7, v8, v9, v7
.LBB6_11669:                            ;   in Loop: Header=BB6_11641 Depth=2
	s_or_b32 exec_lo, exec_lo, s40
	v_mul_f32_e32 v8, s29, v7
	v_and_b32_e32 v7, 0x7f800000, v8
	v_cmp_ne_u32_e32 vcc_lo, 0x7f800000, v7
	v_mov_b32_e32 v7, 0x8000
	s_and_saveexec_b32 s40, vcc_lo
	s_cbranch_execz .LBB6_11677
; %bb.11670:                            ;   in Loop: Header=BB6_11641 Depth=2
	v_mov_b32_e32 v7, 0
	s_mov_b32 s41, exec_lo
	v_cmpx_ne_u32_e32 0, v8
	s_cbranch_execz .LBB6_11676
; %bb.11671:                            ;   in Loop: Header=BB6_11641 Depth=2
	v_bfe_u32 v7, v8, 23, 8
	v_and_b32_e32 v9, 0x7fffff, v8
	v_sub_nc_u32_e32 v23, 0x78, v7
	v_cmp_gt_u32_e32 vcc_lo, 0x79, v7
	v_or_b32_e32 v24, 0x800000, v9
	v_cndmask_b32_e32 v23, 0, v23, vcc_lo
	v_cmp_eq_u32_e32 vcc_lo, 0, v7
	v_add_nc_u32_e32 v7, 0xffffff89, v7
	v_cndmask_b32_e64 v23, v23, 0x77, vcc_lo
	v_cndmask_b32_e32 v9, v24, v9, vcc_lo
	v_cndmask_b32_e64 v7, v7, 0xffffff8a, vcc_lo
	v_lshl_add_u32 v24, 0x100000, v23, -1
	v_lshrrev_b32_e32 v25, v23, v9
	v_lshlrev_b32_e64 v27, v23, 0x80000
	v_add_nc_u32_e32 v23, v23, v7
	v_and_b32_e32 v9, v24, v9
	v_bfe_u32 v26, v25, 20, 1
	v_cmp_eq_u32_e64 s14, v9, v27
	v_add_nc_u32_e32 v24, -1, v26
	v_cndmask_b32_e64 v9, 0, v24, s14
	v_lshrrev_b32_e32 v24, 23, v25
	s_mov_b32 s14, exec_lo
	v_add_nc_u32_e32 v9, v9, v25
	v_xor_b32_e32 v24, 1, v24
	v_and_b32_e32 v7, 0xfffff, v9
	v_add_nc_u32_e32 v9, v7, v25
                                        ; implicit-def: $vgpr7
	v_cmpx_ne_u32_e64 v23, v24
	s_xor_b32 s14, exec_lo, s14
; %bb.11672:                            ;   in Loop: Header=BB6_11641 Depth=2
	v_cmp_lt_u32_e32 vcc_lo, 0xffffff, v9
	v_sub_nc_u32_e32 v7, v23, v24
	v_cndmask_b32_e64 v23, 0, 1, vcc_lo
	v_add_co_ci_u32_e64 v7, null, 0, v7, vcc_lo
	v_lshrrev_b32_e32 v9, v23, v9
; %bb.11673:                            ;   in Loop: Header=BB6_11641 Depth=2
	s_andn2_saveexec_b32 s14, s14
; %bb.11674:                            ;   in Loop: Header=BB6_11641 Depth=2
	v_bfe_u32 v7, v9, 23, 1
; %bb.11675:                            ;   in Loop: Header=BB6_11641 Depth=2
	s_or_b32 exec_lo, exec_lo, s14
	v_lshrrev_b32_e32 v9, 20, v9
	v_min_i32_e32 v23, 15, v7
	v_cmp_gt_i32_e32 vcc_lo, 16, v7
	v_and_b32_sdwa v8, v8, v81 dst_sel:DWORD dst_unused:UNUSED_PAD src0_sel:BYTE_3 src1_sel:DWORD
	v_lshlrev_b32_e32 v23, 3, v23
	v_cndmask_b32_e32 v9, 7, v9, vcc_lo
	v_and_b32_e32 v23, 0xf8, v23
	v_and_b32_e32 v24, 7, v9
	v_or_b32_e32 v7, v7, v9
	v_or3_b32 v8, v8, v23, v24
	v_cmp_ne_u32_e32 vcc_lo, 0, v7
	v_lshlrev_b32_e32 v8, 8, v8
	v_cndmask_b32_e32 v7, 0, v8, vcc_lo
.LBB6_11676:                            ;   in Loop: Header=BB6_11641 Depth=2
	s_or_b32 exec_lo, exec_lo, s41
.LBB6_11677:                            ;   in Loop: Header=BB6_11641 Depth=2
	s_or_b32 exec_lo, exec_lo, s40
	v_and_b32_sdwa v9, v10, v86 dst_sel:DWORD dst_unused:UNUSED_PAD src0_sel:WORD_1 src1_sel:DWORD
	s_mov_b32 s14, 0
	s_mov_b32 s40, exec_lo
	v_cmpx_lt_i16_e32 0x7f, v9
	s_xor_b32 s40, exec_lo, s40
	s_cbranch_execz .LBB6_11875
; %bb.11678:                            ;   in Loop: Header=BB6_11641 Depth=2
	s_mov_b32 s14, -1
	s_mov_b32 s41, exec_lo
	v_cmpx_eq_u16_e32 0x80, v9
; %bb.11679:                            ;   in Loop: Header=BB6_11641 Depth=2
	s_xor_b32 s14, exec_lo, -1
; %bb.11680:                            ;   in Loop: Header=BB6_11641 Depth=2
	s_or_b32 exec_lo, exec_lo, s41
	s_and_b32 s14, s14, exec_lo
                                        ; implicit-def: $vgpr9
	s_or_saveexec_b32 s40, s40
	v_mov_b32_e32 v8, 0x7f800001
	s_xor_b32 exec_lo, exec_lo, s40
	s_cbranch_execnz .LBB6_11876
.LBB6_11681:                            ;   in Loop: Header=BB6_11641 Depth=2
	s_or_b32 exec_lo, exec_lo, s40
	s_and_saveexec_b32 s40, s14
	s_cbranch_execz .LBB6_11683
.LBB6_11682:                            ;   in Loop: Header=BB6_11641 Depth=2
	v_bfe_u32 v8, v10, 16, 3
	v_bfe_u32 v24, v10, 19, 4
	v_lshlrev_b32_e32 v25, 8, v10
	v_ffbh_u32_e32 v9, v8
	v_cmp_eq_u32_e32 vcc_lo, 0, v24
	v_min_u32_e32 v9, 32, v9
	v_subrev_nc_u32_e32 v23, 28, v9
	v_sub_nc_u32_e32 v9, 29, v9
	v_lshlrev_b32_sdwa v23, v23, v10 dst_sel:DWORD dst_unused:UNUSED_PAD src0_sel:DWORD src1_sel:WORD_1
	v_cndmask_b32_e32 v9, v24, v9, vcc_lo
	v_and_b32_e32 v23, 7, v23
	v_lshl_add_u32 v9, v9, 23, 0x3b800000
	v_cndmask_b32_e32 v8, v8, v23, vcc_lo
	v_and_b32_e32 v23, 0x80000000, v25
	v_lshlrev_b32_e32 v8, 20, v8
	v_or3_b32 v8, v23, v9, v8
.LBB6_11683:                            ;   in Loop: Header=BB6_11641 Depth=2
	s_or_b32 exec_lo, exec_lo, s40
	v_mul_f32_e32 v9, s29, v8
	v_and_b32_e32 v8, 0x7f800000, v9
	v_cmp_ne_u32_e32 vcc_lo, 0x7f800000, v8
	v_mov_b32_e32 v8, 0x80
	s_and_saveexec_b32 s40, vcc_lo
	s_cbranch_execz .LBB6_11691
; %bb.11684:                            ;   in Loop: Header=BB6_11641 Depth=2
	v_mov_b32_e32 v8, 0
	s_mov_b32 s41, exec_lo
	v_cmpx_ne_u32_e32 0, v9
	s_cbranch_execz .LBB6_11690
; %bb.11685:                            ;   in Loop: Header=BB6_11641 Depth=2
	v_bfe_u32 v8, v9, 23, 8
	v_and_b32_e32 v23, 0x7fffff, v9
	v_sub_nc_u32_e32 v24, 0x78, v8
	v_cmp_gt_u32_e32 vcc_lo, 0x79, v8
	v_or_b32_e32 v25, 0x800000, v23
	v_cndmask_b32_e32 v24, 0, v24, vcc_lo
	v_cmp_eq_u32_e32 vcc_lo, 0, v8
	v_add_nc_u32_e32 v8, 0xffffff89, v8
	v_cndmask_b32_e64 v24, v24, 0x77, vcc_lo
	v_cndmask_b32_e32 v23, v25, v23, vcc_lo
	v_cndmask_b32_e64 v8, v8, 0xffffff8a, vcc_lo
	v_lshl_add_u32 v25, 0x100000, v24, -1
	v_lshrrev_b32_e32 v26, v24, v23
	v_lshlrev_b32_e64 v28, v24, 0x80000
	v_add_nc_u32_e32 v24, v24, v8
	v_and_b32_e32 v23, v25, v23
	v_bfe_u32 v27, v26, 20, 1
	v_cmp_eq_u32_e64 s14, v23, v28
	v_add_nc_u32_e32 v25, -1, v27
	v_cndmask_b32_e64 v23, 0, v25, s14
	v_lshrrev_b32_e32 v25, 23, v26
	s_mov_b32 s14, exec_lo
	v_add_nc_u32_e32 v23, v23, v26
	v_xor_b32_e32 v25, 1, v25
	v_and_b32_e32 v8, 0xfffff, v23
	v_add_nc_u32_e32 v23, v8, v26
                                        ; implicit-def: $vgpr8
	v_cmpx_ne_u32_e64 v24, v25
	s_xor_b32 s14, exec_lo, s14
; %bb.11686:                            ;   in Loop: Header=BB6_11641 Depth=2
	v_cmp_lt_u32_e32 vcc_lo, 0xffffff, v23
	v_sub_nc_u32_e32 v8, v24, v25
	v_cndmask_b32_e64 v24, 0, 1, vcc_lo
	v_add_co_ci_u32_e64 v8, null, 0, v8, vcc_lo
	v_lshrrev_b32_e32 v23, v24, v23
; %bb.11687:                            ;   in Loop: Header=BB6_11641 Depth=2
	s_andn2_saveexec_b32 s14, s14
; %bb.11688:                            ;   in Loop: Header=BB6_11641 Depth=2
	v_bfe_u32 v8, v23, 23, 1
; %bb.11689:                            ;   in Loop: Header=BB6_11641 Depth=2
	s_or_b32 exec_lo, exec_lo, s14
	v_lshrrev_b32_e32 v23, 20, v23
	v_min_i32_e32 v24, 15, v8
	v_cmp_gt_i32_e32 vcc_lo, 16, v8
	v_and_b32_sdwa v9, v9, v81 dst_sel:DWORD dst_unused:UNUSED_PAD src0_sel:BYTE_3 src1_sel:DWORD
	v_lshlrev_b32_e32 v24, 3, v24
	v_cndmask_b32_e32 v23, 7, v23, vcc_lo
	v_and_b32_e32 v24, 0xf8, v24
	v_and_b32_e32 v25, 7, v23
	v_or_b32_e32 v8, v8, v23
	v_or3_b32 v9, v24, v9, v25
	v_cmp_ne_u32_e32 vcc_lo, 0, v8
	v_cndmask_b32_e32 v8, 0, v9, vcc_lo
.LBB6_11690:                            ;   in Loop: Header=BB6_11641 Depth=2
	s_or_b32 exec_lo, exec_lo, s41
.LBB6_11691:                            ;   in Loop: Header=BB6_11641 Depth=2
	s_or_b32 exec_lo, exec_lo, s40
	v_cmp_gt_i16_sdwa s40, v10, v80 src0_sel:BYTE_3 src1_sel:DWORD
	s_mov_b32 s14, 0
	s_and_saveexec_b32 s41, s40
	s_xor_b32 s40, exec_lo, s41
	s_cbranch_execz .LBB6_11877
; %bb.11692:                            ;   in Loop: Header=BB6_11641 Depth=2
	v_cmp_eq_u16_sdwa s42, v10, v81 src0_sel:BYTE_3 src1_sel:DWORD
	s_mov_b32 s14, -1
	s_and_saveexec_b32 s41, s42
; %bb.11693:                            ;   in Loop: Header=BB6_11641 Depth=2
	s_xor_b32 s14, exec_lo, -1
; %bb.11694:                            ;   in Loop: Header=BB6_11641 Depth=2
	s_or_b32 exec_lo, exec_lo, s41
	s_and_b32 s14, s14, exec_lo
	s_or_saveexec_b32 s40, s40
	v_mov_b32_e32 v9, 0x7f800001
	s_xor_b32 exec_lo, exec_lo, s40
	s_cbranch_execnz .LBB6_11878
.LBB6_11695:                            ;   in Loop: Header=BB6_11641 Depth=2
	s_or_b32 exec_lo, exec_lo, s40
	s_and_saveexec_b32 s40, s14
	s_cbranch_execz .LBB6_11697
.LBB6_11696:                            ;   in Loop: Header=BB6_11641 Depth=2
	v_bfe_u32 v9, v10, 24, 3
	v_bfe_u32 v25, v10, 27, 4
	v_ffbh_u32_e32 v23, v9
	v_cmp_eq_u32_e32 vcc_lo, 0, v25
	v_min_u32_e32 v23, 32, v23
	v_subrev_nc_u32_e32 v24, 28, v23
	v_sub_nc_u32_e32 v23, 29, v23
	v_lshlrev_b32_sdwa v24, v24, v10 dst_sel:DWORD dst_unused:UNUSED_PAD src0_sel:DWORD src1_sel:BYTE_3
	v_cndmask_b32_e32 v23, v25, v23, vcc_lo
	v_and_b32_e32 v10, 0x80000000, v10
	v_and_b32_e32 v24, 7, v24
	v_lshl_add_u32 v23, v23, 23, 0x3b800000
	v_cndmask_b32_e32 v9, v9, v24, vcc_lo
	v_lshlrev_b32_e32 v9, 20, v9
	v_or3_b32 v9, v10, v23, v9
.LBB6_11697:                            ;   in Loop: Header=BB6_11641 Depth=2
	s_or_b32 exec_lo, exec_lo, s40
	v_mul_f32_e32 v10, s29, v9
	v_and_b32_e32 v9, 0x7f800000, v10
	v_cmp_ne_u32_e32 vcc_lo, 0x7f800000, v9
	v_mov_b32_e32 v9, 0x8000
	s_and_saveexec_b32 s40, vcc_lo
	s_cbranch_execz .LBB6_11705
; %bb.11698:                            ;   in Loop: Header=BB6_11641 Depth=2
	v_mov_b32_e32 v9, 0
	s_mov_b32 s41, exec_lo
	v_cmpx_ne_u32_e32 0, v10
	s_cbranch_execz .LBB6_11704
; %bb.11699:                            ;   in Loop: Header=BB6_11641 Depth=2
	v_bfe_u32 v9, v10, 23, 8
	v_and_b32_e32 v23, 0x7fffff, v10
	v_sub_nc_u32_e32 v24, 0x78, v9
	v_cmp_gt_u32_e32 vcc_lo, 0x79, v9
	v_or_b32_e32 v25, 0x800000, v23
	v_cndmask_b32_e32 v24, 0, v24, vcc_lo
	v_cmp_eq_u32_e32 vcc_lo, 0, v9
	v_add_nc_u32_e32 v9, 0xffffff89, v9
	v_cndmask_b32_e64 v24, v24, 0x77, vcc_lo
	v_cndmask_b32_e32 v23, v25, v23, vcc_lo
	v_cndmask_b32_e64 v9, v9, 0xffffff8a, vcc_lo
	v_lshl_add_u32 v25, 0x100000, v24, -1
	v_lshrrev_b32_e32 v26, v24, v23
	v_lshlrev_b32_e64 v28, v24, 0x80000
	v_add_nc_u32_e32 v24, v24, v9
	v_and_b32_e32 v23, v25, v23
	v_bfe_u32 v27, v26, 20, 1
	v_cmp_eq_u32_e64 s14, v23, v28
	v_add_nc_u32_e32 v25, -1, v27
	v_cndmask_b32_e64 v23, 0, v25, s14
	v_lshrrev_b32_e32 v25, 23, v26
	s_mov_b32 s14, exec_lo
	v_add_nc_u32_e32 v23, v23, v26
	v_xor_b32_e32 v25, 1, v25
	v_and_b32_e32 v9, 0xfffff, v23
	v_add_nc_u32_e32 v23, v9, v26
                                        ; implicit-def: $vgpr9
	v_cmpx_ne_u32_e64 v24, v25
	s_xor_b32 s14, exec_lo, s14
; %bb.11700:                            ;   in Loop: Header=BB6_11641 Depth=2
	v_cmp_lt_u32_e32 vcc_lo, 0xffffff, v23
	v_sub_nc_u32_e32 v9, v24, v25
	v_cndmask_b32_e64 v24, 0, 1, vcc_lo
	v_add_co_ci_u32_e64 v9, null, 0, v9, vcc_lo
	v_lshrrev_b32_e32 v23, v24, v23
; %bb.11701:                            ;   in Loop: Header=BB6_11641 Depth=2
	s_andn2_saveexec_b32 s14, s14
; %bb.11702:                            ;   in Loop: Header=BB6_11641 Depth=2
	v_bfe_u32 v9, v23, 23, 1
; %bb.11703:                            ;   in Loop: Header=BB6_11641 Depth=2
	s_or_b32 exec_lo, exec_lo, s14
	v_lshrrev_b32_e32 v23, 20, v23
	v_min_i32_e32 v24, 15, v9
	v_cmp_gt_i32_e32 vcc_lo, 16, v9
	v_and_b32_sdwa v10, v10, v81 dst_sel:DWORD dst_unused:UNUSED_PAD src0_sel:BYTE_3 src1_sel:DWORD
	v_lshlrev_b32_e32 v24, 3, v24
	v_cndmask_b32_e32 v23, 7, v23, vcc_lo
	v_and_b32_e32 v24, 0xf8, v24
	v_and_b32_e32 v25, 7, v23
	v_or_b32_e32 v9, v9, v23
	v_or3_b32 v10, v10, v24, v25
	v_cmp_ne_u32_e32 vcc_lo, 0, v9
	v_lshlrev_b32_e32 v10, 8, v10
	v_cndmask_b32_e32 v9, 0, v10, vcc_lo
.LBB6_11704:                            ;   in Loop: Header=BB6_11641 Depth=2
	s_or_b32 exec_lo, exec_lo, s41
.LBB6_11705:                            ;   in Loop: Header=BB6_11641 Depth=2
	s_or_b32 exec_lo, exec_lo, s40
	v_cmp_gt_i16_sdwa s40, v11, v80 src0_sel:BYTE_0 src1_sel:DWORD
	s_mov_b32 s14, 0
	s_and_saveexec_b32 s41, s40
	s_xor_b32 s40, exec_lo, s41
	s_cbranch_execz .LBB6_11879
; %bb.11706:                            ;   in Loop: Header=BB6_11641 Depth=2
	v_cmp_eq_u16_sdwa s42, v11, v81 src0_sel:BYTE_0 src1_sel:DWORD
	s_mov_b32 s14, -1
	s_and_saveexec_b32 s41, s42
; %bb.11707:                            ;   in Loop: Header=BB6_11641 Depth=2
	s_xor_b32 s14, exec_lo, -1
; %bb.11708:                            ;   in Loop: Header=BB6_11641 Depth=2
	s_or_b32 exec_lo, exec_lo, s41
	s_and_b32 s14, s14, exec_lo
	s_or_saveexec_b32 s40, s40
	v_mov_b32_e32 v10, 0x7f800001
	s_xor_b32 exec_lo, exec_lo, s40
	s_cbranch_execnz .LBB6_11880
.LBB6_11709:                            ;   in Loop: Header=BB6_11641 Depth=2
	s_or_b32 exec_lo, exec_lo, s40
	s_and_saveexec_b32 s40, s14
	s_cbranch_execz .LBB6_11711
.LBB6_11710:                            ;   in Loop: Header=BB6_11641 Depth=2
	v_and_b32_e32 v10, 7, v11
	v_bfe_u32 v25, v11, 3, 4
	v_lshlrev_b32_e32 v26, 24, v11
	v_ffbh_u32_e32 v23, v10
	v_cmp_eq_u32_e32 vcc_lo, 0, v25
	v_min_u32_e32 v23, 32, v23
	v_subrev_nc_u32_e32 v24, 28, v23
	v_sub_nc_u32_e32 v23, 29, v23
	v_lshlrev_b32_e32 v24, v24, v11
	v_cndmask_b32_e32 v23, v25, v23, vcc_lo
	v_and_b32_e32 v24, 7, v24
	v_lshl_add_u32 v23, v23, 23, 0x3b800000
	v_cndmask_b32_e32 v10, v10, v24, vcc_lo
	v_and_b32_e32 v24, 0x80000000, v26
	v_lshlrev_b32_e32 v10, 20, v10
	v_or3_b32 v10, v24, v23, v10
.LBB6_11711:                            ;   in Loop: Header=BB6_11641 Depth=2
	s_or_b32 exec_lo, exec_lo, s40
	v_mul_f32_e32 v23, s29, v10
	v_and_b32_e32 v10, 0x7f800000, v23
	v_cmp_ne_u32_e32 vcc_lo, 0x7f800000, v10
	v_mov_b32_e32 v10, 0x80
	s_and_saveexec_b32 s40, vcc_lo
	s_cbranch_execz .LBB6_11719
; %bb.11712:                            ;   in Loop: Header=BB6_11641 Depth=2
	v_mov_b32_e32 v10, 0
	s_mov_b32 s41, exec_lo
	v_cmpx_ne_u32_e32 0, v23
	s_cbranch_execz .LBB6_11718
; %bb.11713:                            ;   in Loop: Header=BB6_11641 Depth=2
	v_bfe_u32 v10, v23, 23, 8
	v_and_b32_e32 v24, 0x7fffff, v23
	v_sub_nc_u32_e32 v25, 0x78, v10
	v_cmp_gt_u32_e32 vcc_lo, 0x79, v10
	v_or_b32_e32 v26, 0x800000, v24
	v_cndmask_b32_e32 v25, 0, v25, vcc_lo
	v_cmp_eq_u32_e32 vcc_lo, 0, v10
	v_add_nc_u32_e32 v10, 0xffffff89, v10
	v_cndmask_b32_e64 v25, v25, 0x77, vcc_lo
	v_cndmask_b32_e32 v24, v26, v24, vcc_lo
	v_cndmask_b32_e64 v10, v10, 0xffffff8a, vcc_lo
	v_lshl_add_u32 v26, 0x100000, v25, -1
	v_lshrrev_b32_e32 v27, v25, v24
	v_lshlrev_b32_e64 v29, v25, 0x80000
	v_add_nc_u32_e32 v25, v25, v10
	v_and_b32_e32 v24, v26, v24
	v_bfe_u32 v28, v27, 20, 1
	v_cmp_eq_u32_e64 s14, v24, v29
	v_add_nc_u32_e32 v26, -1, v28
	v_cndmask_b32_e64 v24, 0, v26, s14
	v_lshrrev_b32_e32 v26, 23, v27
	s_mov_b32 s14, exec_lo
	v_add_nc_u32_e32 v24, v24, v27
	v_xor_b32_e32 v26, 1, v26
	v_and_b32_e32 v10, 0xfffff, v24
	v_add_nc_u32_e32 v24, v10, v27
                                        ; implicit-def: $vgpr10
	v_cmpx_ne_u32_e64 v25, v26
	s_xor_b32 s14, exec_lo, s14
; %bb.11714:                            ;   in Loop: Header=BB6_11641 Depth=2
	v_cmp_lt_u32_e32 vcc_lo, 0xffffff, v24
	v_sub_nc_u32_e32 v10, v25, v26
	v_cndmask_b32_e64 v25, 0, 1, vcc_lo
	v_add_co_ci_u32_e64 v10, null, 0, v10, vcc_lo
	v_lshrrev_b32_e32 v24, v25, v24
; %bb.11715:                            ;   in Loop: Header=BB6_11641 Depth=2
	s_andn2_saveexec_b32 s14, s14
; %bb.11716:                            ;   in Loop: Header=BB6_11641 Depth=2
	v_bfe_u32 v10, v24, 23, 1
; %bb.11717:                            ;   in Loop: Header=BB6_11641 Depth=2
	s_or_b32 exec_lo, exec_lo, s14
	v_lshrrev_b32_e32 v24, 20, v24
	v_min_i32_e32 v25, 15, v10
	v_cmp_gt_i32_e32 vcc_lo, 16, v10
	v_and_b32_sdwa v23, v23, v81 dst_sel:DWORD dst_unused:UNUSED_PAD src0_sel:BYTE_3 src1_sel:DWORD
	v_lshlrev_b32_e32 v25, 3, v25
	v_cndmask_b32_e32 v24, 7, v24, vcc_lo
	v_and_b32_e32 v25, 0xf8, v25
	v_and_b32_e32 v26, 7, v24
	v_or_b32_e32 v10, v10, v24
	v_or3_b32 v23, v25, v23, v26
	v_cmp_ne_u32_e32 vcc_lo, 0, v10
	v_cndmask_b32_e32 v10, 0, v23, vcc_lo
.LBB6_11718:                            ;   in Loop: Header=BB6_11641 Depth=2
	s_or_b32 exec_lo, exec_lo, s41
.LBB6_11719:                            ;   in Loop: Header=BB6_11641 Depth=2
	s_or_b32 exec_lo, exec_lo, s40
	v_cmp_gt_i16_sdwa s40, v11, v80 src0_sel:BYTE_1 src1_sel:DWORD
	s_mov_b32 s14, 0
	s_and_saveexec_b32 s41, s40
	s_xor_b32 s40, exec_lo, s41
	s_cbranch_execz .LBB6_11881
; %bb.11720:                            ;   in Loop: Header=BB6_11641 Depth=2
	v_cmp_eq_u16_sdwa s42, v11, v81 src0_sel:BYTE_1 src1_sel:DWORD
	s_mov_b32 s14, -1
	s_and_saveexec_b32 s41, s42
; %bb.11721:                            ;   in Loop: Header=BB6_11641 Depth=2
	s_xor_b32 s14, exec_lo, -1
; %bb.11722:                            ;   in Loop: Header=BB6_11641 Depth=2
	s_or_b32 exec_lo, exec_lo, s41
	s_and_b32 s14, s14, exec_lo
	s_or_saveexec_b32 s40, s40
	v_mov_b32_e32 v23, 0x7f800001
	s_xor_b32 exec_lo, exec_lo, s40
	s_cbranch_execnz .LBB6_11882
.LBB6_11723:                            ;   in Loop: Header=BB6_11641 Depth=2
	s_or_b32 exec_lo, exec_lo, s40
	s_and_saveexec_b32 s40, s14
	s_cbranch_execz .LBB6_11725
.LBB6_11724:                            ;   in Loop: Header=BB6_11641 Depth=2
	v_and_b32_sdwa v23, v82, v11 dst_sel:DWORD dst_unused:UNUSED_PAD src0_sel:DWORD src1_sel:BYTE_1
	v_and_b32_e32 v24, 7, v23
	v_bfe_u32 v27, v23, 3, 4
	v_ffbh_u32_e32 v25, v24
	v_cmp_eq_u32_e32 vcc_lo, 0, v27
	v_min_u32_e32 v25, 32, v25
	v_subrev_nc_u32_e32 v26, 28, v25
	v_sub_nc_u32_e32 v25, 29, v25
	v_lshlrev_b32_e32 v23, v26, v23
	v_lshlrev_b32_sdwa v26, v83, v11 dst_sel:DWORD dst_unused:UNUSED_PAD src0_sel:DWORD src1_sel:BYTE_1
	v_cndmask_b32_e32 v25, v27, v25, vcc_lo
	v_and_b32_e32 v23, 7, v23
	v_lshl_add_u32 v25, v25, 23, 0x3b800000
	v_cndmask_b32_e32 v23, v24, v23, vcc_lo
	v_and_b32_e32 v24, 0x80000000, v26
	v_lshlrev_b32_e32 v23, 20, v23
	v_or3_b32 v23, v24, v25, v23
.LBB6_11725:                            ;   in Loop: Header=BB6_11641 Depth=2
	s_or_b32 exec_lo, exec_lo, s40
	v_mul_f32_e32 v24, s29, v23
	v_and_b32_e32 v23, 0x7f800000, v24
	v_cmp_ne_u32_e32 vcc_lo, 0x7f800000, v23
	v_mov_b32_e32 v23, 0x8000
	s_and_saveexec_b32 s40, vcc_lo
	s_cbranch_execz .LBB6_11733
; %bb.11726:                            ;   in Loop: Header=BB6_11641 Depth=2
	v_mov_b32_e32 v23, 0
	s_mov_b32 s41, exec_lo
	v_cmpx_ne_u32_e32 0, v24
	s_cbranch_execz .LBB6_11732
; %bb.11727:                            ;   in Loop: Header=BB6_11641 Depth=2
	v_bfe_u32 v23, v24, 23, 8
	v_and_b32_e32 v25, 0x7fffff, v24
	v_sub_nc_u32_e32 v26, 0x78, v23
	v_cmp_gt_u32_e32 vcc_lo, 0x79, v23
	v_or_b32_e32 v27, 0x800000, v25
	v_cndmask_b32_e32 v26, 0, v26, vcc_lo
	v_cmp_eq_u32_e32 vcc_lo, 0, v23
	v_add_nc_u32_e32 v23, 0xffffff89, v23
	v_cndmask_b32_e64 v26, v26, 0x77, vcc_lo
	v_cndmask_b32_e32 v25, v27, v25, vcc_lo
	v_cndmask_b32_e64 v23, v23, 0xffffff8a, vcc_lo
	v_lshl_add_u32 v27, 0x100000, v26, -1
	v_lshrrev_b32_e32 v28, v26, v25
	v_lshlrev_b32_e64 v30, v26, 0x80000
	v_add_nc_u32_e32 v26, v26, v23
	v_and_b32_e32 v25, v27, v25
	v_bfe_u32 v29, v28, 20, 1
	v_cmp_eq_u32_e64 s14, v25, v30
	v_add_nc_u32_e32 v27, -1, v29
	v_cndmask_b32_e64 v25, 0, v27, s14
	v_lshrrev_b32_e32 v27, 23, v28
	s_mov_b32 s14, exec_lo
	v_add_nc_u32_e32 v25, v25, v28
	v_xor_b32_e32 v27, 1, v27
	v_and_b32_e32 v23, 0xfffff, v25
	v_add_nc_u32_e32 v25, v23, v28
                                        ; implicit-def: $vgpr23
	v_cmpx_ne_u32_e64 v26, v27
	s_xor_b32 s14, exec_lo, s14
; %bb.11728:                            ;   in Loop: Header=BB6_11641 Depth=2
	v_cmp_lt_u32_e32 vcc_lo, 0xffffff, v25
	v_sub_nc_u32_e32 v23, v26, v27
	v_cndmask_b32_e64 v26, 0, 1, vcc_lo
	v_add_co_ci_u32_e64 v23, null, 0, v23, vcc_lo
	v_lshrrev_b32_e32 v25, v26, v25
; %bb.11729:                            ;   in Loop: Header=BB6_11641 Depth=2
	s_andn2_saveexec_b32 s14, s14
; %bb.11730:                            ;   in Loop: Header=BB6_11641 Depth=2
	v_bfe_u32 v23, v25, 23, 1
; %bb.11731:                            ;   in Loop: Header=BB6_11641 Depth=2
	s_or_b32 exec_lo, exec_lo, s14
	v_lshrrev_b32_e32 v25, 20, v25
	v_min_i32_e32 v26, 15, v23
	v_cmp_gt_i32_e32 vcc_lo, 16, v23
	v_and_b32_sdwa v24, v24, v81 dst_sel:DWORD dst_unused:UNUSED_PAD src0_sel:BYTE_3 src1_sel:DWORD
	v_lshlrev_b32_e32 v26, 3, v26
	v_cndmask_b32_e32 v25, 7, v25, vcc_lo
	v_and_b32_e32 v26, 0xf8, v26
	v_and_b32_e32 v27, 7, v25
	v_or_b32_e32 v23, v23, v25
	v_or3_b32 v24, v24, v26, v27
	v_cmp_ne_u32_e32 vcc_lo, 0, v23
	v_lshlrev_b32_e32 v24, 8, v24
	v_cndmask_b32_e32 v23, 0, v24, vcc_lo
.LBB6_11732:                            ;   in Loop: Header=BB6_11641 Depth=2
	s_or_b32 exec_lo, exec_lo, s41
.LBB6_11733:                            ;   in Loop: Header=BB6_11641 Depth=2
	s_or_b32 exec_lo, exec_lo, s40
	v_and_b32_sdwa v25, v11, v86 dst_sel:DWORD dst_unused:UNUSED_PAD src0_sel:WORD_1 src1_sel:DWORD
	s_mov_b32 s14, 0
	s_mov_b32 s40, exec_lo
	v_cmpx_lt_i16_e32 0x7f, v25
	s_xor_b32 s40, exec_lo, s40
	s_cbranch_execz .LBB6_11883
; %bb.11734:                            ;   in Loop: Header=BB6_11641 Depth=2
	s_mov_b32 s14, -1
	s_mov_b32 s41, exec_lo
	v_cmpx_eq_u16_e32 0x80, v25
; %bb.11735:                            ;   in Loop: Header=BB6_11641 Depth=2
	s_xor_b32 s14, exec_lo, -1
; %bb.11736:                            ;   in Loop: Header=BB6_11641 Depth=2
	s_or_b32 exec_lo, exec_lo, s41
	s_and_b32 s14, s14, exec_lo
                                        ; implicit-def: $vgpr25
	s_or_saveexec_b32 s40, s40
	v_mov_b32_e32 v24, 0x7f800001
	s_xor_b32 exec_lo, exec_lo, s40
	s_cbranch_execnz .LBB6_11884
.LBB6_11737:                            ;   in Loop: Header=BB6_11641 Depth=2
	s_or_b32 exec_lo, exec_lo, s40
	s_and_saveexec_b32 s40, s14
	s_cbranch_execz .LBB6_11739
.LBB6_11738:                            ;   in Loop: Header=BB6_11641 Depth=2
	v_bfe_u32 v24, v11, 16, 3
	v_bfe_u32 v27, v11, 19, 4
	v_lshlrev_b32_e32 v28, 8, v11
	v_ffbh_u32_e32 v25, v24
	v_cmp_eq_u32_e32 vcc_lo, 0, v27
	v_min_u32_e32 v25, 32, v25
	v_subrev_nc_u32_e32 v26, 28, v25
	v_sub_nc_u32_e32 v25, 29, v25
	v_lshlrev_b32_sdwa v26, v26, v11 dst_sel:DWORD dst_unused:UNUSED_PAD src0_sel:DWORD src1_sel:WORD_1
	v_cndmask_b32_e32 v25, v27, v25, vcc_lo
	v_and_b32_e32 v26, 7, v26
	v_lshl_add_u32 v25, v25, 23, 0x3b800000
	v_cndmask_b32_e32 v24, v24, v26, vcc_lo
	v_and_b32_e32 v26, 0x80000000, v28
	v_lshlrev_b32_e32 v24, 20, v24
	v_or3_b32 v24, v26, v25, v24
.LBB6_11739:                            ;   in Loop: Header=BB6_11641 Depth=2
	s_or_b32 exec_lo, exec_lo, s40
	v_mul_f32_e32 v25, s29, v24
	v_and_b32_e32 v24, 0x7f800000, v25
	v_cmp_ne_u32_e32 vcc_lo, 0x7f800000, v24
	v_mov_b32_e32 v24, 0x80
	s_and_saveexec_b32 s40, vcc_lo
	s_cbranch_execz .LBB6_11747
; %bb.11740:                            ;   in Loop: Header=BB6_11641 Depth=2
	v_mov_b32_e32 v24, 0
	s_mov_b32 s41, exec_lo
	v_cmpx_ne_u32_e32 0, v25
	s_cbranch_execz .LBB6_11746
; %bb.11741:                            ;   in Loop: Header=BB6_11641 Depth=2
	v_bfe_u32 v24, v25, 23, 8
	v_and_b32_e32 v26, 0x7fffff, v25
	v_sub_nc_u32_e32 v27, 0x78, v24
	v_cmp_gt_u32_e32 vcc_lo, 0x79, v24
	v_or_b32_e32 v28, 0x800000, v26
	v_cndmask_b32_e32 v27, 0, v27, vcc_lo
	v_cmp_eq_u32_e32 vcc_lo, 0, v24
	v_add_nc_u32_e32 v24, 0xffffff89, v24
	v_cndmask_b32_e64 v27, v27, 0x77, vcc_lo
	v_cndmask_b32_e32 v26, v28, v26, vcc_lo
	v_cndmask_b32_e64 v24, v24, 0xffffff8a, vcc_lo
	v_lshl_add_u32 v28, 0x100000, v27, -1
	v_lshrrev_b32_e32 v29, v27, v26
	v_lshlrev_b32_e64 v31, v27, 0x80000
	v_add_nc_u32_e32 v27, v27, v24
	v_and_b32_e32 v26, v28, v26
	v_bfe_u32 v30, v29, 20, 1
	v_cmp_eq_u32_e64 s14, v26, v31
	v_add_nc_u32_e32 v28, -1, v30
	v_cndmask_b32_e64 v26, 0, v28, s14
	v_lshrrev_b32_e32 v28, 23, v29
	s_mov_b32 s14, exec_lo
	v_add_nc_u32_e32 v26, v26, v29
	v_xor_b32_e32 v28, 1, v28
	v_and_b32_e32 v24, 0xfffff, v26
	v_add_nc_u32_e32 v26, v24, v29
                                        ; implicit-def: $vgpr24
	v_cmpx_ne_u32_e64 v27, v28
	s_xor_b32 s14, exec_lo, s14
; %bb.11742:                            ;   in Loop: Header=BB6_11641 Depth=2
	v_cmp_lt_u32_e32 vcc_lo, 0xffffff, v26
	v_sub_nc_u32_e32 v24, v27, v28
	v_cndmask_b32_e64 v27, 0, 1, vcc_lo
	v_add_co_ci_u32_e64 v24, null, 0, v24, vcc_lo
	v_lshrrev_b32_e32 v26, v27, v26
; %bb.11743:                            ;   in Loop: Header=BB6_11641 Depth=2
	s_andn2_saveexec_b32 s14, s14
; %bb.11744:                            ;   in Loop: Header=BB6_11641 Depth=2
	v_bfe_u32 v24, v26, 23, 1
; %bb.11745:                            ;   in Loop: Header=BB6_11641 Depth=2
	s_or_b32 exec_lo, exec_lo, s14
	v_lshrrev_b32_e32 v26, 20, v26
	v_min_i32_e32 v27, 15, v24
	v_cmp_gt_i32_e32 vcc_lo, 16, v24
	v_and_b32_sdwa v25, v25, v81 dst_sel:DWORD dst_unused:UNUSED_PAD src0_sel:BYTE_3 src1_sel:DWORD
	v_lshlrev_b32_e32 v27, 3, v27
	v_cndmask_b32_e32 v26, 7, v26, vcc_lo
	v_and_b32_e32 v27, 0xf8, v27
	v_and_b32_e32 v28, 7, v26
	v_or_b32_e32 v24, v24, v26
	v_or3_b32 v25, v27, v25, v28
	v_cmp_ne_u32_e32 vcc_lo, 0, v24
	v_cndmask_b32_e32 v24, 0, v25, vcc_lo
.LBB6_11746:                            ;   in Loop: Header=BB6_11641 Depth=2
	s_or_b32 exec_lo, exec_lo, s41
.LBB6_11747:                            ;   in Loop: Header=BB6_11641 Depth=2
	s_or_b32 exec_lo, exec_lo, s40
	v_cmp_gt_i16_sdwa s40, v11, v80 src0_sel:BYTE_3 src1_sel:DWORD
	s_mov_b32 s14, 0
	s_and_saveexec_b32 s41, s40
	s_xor_b32 s40, exec_lo, s41
	s_cbranch_execz .LBB6_11885
; %bb.11748:                            ;   in Loop: Header=BB6_11641 Depth=2
	v_cmp_eq_u16_sdwa s42, v11, v81 src0_sel:BYTE_3 src1_sel:DWORD
	s_mov_b32 s14, -1
	s_and_saveexec_b32 s41, s42
; %bb.11749:                            ;   in Loop: Header=BB6_11641 Depth=2
	s_xor_b32 s14, exec_lo, -1
; %bb.11750:                            ;   in Loop: Header=BB6_11641 Depth=2
	s_or_b32 exec_lo, exec_lo, s41
	s_and_b32 s14, s14, exec_lo
	s_or_saveexec_b32 s40, s40
	v_mov_b32_e32 v25, 0x7f800001
	s_xor_b32 exec_lo, exec_lo, s40
	s_cbranch_execnz .LBB6_11886
.LBB6_11751:                            ;   in Loop: Header=BB6_11641 Depth=2
	s_or_b32 exec_lo, exec_lo, s40
	s_and_saveexec_b32 s40, s14
	s_cbranch_execz .LBB6_11753
.LBB6_11752:                            ;   in Loop: Header=BB6_11641 Depth=2
	v_bfe_u32 v25, v11, 24, 3
	v_bfe_u32 v28, v11, 27, 4
	v_ffbh_u32_e32 v26, v25
	v_cmp_eq_u32_e32 vcc_lo, 0, v28
	v_min_u32_e32 v26, 32, v26
	v_subrev_nc_u32_e32 v27, 28, v26
	v_sub_nc_u32_e32 v26, 29, v26
	v_lshlrev_b32_sdwa v27, v27, v11 dst_sel:DWORD dst_unused:UNUSED_PAD src0_sel:DWORD src1_sel:BYTE_3
	v_cndmask_b32_e32 v26, v28, v26, vcc_lo
	v_and_b32_e32 v11, 0x80000000, v11
	v_and_b32_e32 v27, 7, v27
	v_lshl_add_u32 v26, v26, 23, 0x3b800000
	v_cndmask_b32_e32 v25, v25, v27, vcc_lo
	v_lshlrev_b32_e32 v25, 20, v25
	v_or3_b32 v25, v11, v26, v25
.LBB6_11753:                            ;   in Loop: Header=BB6_11641 Depth=2
	s_or_b32 exec_lo, exec_lo, s40
	v_mul_f32_e32 v25, s29, v25
	v_and_b32_e32 v11, 0x7f800000, v25
	v_cmp_ne_u32_e32 vcc_lo, 0x7f800000, v11
	v_mov_b32_e32 v11, 0x8000
	s_and_saveexec_b32 s40, vcc_lo
	s_cbranch_execz .LBB6_11761
; %bb.11754:                            ;   in Loop: Header=BB6_11641 Depth=2
	v_mov_b32_e32 v11, 0
	s_mov_b32 s41, exec_lo
	v_cmpx_ne_u32_e32 0, v25
	s_cbranch_execz .LBB6_11760
; %bb.11755:                            ;   in Loop: Header=BB6_11641 Depth=2
	v_bfe_u32 v11, v25, 23, 8
	v_and_b32_e32 v26, 0x7fffff, v25
	v_sub_nc_u32_e32 v27, 0x78, v11
	v_cmp_gt_u32_e32 vcc_lo, 0x79, v11
	v_or_b32_e32 v28, 0x800000, v26
	v_cndmask_b32_e32 v27, 0, v27, vcc_lo
	v_cmp_eq_u32_e32 vcc_lo, 0, v11
	v_add_nc_u32_e32 v11, 0xffffff89, v11
	v_cndmask_b32_e64 v27, v27, 0x77, vcc_lo
	v_cndmask_b32_e32 v26, v28, v26, vcc_lo
	v_cndmask_b32_e64 v11, v11, 0xffffff8a, vcc_lo
	v_lshl_add_u32 v28, 0x100000, v27, -1
	v_lshrrev_b32_e32 v29, v27, v26
	v_lshlrev_b32_e64 v31, v27, 0x80000
	v_add_nc_u32_e32 v27, v27, v11
	v_and_b32_e32 v26, v28, v26
	v_bfe_u32 v30, v29, 20, 1
	v_cmp_eq_u32_e64 s14, v26, v31
	v_add_nc_u32_e32 v28, -1, v30
	v_cndmask_b32_e64 v26, 0, v28, s14
	v_lshrrev_b32_e32 v28, 23, v29
	s_mov_b32 s14, exec_lo
	v_add_nc_u32_e32 v26, v26, v29
	v_xor_b32_e32 v28, 1, v28
	v_and_b32_e32 v11, 0xfffff, v26
	v_add_nc_u32_e32 v26, v11, v29
                                        ; implicit-def: $vgpr11
	v_cmpx_ne_u32_e64 v27, v28
	s_xor_b32 s14, exec_lo, s14
; %bb.11756:                            ;   in Loop: Header=BB6_11641 Depth=2
	v_cmp_lt_u32_e32 vcc_lo, 0xffffff, v26
	v_sub_nc_u32_e32 v11, v27, v28
	v_cndmask_b32_e64 v27, 0, 1, vcc_lo
	v_add_co_ci_u32_e64 v11, null, 0, v11, vcc_lo
	v_lshrrev_b32_e32 v26, v27, v26
; %bb.11757:                            ;   in Loop: Header=BB6_11641 Depth=2
	s_andn2_saveexec_b32 s14, s14
; %bb.11758:                            ;   in Loop: Header=BB6_11641 Depth=2
	v_bfe_u32 v11, v26, 23, 1
; %bb.11759:                            ;   in Loop: Header=BB6_11641 Depth=2
	s_or_b32 exec_lo, exec_lo, s14
	v_lshrrev_b32_e32 v26, 20, v26
	v_min_i32_e32 v27, 15, v11
	v_cmp_gt_i32_e32 vcc_lo, 16, v11
	v_and_b32_sdwa v25, v25, v81 dst_sel:DWORD dst_unused:UNUSED_PAD src0_sel:BYTE_3 src1_sel:DWORD
	v_lshlrev_b32_e32 v27, 3, v27
	v_cndmask_b32_e32 v26, 7, v26, vcc_lo
	v_and_b32_e32 v27, 0xf8, v27
	v_and_b32_e32 v28, 7, v26
	v_or_b32_e32 v11, v11, v26
	v_or3_b32 v25, v25, v27, v28
	v_cmp_ne_u32_e32 vcc_lo, 0, v11
	v_lshlrev_b32_e32 v25, 8, v25
	v_cndmask_b32_e32 v11, 0, v25, vcc_lo
.LBB6_11760:                            ;   in Loop: Header=BB6_11641 Depth=2
	s_or_b32 exec_lo, exec_lo, s41
.LBB6_11761:                            ;   in Loop: Header=BB6_11641 Depth=2
	s_or_b32 exec_lo, exec_lo, s40
	v_cmp_gt_i16_sdwa s40, v12, v80 src0_sel:BYTE_0 src1_sel:DWORD
	s_mov_b32 s14, 0
	s_and_saveexec_b32 s41, s40
	s_xor_b32 s40, exec_lo, s41
	s_cbranch_execz .LBB6_11887
; %bb.11762:                            ;   in Loop: Header=BB6_11641 Depth=2
	v_cmp_eq_u16_sdwa s42, v12, v81 src0_sel:BYTE_0 src1_sel:DWORD
	s_mov_b32 s14, -1
	s_and_saveexec_b32 s41, s42
; %bb.11763:                            ;   in Loop: Header=BB6_11641 Depth=2
	s_xor_b32 s14, exec_lo, -1
; %bb.11764:                            ;   in Loop: Header=BB6_11641 Depth=2
	s_or_b32 exec_lo, exec_lo, s41
	s_and_b32 s14, s14, exec_lo
	s_or_saveexec_b32 s40, s40
	v_mov_b32_e32 v25, 0x7f800001
	s_xor_b32 exec_lo, exec_lo, s40
	s_cbranch_execnz .LBB6_11888
.LBB6_11765:                            ;   in Loop: Header=BB6_11641 Depth=2
	s_or_b32 exec_lo, exec_lo, s40
	s_and_saveexec_b32 s40, s14
	s_cbranch_execz .LBB6_11767
.LBB6_11766:                            ;   in Loop: Header=BB6_11641 Depth=2
	v_and_b32_e32 v25, 7, v12
	v_bfe_u32 v28, v12, 3, 4
	v_lshlrev_b32_e32 v29, 24, v12
	v_ffbh_u32_e32 v26, v25
	v_cmp_eq_u32_e32 vcc_lo, 0, v28
	v_min_u32_e32 v26, 32, v26
	v_subrev_nc_u32_e32 v27, 28, v26
	v_sub_nc_u32_e32 v26, 29, v26
	v_lshlrev_b32_e32 v27, v27, v12
	v_cndmask_b32_e32 v26, v28, v26, vcc_lo
	v_and_b32_e32 v27, 7, v27
	v_lshl_add_u32 v26, v26, 23, 0x3b800000
	v_cndmask_b32_e32 v25, v25, v27, vcc_lo
	v_and_b32_e32 v27, 0x80000000, v29
	v_lshlrev_b32_e32 v25, 20, v25
	v_or3_b32 v25, v27, v26, v25
.LBB6_11767:                            ;   in Loop: Header=BB6_11641 Depth=2
	s_or_b32 exec_lo, exec_lo, s40
	v_mul_f32_e32 v26, s29, v25
	v_and_b32_e32 v25, 0x7f800000, v26
	v_cmp_ne_u32_e32 vcc_lo, 0x7f800000, v25
	v_mov_b32_e32 v25, 0x80
	s_and_saveexec_b32 s40, vcc_lo
	s_cbranch_execz .LBB6_11775
; %bb.11768:                            ;   in Loop: Header=BB6_11641 Depth=2
	v_mov_b32_e32 v25, 0
	s_mov_b32 s41, exec_lo
	v_cmpx_ne_u32_e32 0, v26
	s_cbranch_execz .LBB6_11774
; %bb.11769:                            ;   in Loop: Header=BB6_11641 Depth=2
	v_bfe_u32 v25, v26, 23, 8
	v_and_b32_e32 v27, 0x7fffff, v26
	v_sub_nc_u32_e32 v28, 0x78, v25
	v_cmp_gt_u32_e32 vcc_lo, 0x79, v25
	v_or_b32_e32 v29, 0x800000, v27
	v_cndmask_b32_e32 v28, 0, v28, vcc_lo
	v_cmp_eq_u32_e32 vcc_lo, 0, v25
	v_add_nc_u32_e32 v25, 0xffffff89, v25
	v_cndmask_b32_e64 v28, v28, 0x77, vcc_lo
	v_cndmask_b32_e32 v27, v29, v27, vcc_lo
	v_cndmask_b32_e64 v25, v25, 0xffffff8a, vcc_lo
	v_lshl_add_u32 v29, 0x100000, v28, -1
	v_lshrrev_b32_e32 v30, v28, v27
	v_lshlrev_b32_e64 v32, v28, 0x80000
	v_add_nc_u32_e32 v28, v28, v25
	v_and_b32_e32 v27, v29, v27
	v_bfe_u32 v31, v30, 20, 1
	v_cmp_eq_u32_e64 s14, v27, v32
	v_add_nc_u32_e32 v29, -1, v31
	v_cndmask_b32_e64 v27, 0, v29, s14
	v_lshrrev_b32_e32 v29, 23, v30
	s_mov_b32 s14, exec_lo
	v_add_nc_u32_e32 v27, v27, v30
	v_xor_b32_e32 v29, 1, v29
	v_and_b32_e32 v25, 0xfffff, v27
	v_add_nc_u32_e32 v27, v25, v30
                                        ; implicit-def: $vgpr25
	v_cmpx_ne_u32_e64 v28, v29
	s_xor_b32 s14, exec_lo, s14
; %bb.11770:                            ;   in Loop: Header=BB6_11641 Depth=2
	v_cmp_lt_u32_e32 vcc_lo, 0xffffff, v27
	v_sub_nc_u32_e32 v25, v28, v29
	v_cndmask_b32_e64 v28, 0, 1, vcc_lo
	v_add_co_ci_u32_e64 v25, null, 0, v25, vcc_lo
	v_lshrrev_b32_e32 v27, v28, v27
; %bb.11771:                            ;   in Loop: Header=BB6_11641 Depth=2
	s_andn2_saveexec_b32 s14, s14
; %bb.11772:                            ;   in Loop: Header=BB6_11641 Depth=2
	v_bfe_u32 v25, v27, 23, 1
; %bb.11773:                            ;   in Loop: Header=BB6_11641 Depth=2
	s_or_b32 exec_lo, exec_lo, s14
	v_lshrrev_b32_e32 v27, 20, v27
	v_min_i32_e32 v28, 15, v25
	v_cmp_gt_i32_e32 vcc_lo, 16, v25
	v_and_b32_sdwa v26, v26, v81 dst_sel:DWORD dst_unused:UNUSED_PAD src0_sel:BYTE_3 src1_sel:DWORD
	v_lshlrev_b32_e32 v28, 3, v28
	v_cndmask_b32_e32 v27, 7, v27, vcc_lo
	v_and_b32_e32 v28, 0xf8, v28
	v_and_b32_e32 v29, 7, v27
	v_or_b32_e32 v25, v25, v27
	v_or3_b32 v26, v28, v26, v29
	v_cmp_ne_u32_e32 vcc_lo, 0, v25
	v_cndmask_b32_e32 v25, 0, v26, vcc_lo
.LBB6_11774:                            ;   in Loop: Header=BB6_11641 Depth=2
	s_or_b32 exec_lo, exec_lo, s41
.LBB6_11775:                            ;   in Loop: Header=BB6_11641 Depth=2
	s_or_b32 exec_lo, exec_lo, s40
	v_cmp_gt_i16_sdwa s40, v12, v80 src0_sel:BYTE_1 src1_sel:DWORD
	s_mov_b32 s14, 0
	s_and_saveexec_b32 s41, s40
	s_xor_b32 s40, exec_lo, s41
	s_cbranch_execz .LBB6_11889
; %bb.11776:                            ;   in Loop: Header=BB6_11641 Depth=2
	v_cmp_eq_u16_sdwa s42, v12, v81 src0_sel:BYTE_1 src1_sel:DWORD
	s_mov_b32 s14, -1
	s_and_saveexec_b32 s41, s42
; %bb.11777:                            ;   in Loop: Header=BB6_11641 Depth=2
	s_xor_b32 s14, exec_lo, -1
; %bb.11778:                            ;   in Loop: Header=BB6_11641 Depth=2
	s_or_b32 exec_lo, exec_lo, s41
	s_and_b32 s14, s14, exec_lo
	s_or_saveexec_b32 s40, s40
	v_mov_b32_e32 v26, 0x7f800001
	s_xor_b32 exec_lo, exec_lo, s40
	s_cbranch_execnz .LBB6_11890
.LBB6_11779:                            ;   in Loop: Header=BB6_11641 Depth=2
	s_or_b32 exec_lo, exec_lo, s40
	s_and_saveexec_b32 s40, s14
	s_cbranch_execz .LBB6_11781
.LBB6_11780:                            ;   in Loop: Header=BB6_11641 Depth=2
	v_and_b32_sdwa v26, v82, v12 dst_sel:DWORD dst_unused:UNUSED_PAD src0_sel:DWORD src1_sel:BYTE_1
	v_and_b32_e32 v27, 7, v26
	v_bfe_u32 v30, v26, 3, 4
	v_ffbh_u32_e32 v28, v27
	v_cmp_eq_u32_e32 vcc_lo, 0, v30
	v_min_u32_e32 v28, 32, v28
	v_subrev_nc_u32_e32 v29, 28, v28
	v_sub_nc_u32_e32 v28, 29, v28
	v_lshlrev_b32_e32 v26, v29, v26
	v_lshlrev_b32_sdwa v29, v83, v12 dst_sel:DWORD dst_unused:UNUSED_PAD src0_sel:DWORD src1_sel:BYTE_1
	v_cndmask_b32_e32 v28, v30, v28, vcc_lo
	v_and_b32_e32 v26, 7, v26
	v_lshl_add_u32 v28, v28, 23, 0x3b800000
	v_cndmask_b32_e32 v26, v27, v26, vcc_lo
	v_and_b32_e32 v27, 0x80000000, v29
	v_lshlrev_b32_e32 v26, 20, v26
	v_or3_b32 v26, v27, v28, v26
.LBB6_11781:                            ;   in Loop: Header=BB6_11641 Depth=2
	s_or_b32 exec_lo, exec_lo, s40
	v_mul_f32_e32 v27, s29, v26
	v_and_b32_e32 v26, 0x7f800000, v27
	v_cmp_ne_u32_e32 vcc_lo, 0x7f800000, v26
	v_mov_b32_e32 v26, 0x8000
	s_and_saveexec_b32 s40, vcc_lo
	s_cbranch_execz .LBB6_11789
; %bb.11782:                            ;   in Loop: Header=BB6_11641 Depth=2
	v_mov_b32_e32 v26, 0
	s_mov_b32 s41, exec_lo
	v_cmpx_ne_u32_e32 0, v27
	s_cbranch_execz .LBB6_11788
; %bb.11783:                            ;   in Loop: Header=BB6_11641 Depth=2
	v_bfe_u32 v26, v27, 23, 8
	v_and_b32_e32 v28, 0x7fffff, v27
	v_sub_nc_u32_e32 v29, 0x78, v26
	v_cmp_gt_u32_e32 vcc_lo, 0x79, v26
	v_or_b32_e32 v30, 0x800000, v28
	v_cndmask_b32_e32 v29, 0, v29, vcc_lo
	v_cmp_eq_u32_e32 vcc_lo, 0, v26
	v_add_nc_u32_e32 v26, 0xffffff89, v26
	v_cndmask_b32_e64 v29, v29, 0x77, vcc_lo
	v_cndmask_b32_e32 v28, v30, v28, vcc_lo
	v_cndmask_b32_e64 v26, v26, 0xffffff8a, vcc_lo
	v_lshl_add_u32 v30, 0x100000, v29, -1
	v_lshrrev_b32_e32 v31, v29, v28
	v_lshlrev_b32_e64 v33, v29, 0x80000
	v_add_nc_u32_e32 v29, v29, v26
	v_and_b32_e32 v28, v30, v28
	v_bfe_u32 v32, v31, 20, 1
	v_cmp_eq_u32_e64 s14, v28, v33
	v_add_nc_u32_e32 v30, -1, v32
	v_cndmask_b32_e64 v28, 0, v30, s14
	v_lshrrev_b32_e32 v30, 23, v31
	s_mov_b32 s14, exec_lo
	v_add_nc_u32_e32 v28, v28, v31
	v_xor_b32_e32 v30, 1, v30
	v_and_b32_e32 v26, 0xfffff, v28
	v_add_nc_u32_e32 v28, v26, v31
                                        ; implicit-def: $vgpr26
	v_cmpx_ne_u32_e64 v29, v30
	s_xor_b32 s14, exec_lo, s14
; %bb.11784:                            ;   in Loop: Header=BB6_11641 Depth=2
	v_cmp_lt_u32_e32 vcc_lo, 0xffffff, v28
	v_sub_nc_u32_e32 v26, v29, v30
	v_cndmask_b32_e64 v29, 0, 1, vcc_lo
	v_add_co_ci_u32_e64 v26, null, 0, v26, vcc_lo
	v_lshrrev_b32_e32 v28, v29, v28
; %bb.11785:                            ;   in Loop: Header=BB6_11641 Depth=2
	s_andn2_saveexec_b32 s14, s14
; %bb.11786:                            ;   in Loop: Header=BB6_11641 Depth=2
	v_bfe_u32 v26, v28, 23, 1
; %bb.11787:                            ;   in Loop: Header=BB6_11641 Depth=2
	s_or_b32 exec_lo, exec_lo, s14
	v_lshrrev_b32_e32 v28, 20, v28
	v_min_i32_e32 v29, 15, v26
	v_cmp_gt_i32_e32 vcc_lo, 16, v26
	v_and_b32_sdwa v27, v27, v81 dst_sel:DWORD dst_unused:UNUSED_PAD src0_sel:BYTE_3 src1_sel:DWORD
	v_lshlrev_b32_e32 v29, 3, v29
	v_cndmask_b32_e32 v28, 7, v28, vcc_lo
	v_and_b32_e32 v29, 0xf8, v29
	v_and_b32_e32 v30, 7, v28
	v_or_b32_e32 v26, v26, v28
	v_or3_b32 v27, v27, v29, v30
	v_cmp_ne_u32_e32 vcc_lo, 0, v26
	v_lshlrev_b32_e32 v27, 8, v27
	v_cndmask_b32_e32 v26, 0, v27, vcc_lo
.LBB6_11788:                            ;   in Loop: Header=BB6_11641 Depth=2
	s_or_b32 exec_lo, exec_lo, s41
.LBB6_11789:                            ;   in Loop: Header=BB6_11641 Depth=2
	s_or_b32 exec_lo, exec_lo, s40
	v_and_b32_sdwa v28, v12, v86 dst_sel:DWORD dst_unused:UNUSED_PAD src0_sel:WORD_1 src1_sel:DWORD
	s_mov_b32 s14, 0
	s_mov_b32 s40, exec_lo
	v_cmpx_lt_i16_e32 0x7f, v28
	s_xor_b32 s40, exec_lo, s40
	s_cbranch_execz .LBB6_11891
; %bb.11790:                            ;   in Loop: Header=BB6_11641 Depth=2
	s_mov_b32 s14, -1
	s_mov_b32 s41, exec_lo
	v_cmpx_eq_u16_e32 0x80, v28
; %bb.11791:                            ;   in Loop: Header=BB6_11641 Depth=2
	s_xor_b32 s14, exec_lo, -1
; %bb.11792:                            ;   in Loop: Header=BB6_11641 Depth=2
	s_or_b32 exec_lo, exec_lo, s41
	s_and_b32 s14, s14, exec_lo
                                        ; implicit-def: $vgpr28
	s_or_saveexec_b32 s40, s40
	v_mov_b32_e32 v27, 0x7f800001
	s_xor_b32 exec_lo, exec_lo, s40
	s_cbranch_execnz .LBB6_11892
.LBB6_11793:                            ;   in Loop: Header=BB6_11641 Depth=2
	s_or_b32 exec_lo, exec_lo, s40
	s_and_saveexec_b32 s40, s14
	s_cbranch_execz .LBB6_11795
.LBB6_11794:                            ;   in Loop: Header=BB6_11641 Depth=2
	v_bfe_u32 v27, v12, 16, 3
	v_bfe_u32 v30, v12, 19, 4
	v_lshlrev_b32_e32 v31, 8, v12
	v_ffbh_u32_e32 v28, v27
	v_cmp_eq_u32_e32 vcc_lo, 0, v30
	v_min_u32_e32 v28, 32, v28
	v_subrev_nc_u32_e32 v29, 28, v28
	v_sub_nc_u32_e32 v28, 29, v28
	v_lshlrev_b32_sdwa v29, v29, v12 dst_sel:DWORD dst_unused:UNUSED_PAD src0_sel:DWORD src1_sel:WORD_1
	v_cndmask_b32_e32 v28, v30, v28, vcc_lo
	v_and_b32_e32 v29, 7, v29
	v_lshl_add_u32 v28, v28, 23, 0x3b800000
	v_cndmask_b32_e32 v27, v27, v29, vcc_lo
	v_and_b32_e32 v29, 0x80000000, v31
	v_lshlrev_b32_e32 v27, 20, v27
	v_or3_b32 v27, v29, v28, v27
.LBB6_11795:                            ;   in Loop: Header=BB6_11641 Depth=2
	s_or_b32 exec_lo, exec_lo, s40
	v_mul_f32_e32 v28, s29, v27
	v_and_b32_e32 v27, 0x7f800000, v28
	v_cmp_ne_u32_e32 vcc_lo, 0x7f800000, v27
	v_mov_b32_e32 v27, 0x80
	s_and_saveexec_b32 s40, vcc_lo
	s_cbranch_execz .LBB6_11803
; %bb.11796:                            ;   in Loop: Header=BB6_11641 Depth=2
	v_mov_b32_e32 v27, 0
	s_mov_b32 s41, exec_lo
	v_cmpx_ne_u32_e32 0, v28
	s_cbranch_execz .LBB6_11802
; %bb.11797:                            ;   in Loop: Header=BB6_11641 Depth=2
	v_bfe_u32 v27, v28, 23, 8
	v_and_b32_e32 v29, 0x7fffff, v28
	v_sub_nc_u32_e32 v30, 0x78, v27
	v_cmp_gt_u32_e32 vcc_lo, 0x79, v27
	v_or_b32_e32 v31, 0x800000, v29
	v_cndmask_b32_e32 v30, 0, v30, vcc_lo
	v_cmp_eq_u32_e32 vcc_lo, 0, v27
	v_add_nc_u32_e32 v27, 0xffffff89, v27
	v_cndmask_b32_e64 v30, v30, 0x77, vcc_lo
	v_cndmask_b32_e32 v29, v31, v29, vcc_lo
	v_cndmask_b32_e64 v27, v27, 0xffffff8a, vcc_lo
	v_lshl_add_u32 v31, 0x100000, v30, -1
	v_lshrrev_b32_e32 v32, v30, v29
	v_lshlrev_b32_e64 v34, v30, 0x80000
	v_add_nc_u32_e32 v30, v30, v27
	v_and_b32_e32 v29, v31, v29
	v_bfe_u32 v33, v32, 20, 1
	v_cmp_eq_u32_e64 s14, v29, v34
	v_add_nc_u32_e32 v31, -1, v33
	v_cndmask_b32_e64 v29, 0, v31, s14
	v_lshrrev_b32_e32 v31, 23, v32
	s_mov_b32 s14, exec_lo
	v_add_nc_u32_e32 v29, v29, v32
	v_xor_b32_e32 v31, 1, v31
	v_and_b32_e32 v27, 0xfffff, v29
	v_add_nc_u32_e32 v29, v27, v32
                                        ; implicit-def: $vgpr27
	v_cmpx_ne_u32_e64 v30, v31
	s_xor_b32 s14, exec_lo, s14
; %bb.11798:                            ;   in Loop: Header=BB6_11641 Depth=2
	v_cmp_lt_u32_e32 vcc_lo, 0xffffff, v29
	v_sub_nc_u32_e32 v27, v30, v31
	v_cndmask_b32_e64 v30, 0, 1, vcc_lo
	v_add_co_ci_u32_e64 v27, null, 0, v27, vcc_lo
	v_lshrrev_b32_e32 v29, v30, v29
; %bb.11799:                            ;   in Loop: Header=BB6_11641 Depth=2
	s_andn2_saveexec_b32 s14, s14
; %bb.11800:                            ;   in Loop: Header=BB6_11641 Depth=2
	v_bfe_u32 v27, v29, 23, 1
; %bb.11801:                            ;   in Loop: Header=BB6_11641 Depth=2
	s_or_b32 exec_lo, exec_lo, s14
	v_lshrrev_b32_e32 v29, 20, v29
	v_min_i32_e32 v30, 15, v27
	v_cmp_gt_i32_e32 vcc_lo, 16, v27
	v_and_b32_sdwa v28, v28, v81 dst_sel:DWORD dst_unused:UNUSED_PAD src0_sel:BYTE_3 src1_sel:DWORD
	v_lshlrev_b32_e32 v30, 3, v30
	v_cndmask_b32_e32 v29, 7, v29, vcc_lo
	v_and_b32_e32 v30, 0xf8, v30
	v_and_b32_e32 v31, 7, v29
	v_or_b32_e32 v27, v27, v29
	v_or3_b32 v28, v30, v28, v31
	v_cmp_ne_u32_e32 vcc_lo, 0, v27
	v_cndmask_b32_e32 v27, 0, v28, vcc_lo
.LBB6_11802:                            ;   in Loop: Header=BB6_11641 Depth=2
	s_or_b32 exec_lo, exec_lo, s41
.LBB6_11803:                            ;   in Loop: Header=BB6_11641 Depth=2
	s_or_b32 exec_lo, exec_lo, s40
	v_cmp_gt_i16_sdwa s40, v12, v80 src0_sel:BYTE_3 src1_sel:DWORD
	s_mov_b32 s14, 0
	s_and_saveexec_b32 s41, s40
	s_xor_b32 s40, exec_lo, s41
	s_cbranch_execz .LBB6_11893
; %bb.11804:                            ;   in Loop: Header=BB6_11641 Depth=2
	v_cmp_eq_u16_sdwa s42, v12, v81 src0_sel:BYTE_3 src1_sel:DWORD
	s_mov_b32 s14, -1
	s_and_saveexec_b32 s41, s42
; %bb.11805:                            ;   in Loop: Header=BB6_11641 Depth=2
	s_xor_b32 s14, exec_lo, -1
; %bb.11806:                            ;   in Loop: Header=BB6_11641 Depth=2
	s_or_b32 exec_lo, exec_lo, s41
	s_and_b32 s14, s14, exec_lo
	s_or_saveexec_b32 s40, s40
	v_mov_b32_e32 v28, 0x7f800001
	s_xor_b32 exec_lo, exec_lo, s40
	s_cbranch_execnz .LBB6_11894
.LBB6_11807:                            ;   in Loop: Header=BB6_11641 Depth=2
	s_or_b32 exec_lo, exec_lo, s40
	s_and_saveexec_b32 s40, s14
	s_cbranch_execz .LBB6_11809
.LBB6_11808:                            ;   in Loop: Header=BB6_11641 Depth=2
	v_bfe_u32 v28, v12, 24, 3
	v_bfe_u32 v31, v12, 27, 4
	v_ffbh_u32_e32 v29, v28
	v_cmp_eq_u32_e32 vcc_lo, 0, v31
	v_min_u32_e32 v29, 32, v29
	v_subrev_nc_u32_e32 v30, 28, v29
	v_sub_nc_u32_e32 v29, 29, v29
	v_lshlrev_b32_sdwa v30, v30, v12 dst_sel:DWORD dst_unused:UNUSED_PAD src0_sel:DWORD src1_sel:BYTE_3
	v_cndmask_b32_e32 v29, v31, v29, vcc_lo
	v_and_b32_e32 v12, 0x80000000, v12
	v_and_b32_e32 v30, 7, v30
	v_lshl_add_u32 v29, v29, 23, 0x3b800000
	v_cndmask_b32_e32 v28, v28, v30, vcc_lo
	v_lshlrev_b32_e32 v28, 20, v28
	v_or3_b32 v28, v12, v29, v28
.LBB6_11809:                            ;   in Loop: Header=BB6_11641 Depth=2
	s_or_b32 exec_lo, exec_lo, s40
	v_mul_f32_e32 v28, s29, v28
	v_and_b32_e32 v12, 0x7f800000, v28
	v_cmp_ne_u32_e32 vcc_lo, 0x7f800000, v12
	v_mov_b32_e32 v12, 0x8000
	s_and_saveexec_b32 s40, vcc_lo
	s_cbranch_execz .LBB6_11817
; %bb.11810:                            ;   in Loop: Header=BB6_11641 Depth=2
	v_mov_b32_e32 v12, 0
	s_mov_b32 s41, exec_lo
	v_cmpx_ne_u32_e32 0, v28
	s_cbranch_execz .LBB6_11816
; %bb.11811:                            ;   in Loop: Header=BB6_11641 Depth=2
	v_bfe_u32 v12, v28, 23, 8
	v_and_b32_e32 v29, 0x7fffff, v28
	v_sub_nc_u32_e32 v30, 0x78, v12
	v_cmp_gt_u32_e32 vcc_lo, 0x79, v12
	v_or_b32_e32 v31, 0x800000, v29
	v_cndmask_b32_e32 v30, 0, v30, vcc_lo
	v_cmp_eq_u32_e32 vcc_lo, 0, v12
	v_add_nc_u32_e32 v12, 0xffffff89, v12
	v_cndmask_b32_e64 v30, v30, 0x77, vcc_lo
	v_cndmask_b32_e32 v29, v31, v29, vcc_lo
	v_cndmask_b32_e64 v12, v12, 0xffffff8a, vcc_lo
	v_lshl_add_u32 v31, 0x100000, v30, -1
	v_lshrrev_b32_e32 v32, v30, v29
	v_lshlrev_b32_e64 v34, v30, 0x80000
	v_add_nc_u32_e32 v30, v30, v12
	v_and_b32_e32 v29, v31, v29
	v_bfe_u32 v33, v32, 20, 1
	v_cmp_eq_u32_e64 s14, v29, v34
	v_add_nc_u32_e32 v31, -1, v33
	v_cndmask_b32_e64 v29, 0, v31, s14
	v_lshrrev_b32_e32 v31, 23, v32
	s_mov_b32 s14, exec_lo
	v_add_nc_u32_e32 v29, v29, v32
	v_xor_b32_e32 v31, 1, v31
	v_and_b32_e32 v12, 0xfffff, v29
	v_add_nc_u32_e32 v29, v12, v32
                                        ; implicit-def: $vgpr12
	v_cmpx_ne_u32_e64 v30, v31
	s_xor_b32 s14, exec_lo, s14
; %bb.11812:                            ;   in Loop: Header=BB6_11641 Depth=2
	v_cmp_lt_u32_e32 vcc_lo, 0xffffff, v29
	v_sub_nc_u32_e32 v12, v30, v31
	v_cndmask_b32_e64 v30, 0, 1, vcc_lo
	v_add_co_ci_u32_e64 v12, null, 0, v12, vcc_lo
	v_lshrrev_b32_e32 v29, v30, v29
; %bb.11813:                            ;   in Loop: Header=BB6_11641 Depth=2
	s_andn2_saveexec_b32 s14, s14
; %bb.11814:                            ;   in Loop: Header=BB6_11641 Depth=2
	v_bfe_u32 v12, v29, 23, 1
; %bb.11815:                            ;   in Loop: Header=BB6_11641 Depth=2
	s_or_b32 exec_lo, exec_lo, s14
	v_lshrrev_b32_e32 v29, 20, v29
	v_min_i32_e32 v30, 15, v12
	v_cmp_gt_i32_e32 vcc_lo, 16, v12
	v_and_b32_sdwa v28, v28, v81 dst_sel:DWORD dst_unused:UNUSED_PAD src0_sel:BYTE_3 src1_sel:DWORD
	v_lshlrev_b32_e32 v30, 3, v30
	v_cndmask_b32_e32 v29, 7, v29, vcc_lo
	v_and_b32_e32 v30, 0xf8, v30
	v_and_b32_e32 v31, 7, v29
	v_or_b32_e32 v12, v12, v29
	v_or3_b32 v28, v28, v30, v31
	v_cmp_ne_u32_e32 vcc_lo, 0, v12
	v_lshlrev_b32_e32 v28, 8, v28
	v_cndmask_b32_e32 v12, 0, v28, vcc_lo
.LBB6_11816:                            ;   in Loop: Header=BB6_11641 Depth=2
	s_or_b32 exec_lo, exec_lo, s41
.LBB6_11817:                            ;   in Loop: Header=BB6_11641 Depth=2
	s_or_b32 exec_lo, exec_lo, s40
	v_cmp_gt_i16_sdwa s40, v13, v80 src0_sel:BYTE_0 src1_sel:DWORD
	s_mov_b32 s14, 0
	s_and_saveexec_b32 s41, s40
	s_xor_b32 s40, exec_lo, s41
	s_cbranch_execz .LBB6_11895
; %bb.11818:                            ;   in Loop: Header=BB6_11641 Depth=2
	v_cmp_eq_u16_sdwa s42, v13, v81 src0_sel:BYTE_0 src1_sel:DWORD
	s_mov_b32 s14, -1
	s_and_saveexec_b32 s41, s42
; %bb.11819:                            ;   in Loop: Header=BB6_11641 Depth=2
	s_xor_b32 s14, exec_lo, -1
; %bb.11820:                            ;   in Loop: Header=BB6_11641 Depth=2
	s_or_b32 exec_lo, exec_lo, s41
	s_and_b32 s14, s14, exec_lo
	s_or_saveexec_b32 s40, s40
	v_mov_b32_e32 v28, 0x7f800001
	s_xor_b32 exec_lo, exec_lo, s40
	s_cbranch_execnz .LBB6_11896
.LBB6_11821:                            ;   in Loop: Header=BB6_11641 Depth=2
	s_or_b32 exec_lo, exec_lo, s40
	s_and_saveexec_b32 s40, s14
	s_cbranch_execz .LBB6_11823
.LBB6_11822:                            ;   in Loop: Header=BB6_11641 Depth=2
	v_and_b32_e32 v28, 7, v13
	v_bfe_u32 v31, v13, 3, 4
	v_lshlrev_b32_e32 v32, 24, v13
	v_ffbh_u32_e32 v29, v28
	v_cmp_eq_u32_e32 vcc_lo, 0, v31
	v_min_u32_e32 v29, 32, v29
	v_subrev_nc_u32_e32 v30, 28, v29
	v_sub_nc_u32_e32 v29, 29, v29
	v_lshlrev_b32_e32 v30, v30, v13
	v_cndmask_b32_e32 v29, v31, v29, vcc_lo
	v_and_b32_e32 v30, 7, v30
	v_lshl_add_u32 v29, v29, 23, 0x3b800000
	v_cndmask_b32_e32 v28, v28, v30, vcc_lo
	v_and_b32_e32 v30, 0x80000000, v32
	v_lshlrev_b32_e32 v28, 20, v28
	v_or3_b32 v28, v30, v29, v28
.LBB6_11823:                            ;   in Loop: Header=BB6_11641 Depth=2
	s_or_b32 exec_lo, exec_lo, s40
	v_mul_f32_e32 v29, s29, v28
	v_and_b32_e32 v28, 0x7f800000, v29
	v_cmp_ne_u32_e32 vcc_lo, 0x7f800000, v28
	v_mov_b32_e32 v28, 0x80
	s_and_saveexec_b32 s40, vcc_lo
	s_cbranch_execz .LBB6_11831
; %bb.11824:                            ;   in Loop: Header=BB6_11641 Depth=2
	v_mov_b32_e32 v28, 0
	s_mov_b32 s41, exec_lo
	v_cmpx_ne_u32_e32 0, v29
	s_cbranch_execz .LBB6_11830
; %bb.11825:                            ;   in Loop: Header=BB6_11641 Depth=2
	v_bfe_u32 v28, v29, 23, 8
	v_and_b32_e32 v30, 0x7fffff, v29
	v_sub_nc_u32_e32 v31, 0x78, v28
	v_cmp_gt_u32_e32 vcc_lo, 0x79, v28
	v_or_b32_e32 v32, 0x800000, v30
	v_cndmask_b32_e32 v31, 0, v31, vcc_lo
	v_cmp_eq_u32_e32 vcc_lo, 0, v28
	v_add_nc_u32_e32 v28, 0xffffff89, v28
	v_cndmask_b32_e64 v31, v31, 0x77, vcc_lo
	v_cndmask_b32_e32 v30, v32, v30, vcc_lo
	v_cndmask_b32_e64 v28, v28, 0xffffff8a, vcc_lo
	v_lshl_add_u32 v32, 0x100000, v31, -1
	v_lshrrev_b32_e32 v33, v31, v30
	v_lshlrev_b32_e64 v35, v31, 0x80000
	v_add_nc_u32_e32 v31, v31, v28
	v_and_b32_e32 v30, v32, v30
	v_bfe_u32 v34, v33, 20, 1
	v_cmp_eq_u32_e64 s14, v30, v35
	v_add_nc_u32_e32 v32, -1, v34
	v_cndmask_b32_e64 v30, 0, v32, s14
	v_lshrrev_b32_e32 v32, 23, v33
	s_mov_b32 s14, exec_lo
	v_add_nc_u32_e32 v30, v30, v33
	v_xor_b32_e32 v32, 1, v32
	v_and_b32_e32 v28, 0xfffff, v30
	v_add_nc_u32_e32 v30, v28, v33
                                        ; implicit-def: $vgpr28
	v_cmpx_ne_u32_e64 v31, v32
	s_xor_b32 s14, exec_lo, s14
; %bb.11826:                            ;   in Loop: Header=BB6_11641 Depth=2
	v_cmp_lt_u32_e32 vcc_lo, 0xffffff, v30
	v_sub_nc_u32_e32 v28, v31, v32
	v_cndmask_b32_e64 v31, 0, 1, vcc_lo
	v_add_co_ci_u32_e64 v28, null, 0, v28, vcc_lo
	v_lshrrev_b32_e32 v30, v31, v30
; %bb.11827:                            ;   in Loop: Header=BB6_11641 Depth=2
	s_andn2_saveexec_b32 s14, s14
; %bb.11828:                            ;   in Loop: Header=BB6_11641 Depth=2
	v_bfe_u32 v28, v30, 23, 1
; %bb.11829:                            ;   in Loop: Header=BB6_11641 Depth=2
	s_or_b32 exec_lo, exec_lo, s14
	v_lshrrev_b32_e32 v30, 20, v30
	v_min_i32_e32 v31, 15, v28
	v_cmp_gt_i32_e32 vcc_lo, 16, v28
	v_and_b32_sdwa v29, v29, v81 dst_sel:DWORD dst_unused:UNUSED_PAD src0_sel:BYTE_3 src1_sel:DWORD
	v_lshlrev_b32_e32 v31, 3, v31
	v_cndmask_b32_e32 v30, 7, v30, vcc_lo
	v_and_b32_e32 v31, 0xf8, v31
	v_and_b32_e32 v32, 7, v30
	v_or_b32_e32 v28, v28, v30
	v_or3_b32 v29, v31, v29, v32
	v_cmp_ne_u32_e32 vcc_lo, 0, v28
	v_cndmask_b32_e32 v28, 0, v29, vcc_lo
.LBB6_11830:                            ;   in Loop: Header=BB6_11641 Depth=2
	s_or_b32 exec_lo, exec_lo, s41
.LBB6_11831:                            ;   in Loop: Header=BB6_11641 Depth=2
	s_or_b32 exec_lo, exec_lo, s40
	v_cmp_gt_i16_sdwa s40, v13, v80 src0_sel:BYTE_1 src1_sel:DWORD
	s_mov_b32 s14, 0
	s_and_saveexec_b32 s41, s40
	s_xor_b32 s40, exec_lo, s41
	s_cbranch_execz .LBB6_11897
; %bb.11832:                            ;   in Loop: Header=BB6_11641 Depth=2
	v_cmp_eq_u16_sdwa s42, v13, v81 src0_sel:BYTE_1 src1_sel:DWORD
	s_mov_b32 s14, -1
	s_and_saveexec_b32 s41, s42
; %bb.11833:                            ;   in Loop: Header=BB6_11641 Depth=2
	s_xor_b32 s14, exec_lo, -1
; %bb.11834:                            ;   in Loop: Header=BB6_11641 Depth=2
	s_or_b32 exec_lo, exec_lo, s41
	s_and_b32 s14, s14, exec_lo
	s_or_saveexec_b32 s40, s40
	v_mov_b32_e32 v29, 0x7f800001
	s_xor_b32 exec_lo, exec_lo, s40
	s_cbranch_execnz .LBB6_11898
.LBB6_11835:                            ;   in Loop: Header=BB6_11641 Depth=2
	s_or_b32 exec_lo, exec_lo, s40
	s_and_saveexec_b32 s40, s14
	s_cbranch_execz .LBB6_11837
.LBB6_11836:                            ;   in Loop: Header=BB6_11641 Depth=2
	v_and_b32_sdwa v29, v82, v13 dst_sel:DWORD dst_unused:UNUSED_PAD src0_sel:DWORD src1_sel:BYTE_1
	v_and_b32_e32 v30, 7, v29
	v_bfe_u32 v33, v29, 3, 4
	v_ffbh_u32_e32 v31, v30
	v_cmp_eq_u32_e32 vcc_lo, 0, v33
	v_min_u32_e32 v31, 32, v31
	v_subrev_nc_u32_e32 v32, 28, v31
	v_sub_nc_u32_e32 v31, 29, v31
	v_lshlrev_b32_e32 v29, v32, v29
	v_lshlrev_b32_sdwa v32, v83, v13 dst_sel:DWORD dst_unused:UNUSED_PAD src0_sel:DWORD src1_sel:BYTE_1
	v_cndmask_b32_e32 v31, v33, v31, vcc_lo
	v_and_b32_e32 v29, 7, v29
	v_lshl_add_u32 v31, v31, 23, 0x3b800000
	v_cndmask_b32_e32 v29, v30, v29, vcc_lo
	v_and_b32_e32 v30, 0x80000000, v32
	v_lshlrev_b32_e32 v29, 20, v29
	v_or3_b32 v29, v30, v31, v29
.LBB6_11837:                            ;   in Loop: Header=BB6_11641 Depth=2
	s_or_b32 exec_lo, exec_lo, s40
	v_mul_f32_e32 v30, s29, v29
	v_and_b32_e32 v29, 0x7f800000, v30
	v_cmp_ne_u32_e32 vcc_lo, 0x7f800000, v29
	v_mov_b32_e32 v29, 0x8000
	s_and_saveexec_b32 s40, vcc_lo
	s_cbranch_execz .LBB6_11845
; %bb.11838:                            ;   in Loop: Header=BB6_11641 Depth=2
	v_mov_b32_e32 v29, 0
	s_mov_b32 s41, exec_lo
	v_cmpx_ne_u32_e32 0, v30
	s_cbranch_execz .LBB6_11844
; %bb.11839:                            ;   in Loop: Header=BB6_11641 Depth=2
	v_bfe_u32 v29, v30, 23, 8
	v_and_b32_e32 v31, 0x7fffff, v30
	v_sub_nc_u32_e32 v32, 0x78, v29
	v_cmp_gt_u32_e32 vcc_lo, 0x79, v29
	v_or_b32_e32 v33, 0x800000, v31
	v_cndmask_b32_e32 v32, 0, v32, vcc_lo
	v_cmp_eq_u32_e32 vcc_lo, 0, v29
	v_add_nc_u32_e32 v29, 0xffffff89, v29
	v_cndmask_b32_e64 v32, v32, 0x77, vcc_lo
	v_cndmask_b32_e32 v31, v33, v31, vcc_lo
	v_cndmask_b32_e64 v29, v29, 0xffffff8a, vcc_lo
	v_lshl_add_u32 v33, 0x100000, v32, -1
	v_lshrrev_b32_e32 v34, v32, v31
	v_lshlrev_b32_e64 v36, v32, 0x80000
	v_add_nc_u32_e32 v32, v32, v29
	v_and_b32_e32 v31, v33, v31
	v_bfe_u32 v35, v34, 20, 1
	v_cmp_eq_u32_e64 s14, v31, v36
	v_add_nc_u32_e32 v33, -1, v35
	v_cndmask_b32_e64 v31, 0, v33, s14
	v_lshrrev_b32_e32 v33, 23, v34
	s_mov_b32 s14, exec_lo
	v_add_nc_u32_e32 v31, v31, v34
	v_xor_b32_e32 v33, 1, v33
	v_and_b32_e32 v29, 0xfffff, v31
	v_add_nc_u32_e32 v31, v29, v34
                                        ; implicit-def: $vgpr29
	v_cmpx_ne_u32_e64 v32, v33
	s_xor_b32 s14, exec_lo, s14
; %bb.11840:                            ;   in Loop: Header=BB6_11641 Depth=2
	v_cmp_lt_u32_e32 vcc_lo, 0xffffff, v31
	v_sub_nc_u32_e32 v29, v32, v33
	v_cndmask_b32_e64 v32, 0, 1, vcc_lo
	v_add_co_ci_u32_e64 v29, null, 0, v29, vcc_lo
	v_lshrrev_b32_e32 v31, v32, v31
; %bb.11841:                            ;   in Loop: Header=BB6_11641 Depth=2
	s_andn2_saveexec_b32 s14, s14
; %bb.11842:                            ;   in Loop: Header=BB6_11641 Depth=2
	v_bfe_u32 v29, v31, 23, 1
; %bb.11843:                            ;   in Loop: Header=BB6_11641 Depth=2
	s_or_b32 exec_lo, exec_lo, s14
	v_lshrrev_b32_e32 v31, 20, v31
	v_min_i32_e32 v32, 15, v29
	v_cmp_gt_i32_e32 vcc_lo, 16, v29
	v_and_b32_sdwa v30, v30, v81 dst_sel:DWORD dst_unused:UNUSED_PAD src0_sel:BYTE_3 src1_sel:DWORD
	v_lshlrev_b32_e32 v32, 3, v32
	v_cndmask_b32_e32 v31, 7, v31, vcc_lo
	v_and_b32_e32 v32, 0xf8, v32
	v_and_b32_e32 v33, 7, v31
	v_or_b32_e32 v29, v29, v31
	v_or3_b32 v30, v30, v32, v33
	v_cmp_ne_u32_e32 vcc_lo, 0, v29
	v_lshlrev_b32_e32 v30, 8, v30
	v_cndmask_b32_e32 v29, 0, v30, vcc_lo
.LBB6_11844:                            ;   in Loop: Header=BB6_11641 Depth=2
	s_or_b32 exec_lo, exec_lo, s41
.LBB6_11845:                            ;   in Loop: Header=BB6_11641 Depth=2
	s_or_b32 exec_lo, exec_lo, s40
	v_and_b32_sdwa v31, v13, v86 dst_sel:DWORD dst_unused:UNUSED_PAD src0_sel:WORD_1 src1_sel:DWORD
	s_mov_b32 s14, 0
	s_mov_b32 s40, exec_lo
	v_cmpx_lt_i16_e32 0x7f, v31
	s_xor_b32 s40, exec_lo, s40
	s_cbranch_execz .LBB6_11899
; %bb.11846:                            ;   in Loop: Header=BB6_11641 Depth=2
	s_mov_b32 s14, -1
	s_mov_b32 s41, exec_lo
	v_cmpx_eq_u16_e32 0x80, v31
; %bb.11847:                            ;   in Loop: Header=BB6_11641 Depth=2
	s_xor_b32 s14, exec_lo, -1
; %bb.11848:                            ;   in Loop: Header=BB6_11641 Depth=2
	s_or_b32 exec_lo, exec_lo, s41
	s_and_b32 s14, s14, exec_lo
                                        ; implicit-def: $vgpr31
	s_or_saveexec_b32 s40, s40
	v_mov_b32_e32 v30, 0x7f800001
	s_xor_b32 exec_lo, exec_lo, s40
	s_cbranch_execnz .LBB6_11900
.LBB6_11849:                            ;   in Loop: Header=BB6_11641 Depth=2
	s_or_b32 exec_lo, exec_lo, s40
	s_and_saveexec_b32 s40, s14
	s_cbranch_execz .LBB6_11851
.LBB6_11850:                            ;   in Loop: Header=BB6_11641 Depth=2
	v_bfe_u32 v30, v13, 16, 3
	v_bfe_u32 v33, v13, 19, 4
	v_lshlrev_b32_e32 v34, 8, v13
	v_ffbh_u32_e32 v31, v30
	v_cmp_eq_u32_e32 vcc_lo, 0, v33
	v_min_u32_e32 v31, 32, v31
	v_subrev_nc_u32_e32 v32, 28, v31
	v_sub_nc_u32_e32 v31, 29, v31
	v_lshlrev_b32_sdwa v32, v32, v13 dst_sel:DWORD dst_unused:UNUSED_PAD src0_sel:DWORD src1_sel:WORD_1
	v_cndmask_b32_e32 v31, v33, v31, vcc_lo
	v_and_b32_e32 v32, 7, v32
	v_lshl_add_u32 v31, v31, 23, 0x3b800000
	v_cndmask_b32_e32 v30, v30, v32, vcc_lo
	v_and_b32_e32 v32, 0x80000000, v34
	v_lshlrev_b32_e32 v30, 20, v30
	v_or3_b32 v30, v32, v31, v30
.LBB6_11851:                            ;   in Loop: Header=BB6_11641 Depth=2
	s_or_b32 exec_lo, exec_lo, s40
	v_mul_f32_e32 v31, s29, v30
	v_and_b32_e32 v30, 0x7f800000, v31
	v_cmp_ne_u32_e32 vcc_lo, 0x7f800000, v30
	v_mov_b32_e32 v30, 0x80
	s_and_saveexec_b32 s40, vcc_lo
	s_cbranch_execz .LBB6_11859
; %bb.11852:                            ;   in Loop: Header=BB6_11641 Depth=2
	v_mov_b32_e32 v30, 0
	s_mov_b32 s41, exec_lo
	v_cmpx_ne_u32_e32 0, v31
	s_cbranch_execz .LBB6_11858
; %bb.11853:                            ;   in Loop: Header=BB6_11641 Depth=2
	v_bfe_u32 v30, v31, 23, 8
	v_and_b32_e32 v32, 0x7fffff, v31
	v_sub_nc_u32_e32 v33, 0x78, v30
	v_cmp_gt_u32_e32 vcc_lo, 0x79, v30
	v_or_b32_e32 v34, 0x800000, v32
	v_cndmask_b32_e32 v33, 0, v33, vcc_lo
	v_cmp_eq_u32_e32 vcc_lo, 0, v30
	v_add_nc_u32_e32 v30, 0xffffff89, v30
	v_cndmask_b32_e64 v33, v33, 0x77, vcc_lo
	v_cndmask_b32_e32 v32, v34, v32, vcc_lo
	v_cndmask_b32_e64 v30, v30, 0xffffff8a, vcc_lo
	v_lshl_add_u32 v34, 0x100000, v33, -1
	v_lshrrev_b32_e32 v35, v33, v32
	v_lshlrev_b32_e64 v37, v33, 0x80000
	v_add_nc_u32_e32 v33, v33, v30
	v_and_b32_e32 v32, v34, v32
	v_bfe_u32 v36, v35, 20, 1
	v_cmp_eq_u32_e64 s14, v32, v37
	v_add_nc_u32_e32 v34, -1, v36
	v_cndmask_b32_e64 v32, 0, v34, s14
	v_lshrrev_b32_e32 v34, 23, v35
	s_mov_b32 s14, exec_lo
	v_add_nc_u32_e32 v32, v32, v35
	v_xor_b32_e32 v34, 1, v34
	v_and_b32_e32 v30, 0xfffff, v32
	v_add_nc_u32_e32 v32, v30, v35
                                        ; implicit-def: $vgpr30
	v_cmpx_ne_u32_e64 v33, v34
	s_xor_b32 s14, exec_lo, s14
; %bb.11854:                            ;   in Loop: Header=BB6_11641 Depth=2
	v_cmp_lt_u32_e32 vcc_lo, 0xffffff, v32
	v_sub_nc_u32_e32 v30, v33, v34
	v_cndmask_b32_e64 v33, 0, 1, vcc_lo
	v_add_co_ci_u32_e64 v30, null, 0, v30, vcc_lo
	v_lshrrev_b32_e32 v32, v33, v32
; %bb.11855:                            ;   in Loop: Header=BB6_11641 Depth=2
	s_andn2_saveexec_b32 s14, s14
; %bb.11856:                            ;   in Loop: Header=BB6_11641 Depth=2
	v_bfe_u32 v30, v32, 23, 1
; %bb.11857:                            ;   in Loop: Header=BB6_11641 Depth=2
	s_or_b32 exec_lo, exec_lo, s14
	v_lshrrev_b32_e32 v32, 20, v32
	v_min_i32_e32 v33, 15, v30
	v_cmp_gt_i32_e32 vcc_lo, 16, v30
	v_and_b32_sdwa v31, v31, v81 dst_sel:DWORD dst_unused:UNUSED_PAD src0_sel:BYTE_3 src1_sel:DWORD
	v_lshlrev_b32_e32 v33, 3, v33
	v_cndmask_b32_e32 v32, 7, v32, vcc_lo
	v_and_b32_e32 v33, 0xf8, v33
	v_and_b32_e32 v34, 7, v32
	v_or_b32_e32 v30, v30, v32
	v_or3_b32 v31, v33, v31, v34
	v_cmp_ne_u32_e32 vcc_lo, 0, v30
	v_cndmask_b32_e32 v30, 0, v31, vcc_lo
.LBB6_11858:                            ;   in Loop: Header=BB6_11641 Depth=2
	s_or_b32 exec_lo, exec_lo, s41
.LBB6_11859:                            ;   in Loop: Header=BB6_11641 Depth=2
	s_or_b32 exec_lo, exec_lo, s40
	v_cmp_gt_i16_sdwa s40, v13, v80 src0_sel:BYTE_3 src1_sel:DWORD
	s_mov_b32 s14, 0
	s_and_saveexec_b32 s41, s40
	s_xor_b32 s40, exec_lo, s41
	s_cbranch_execz .LBB6_11901
; %bb.11860:                            ;   in Loop: Header=BB6_11641 Depth=2
	v_cmp_eq_u16_sdwa s42, v13, v81 src0_sel:BYTE_3 src1_sel:DWORD
	s_mov_b32 s14, -1
	s_and_saveexec_b32 s41, s42
; %bb.11861:                            ;   in Loop: Header=BB6_11641 Depth=2
	s_xor_b32 s14, exec_lo, -1
; %bb.11862:                            ;   in Loop: Header=BB6_11641 Depth=2
	s_or_b32 exec_lo, exec_lo, s41
	s_and_b32 s14, s14, exec_lo
	s_or_saveexec_b32 s40, s40
	v_mov_b32_e32 v31, 0x7f800001
	s_xor_b32 exec_lo, exec_lo, s40
	s_cbranch_execnz .LBB6_11902
.LBB6_11863:                            ;   in Loop: Header=BB6_11641 Depth=2
	s_or_b32 exec_lo, exec_lo, s40
	s_and_saveexec_b32 s40, s14
	s_cbranch_execz .LBB6_11865
.LBB6_11864:                            ;   in Loop: Header=BB6_11641 Depth=2
	v_bfe_u32 v31, v13, 24, 3
	v_bfe_u32 v34, v13, 27, 4
	v_ffbh_u32_e32 v32, v31
	v_cmp_eq_u32_e32 vcc_lo, 0, v34
	v_min_u32_e32 v32, 32, v32
	v_subrev_nc_u32_e32 v33, 28, v32
	v_sub_nc_u32_e32 v32, 29, v32
	v_lshlrev_b32_sdwa v33, v33, v13 dst_sel:DWORD dst_unused:UNUSED_PAD src0_sel:DWORD src1_sel:BYTE_3
	v_cndmask_b32_e32 v32, v34, v32, vcc_lo
	v_and_b32_e32 v13, 0x80000000, v13
	v_and_b32_e32 v33, 7, v33
	v_lshl_add_u32 v32, v32, 23, 0x3b800000
	v_cndmask_b32_e32 v31, v31, v33, vcc_lo
	v_lshlrev_b32_e32 v31, 20, v31
	v_or3_b32 v31, v13, v32, v31
.LBB6_11865:                            ;   in Loop: Header=BB6_11641 Depth=2
	s_or_b32 exec_lo, exec_lo, s40
	v_mul_f32_e32 v13, s29, v31
	v_and_b32_e32 v31, 0x7f800000, v13
	v_cmp_ne_u32_e32 vcc_lo, 0x7f800000, v31
	v_mov_b32_e32 v31, 0x8000
	s_and_saveexec_b32 s29, vcc_lo
	s_cbranch_execz .LBB6_11640
; %bb.11866:                            ;   in Loop: Header=BB6_11641 Depth=2
	v_mov_b32_e32 v31, 0
	s_mov_b32 s40, exec_lo
	v_cmpx_ne_u32_e32 0, v13
	s_cbranch_execz .LBB6_11639
; %bb.11867:                            ;   in Loop: Header=BB6_11641 Depth=2
	v_bfe_u32 v31, v13, 23, 8
	v_and_b32_e32 v32, 0x7fffff, v13
	v_sub_nc_u32_e32 v33, 0x78, v31
	v_cmp_gt_u32_e32 vcc_lo, 0x79, v31
	v_or_b32_e32 v34, 0x800000, v32
	v_cndmask_b32_e32 v33, 0, v33, vcc_lo
	v_cmp_eq_u32_e32 vcc_lo, 0, v31
	v_add_nc_u32_e32 v31, 0xffffff89, v31
	v_cndmask_b32_e64 v33, v33, 0x77, vcc_lo
	v_cndmask_b32_e32 v32, v34, v32, vcc_lo
	v_cndmask_b32_e64 v31, v31, 0xffffff8a, vcc_lo
	v_lshl_add_u32 v34, 0x100000, v33, -1
	v_lshrrev_b32_e32 v35, v33, v32
	v_lshlrev_b32_e64 v37, v33, 0x80000
	v_add_nc_u32_e32 v33, v33, v31
	v_and_b32_e32 v32, v34, v32
	v_bfe_u32 v36, v35, 20, 1
	v_cmp_eq_u32_e64 s14, v32, v37
	v_add_nc_u32_e32 v34, -1, v36
	v_cndmask_b32_e64 v32, 0, v34, s14
	v_lshrrev_b32_e32 v34, 23, v35
	s_mov_b32 s14, exec_lo
	v_add_nc_u32_e32 v32, v32, v35
	v_xor_b32_e32 v34, 1, v34
	v_and_b32_e32 v31, 0xfffff, v32
	v_add_nc_u32_e32 v32, v31, v35
                                        ; implicit-def: $vgpr31
	v_cmpx_ne_u32_e64 v33, v34
	s_xor_b32 s14, exec_lo, s14
; %bb.11868:                            ;   in Loop: Header=BB6_11641 Depth=2
	v_cmp_lt_u32_e32 vcc_lo, 0xffffff, v32
	v_sub_nc_u32_e32 v31, v33, v34
	v_cndmask_b32_e64 v33, 0, 1, vcc_lo
	v_add_co_ci_u32_e64 v31, null, 0, v31, vcc_lo
	v_lshrrev_b32_e32 v32, v33, v32
; %bb.11869:                            ;   in Loop: Header=BB6_11641 Depth=2
	s_andn2_saveexec_b32 s14, s14
	s_cbranch_execz .LBB6_11638
; %bb.11870:                            ;   in Loop: Header=BB6_11641 Depth=2
	v_bfe_u32 v31, v32, 23, 1
	s_branch .LBB6_11638
.LBB6_11871:                            ;   in Loop: Header=BB6_11641 Depth=2
	s_or_saveexec_b32 s40, s40
	v_mov_b32_e32 v6, 0x7f800001
	s_xor_b32 exec_lo, exec_lo, s40
	s_cbranch_execz .LBB6_11653
.LBB6_11872:                            ;   in Loop: Header=BB6_11641 Depth=2
	v_cmp_ne_u16_sdwa s41, v10, v15 src0_sel:BYTE_0 src1_sel:DWORD
	v_mov_b32_e32 v6, 0
	s_andn2_b32 s14, s14, exec_lo
	s_and_b32 s41, s41, exec_lo
	s_or_b32 s14, s14, s41
	s_or_b32 exec_lo, exec_lo, s40
	s_and_saveexec_b32 s40, s14
	s_cbranch_execnz .LBB6_11654
	s_branch .LBB6_11655
.LBB6_11873:                            ;   in Loop: Header=BB6_11641 Depth=2
	s_or_saveexec_b32 s40, s40
	v_mov_b32_e32 v7, 0x7f800001
	s_xor_b32 exec_lo, exec_lo, s40
	s_cbranch_execz .LBB6_11667
.LBB6_11874:                            ;   in Loop: Header=BB6_11641 Depth=2
	v_cmp_ne_u16_sdwa s41, v10, v15 src0_sel:BYTE_1 src1_sel:DWORD
	v_mov_b32_e32 v7, 0
	s_andn2_b32 s14, s14, exec_lo
	s_and_b32 s41, s41, exec_lo
	s_or_b32 s14, s14, s41
	s_or_b32 exec_lo, exec_lo, s40
	s_and_saveexec_b32 s40, s14
	s_cbranch_execnz .LBB6_11668
	s_branch .LBB6_11669
.LBB6_11875:                            ;   in Loop: Header=BB6_11641 Depth=2
	s_or_saveexec_b32 s40, s40
	v_mov_b32_e32 v8, 0x7f800001
	s_xor_b32 exec_lo, exec_lo, s40
	s_cbranch_execz .LBB6_11681
.LBB6_11876:                            ;   in Loop: Header=BB6_11641 Depth=2
	v_cmp_ne_u16_e32 vcc_lo, 0, v9
	v_mov_b32_e32 v8, 0
	s_andn2_b32 s14, s14, exec_lo
	s_and_b32 s41, vcc_lo, exec_lo
	s_or_b32 s14, s14, s41
	s_or_b32 exec_lo, exec_lo, s40
	s_and_saveexec_b32 s40, s14
	s_cbranch_execnz .LBB6_11682
	s_branch .LBB6_11683
.LBB6_11877:                            ;   in Loop: Header=BB6_11641 Depth=2
	s_or_saveexec_b32 s40, s40
	v_mov_b32_e32 v9, 0x7f800001
	s_xor_b32 exec_lo, exec_lo, s40
	s_cbranch_execz .LBB6_11695
.LBB6_11878:                            ;   in Loop: Header=BB6_11641 Depth=2
	v_cmp_ne_u16_sdwa s41, v10, v15 src0_sel:BYTE_3 src1_sel:DWORD
	v_mov_b32_e32 v9, 0
	s_andn2_b32 s14, s14, exec_lo
	s_and_b32 s41, s41, exec_lo
	s_or_b32 s14, s14, s41
	s_or_b32 exec_lo, exec_lo, s40
	s_and_saveexec_b32 s40, s14
	s_cbranch_execnz .LBB6_11696
	s_branch .LBB6_11697
.LBB6_11879:                            ;   in Loop: Header=BB6_11641 Depth=2
	s_or_saveexec_b32 s40, s40
	v_mov_b32_e32 v10, 0x7f800001
	s_xor_b32 exec_lo, exec_lo, s40
	s_cbranch_execz .LBB6_11709
.LBB6_11880:                            ;   in Loop: Header=BB6_11641 Depth=2
	v_cmp_ne_u16_sdwa s41, v11, v15 src0_sel:BYTE_0 src1_sel:DWORD
	v_mov_b32_e32 v10, 0
	s_andn2_b32 s14, s14, exec_lo
	s_and_b32 s41, s41, exec_lo
	s_or_b32 s14, s14, s41
	s_or_b32 exec_lo, exec_lo, s40
	s_and_saveexec_b32 s40, s14
	s_cbranch_execnz .LBB6_11710
	s_branch .LBB6_11711
.LBB6_11881:                            ;   in Loop: Header=BB6_11641 Depth=2
	s_or_saveexec_b32 s40, s40
	v_mov_b32_e32 v23, 0x7f800001
	s_xor_b32 exec_lo, exec_lo, s40
	s_cbranch_execz .LBB6_11723
.LBB6_11882:                            ;   in Loop: Header=BB6_11641 Depth=2
	v_cmp_ne_u16_sdwa s41, v11, v15 src0_sel:BYTE_1 src1_sel:DWORD
	v_mov_b32_e32 v23, 0
	s_andn2_b32 s14, s14, exec_lo
	s_and_b32 s41, s41, exec_lo
	s_or_b32 s14, s14, s41
	s_or_b32 exec_lo, exec_lo, s40
	s_and_saveexec_b32 s40, s14
	s_cbranch_execnz .LBB6_11724
	s_branch .LBB6_11725
.LBB6_11883:                            ;   in Loop: Header=BB6_11641 Depth=2
	s_or_saveexec_b32 s40, s40
	v_mov_b32_e32 v24, 0x7f800001
	s_xor_b32 exec_lo, exec_lo, s40
	s_cbranch_execz .LBB6_11737
.LBB6_11884:                            ;   in Loop: Header=BB6_11641 Depth=2
	v_cmp_ne_u16_e32 vcc_lo, 0, v25
	v_mov_b32_e32 v24, 0
	s_andn2_b32 s14, s14, exec_lo
	s_and_b32 s41, vcc_lo, exec_lo
	s_or_b32 s14, s14, s41
	s_or_b32 exec_lo, exec_lo, s40
	s_and_saveexec_b32 s40, s14
	s_cbranch_execnz .LBB6_11738
	s_branch .LBB6_11739
.LBB6_11885:                            ;   in Loop: Header=BB6_11641 Depth=2
	s_or_saveexec_b32 s40, s40
	v_mov_b32_e32 v25, 0x7f800001
	s_xor_b32 exec_lo, exec_lo, s40
	s_cbranch_execz .LBB6_11751
.LBB6_11886:                            ;   in Loop: Header=BB6_11641 Depth=2
	v_cmp_ne_u16_sdwa s41, v11, v15 src0_sel:BYTE_3 src1_sel:DWORD
	v_mov_b32_e32 v25, 0
	s_andn2_b32 s14, s14, exec_lo
	s_and_b32 s41, s41, exec_lo
	s_or_b32 s14, s14, s41
	s_or_b32 exec_lo, exec_lo, s40
	s_and_saveexec_b32 s40, s14
	s_cbranch_execnz .LBB6_11752
	s_branch .LBB6_11753
.LBB6_11887:                            ;   in Loop: Header=BB6_11641 Depth=2
	s_or_saveexec_b32 s40, s40
	v_mov_b32_e32 v25, 0x7f800001
	s_xor_b32 exec_lo, exec_lo, s40
	s_cbranch_execz .LBB6_11765
.LBB6_11888:                            ;   in Loop: Header=BB6_11641 Depth=2
	v_cmp_ne_u16_sdwa s41, v12, v15 src0_sel:BYTE_0 src1_sel:DWORD
	v_mov_b32_e32 v25, 0
	s_andn2_b32 s14, s14, exec_lo
	s_and_b32 s41, s41, exec_lo
	s_or_b32 s14, s14, s41
	s_or_b32 exec_lo, exec_lo, s40
	s_and_saveexec_b32 s40, s14
	s_cbranch_execnz .LBB6_11766
	s_branch .LBB6_11767
.LBB6_11889:                            ;   in Loop: Header=BB6_11641 Depth=2
	s_or_saveexec_b32 s40, s40
	v_mov_b32_e32 v26, 0x7f800001
	s_xor_b32 exec_lo, exec_lo, s40
	s_cbranch_execz .LBB6_11779
.LBB6_11890:                            ;   in Loop: Header=BB6_11641 Depth=2
	v_cmp_ne_u16_sdwa s41, v12, v15 src0_sel:BYTE_1 src1_sel:DWORD
	v_mov_b32_e32 v26, 0
	s_andn2_b32 s14, s14, exec_lo
	s_and_b32 s41, s41, exec_lo
	s_or_b32 s14, s14, s41
	s_or_b32 exec_lo, exec_lo, s40
	s_and_saveexec_b32 s40, s14
	s_cbranch_execnz .LBB6_11780
	s_branch .LBB6_11781
.LBB6_11891:                            ;   in Loop: Header=BB6_11641 Depth=2
	s_or_saveexec_b32 s40, s40
	v_mov_b32_e32 v27, 0x7f800001
	s_xor_b32 exec_lo, exec_lo, s40
	s_cbranch_execz .LBB6_11793
.LBB6_11892:                            ;   in Loop: Header=BB6_11641 Depth=2
	v_cmp_ne_u16_e32 vcc_lo, 0, v28
	v_mov_b32_e32 v27, 0
	s_andn2_b32 s14, s14, exec_lo
	s_and_b32 s41, vcc_lo, exec_lo
	s_or_b32 s14, s14, s41
	s_or_b32 exec_lo, exec_lo, s40
	s_and_saveexec_b32 s40, s14
	s_cbranch_execnz .LBB6_11794
	s_branch .LBB6_11795
.LBB6_11893:                            ;   in Loop: Header=BB6_11641 Depth=2
	s_or_saveexec_b32 s40, s40
	v_mov_b32_e32 v28, 0x7f800001
	s_xor_b32 exec_lo, exec_lo, s40
	s_cbranch_execz .LBB6_11807
.LBB6_11894:                            ;   in Loop: Header=BB6_11641 Depth=2
	v_cmp_ne_u16_sdwa s41, v12, v15 src0_sel:BYTE_3 src1_sel:DWORD
	v_mov_b32_e32 v28, 0
	s_andn2_b32 s14, s14, exec_lo
	s_and_b32 s41, s41, exec_lo
	s_or_b32 s14, s14, s41
	s_or_b32 exec_lo, exec_lo, s40
	s_and_saveexec_b32 s40, s14
	s_cbranch_execnz .LBB6_11808
	s_branch .LBB6_11809
.LBB6_11895:                            ;   in Loop: Header=BB6_11641 Depth=2
	s_or_saveexec_b32 s40, s40
	v_mov_b32_e32 v28, 0x7f800001
	s_xor_b32 exec_lo, exec_lo, s40
	s_cbranch_execz .LBB6_11821
.LBB6_11896:                            ;   in Loop: Header=BB6_11641 Depth=2
	v_cmp_ne_u16_sdwa s41, v13, v15 src0_sel:BYTE_0 src1_sel:DWORD
	v_mov_b32_e32 v28, 0
	s_andn2_b32 s14, s14, exec_lo
	s_and_b32 s41, s41, exec_lo
	s_or_b32 s14, s14, s41
	s_or_b32 exec_lo, exec_lo, s40
	s_and_saveexec_b32 s40, s14
	s_cbranch_execnz .LBB6_11822
	s_branch .LBB6_11823
.LBB6_11897:                            ;   in Loop: Header=BB6_11641 Depth=2
	s_or_saveexec_b32 s40, s40
	v_mov_b32_e32 v29, 0x7f800001
	s_xor_b32 exec_lo, exec_lo, s40
	s_cbranch_execz .LBB6_11835
.LBB6_11898:                            ;   in Loop: Header=BB6_11641 Depth=2
	v_cmp_ne_u16_sdwa s41, v13, v15 src0_sel:BYTE_1 src1_sel:DWORD
	v_mov_b32_e32 v29, 0
	s_andn2_b32 s14, s14, exec_lo
	s_and_b32 s41, s41, exec_lo
	s_or_b32 s14, s14, s41
	s_or_b32 exec_lo, exec_lo, s40
	s_and_saveexec_b32 s40, s14
	s_cbranch_execnz .LBB6_11836
	s_branch .LBB6_11837
.LBB6_11899:                            ;   in Loop: Header=BB6_11641 Depth=2
	s_or_saveexec_b32 s40, s40
	v_mov_b32_e32 v30, 0x7f800001
	s_xor_b32 exec_lo, exec_lo, s40
	s_cbranch_execz .LBB6_11849
.LBB6_11900:                            ;   in Loop: Header=BB6_11641 Depth=2
	v_cmp_ne_u16_e32 vcc_lo, 0, v31
	v_mov_b32_e32 v30, 0
	s_andn2_b32 s14, s14, exec_lo
	s_and_b32 s41, vcc_lo, exec_lo
	s_or_b32 s14, s14, s41
	s_or_b32 exec_lo, exec_lo, s40
	s_and_saveexec_b32 s40, s14
	s_cbranch_execnz .LBB6_11850
	s_branch .LBB6_11851
.LBB6_11901:                            ;   in Loop: Header=BB6_11641 Depth=2
	s_or_saveexec_b32 s40, s40
	v_mov_b32_e32 v31, 0x7f800001
	s_xor_b32 exec_lo, exec_lo, s40
	s_cbranch_execz .LBB6_11863
.LBB6_11902:                            ;   in Loop: Header=BB6_11641 Depth=2
	v_cmp_ne_u16_sdwa s41, v13, v15 src0_sel:BYTE_3 src1_sel:DWORD
	v_mov_b32_e32 v31, 0
	s_andn2_b32 s14, s14, exec_lo
	s_and_b32 s41, s41, exec_lo
	s_or_b32 s14, s14, s41
	s_or_b32 exec_lo, exec_lo, s40
	s_and_saveexec_b32 s40, s14
	s_cbranch_execnz .LBB6_11864
	s_branch .LBB6_11865
.LBB6_11903:                            ;   in Loop: Header=BB6_9503 Depth=1
	s_or_b32 exec_lo, exec_lo, s26
.LBB6_11904:                            ;   in Loop: Header=BB6_9503 Depth=1
	s_or_b32 exec_lo, exec_lo, s25
	buffer_load_dword v6, off, s[0:3], s33 offset:392 ; 4-byte Folded Reload
	v_cmp_lt_i32_e32 vcc_lo, 0, v3
	v_cndmask_b32_e32 v5, 0, v59, vcc_lo
	v_sub_nc_u32_e32 v3, v5, v3
	v_lshl_add_u32 v2, v3, 5, v2
	s_waitcnt vmcnt(0)
	v_and_b32_e32 v1, 15, v6
	v_and_b32_e32 v4, 0x1f0, v6
	v_cndmask_b32_e64 v1, v0, v1, s13
	v_cndmask_b32_e64 v0, 0, v4, s13
	v_cmp_ne_u32_e32 vcc_lo, 0, v1
	v_and_or_b32 v0, 0x3ffffe00, v6, v0
	s_and_b32 s13, vcc_lo, exec_lo
.LBB6_11905:                            ;   in Loop: Header=BB6_9503 Depth=1
	s_or_b32 exec_lo, exec_lo, s24
	s_clause 0x1
	buffer_load_dword v96, off, s[0:3], s33 offset:408
	buffer_load_dword v97, off, s[0:3], s33 offset:412
	s_and_saveexec_b32 s14, s13
	s_cbranch_execz .LBB6_12458
.LBB6_11906:                            ;   in Loop: Header=BB6_9503 Depth=1
	s_waitcnt vmcnt(0)
	v_ashrrev_i32_e32 v3, 31, v2
	v_lshrrev_b32_e32 v4, 10, v1
	s_mov_b32 s24, exec_lo
	v_lshrrev_b32_e32 v3, 27, v3
	v_add_nc_u32_e32 v5, v2, v3
	v_ashrrev_i32_e32 v3, 5, v5
	v_sub_nc_u32_e32 v4, v4, v3
	v_cmpx_lt_i32_e32 0, v4
	s_cbranch_execz .LBB6_12430
; %bb.11907:                            ;   in Loop: Header=BB6_9503 Depth=1
	v_and_b32_e32 v5, 0xffffffe0, v5
	v_lshlrev_b32_e32 v6, 10, v3
	s_mov_b32 s25, 0
	v_sub_nc_u32_e32 v5, v2, v5
	v_add3_u32 v5, v0, v5, v6
	v_ashrrev_i32_e32 v6, 31, v5
	s_branch .LBB6_11911
.LBB6_11908:                            ;   in Loop: Header=BB6_11911 Depth=2
	s_or_b32 exec_lo, exec_lo, s13
	v_lshrrev_b32_e32 v11, 20, v11
	v_cmp_gt_i32_e32 vcc_lo, 16, v10
	v_min_i32_e32 v68, 15, v10
	v_and_b32_sdwa v7, v7, v81 dst_sel:DWORD dst_unused:UNUSED_PAD src0_sel:BYTE_3 src1_sel:DWORD
	v_cndmask_b32_e32 v11, 7, v11, vcc_lo
	v_lshlrev_b32_e32 v68, 3, v68
	v_and_b32_e32 v69, 7, v11
	v_or_b32_e32 v10, v10, v11
	v_or3_b32 v7, v68, v7, v69
	v_cmp_ne_u32_e32 vcc_lo, 0, v10
	v_cndmask_b32_e32 v10, 0, v7, vcc_lo
.LBB6_11909:                            ;   in Loop: Header=BB6_11911 Depth=2
	s_or_b32 exec_lo, exec_lo, s27
.LBB6_11910:                            ;   in Loop: Header=BB6_11911 Depth=2
	s_or_b32 exec_lo, exec_lo, s26
	v_add_co_u32 v68, vcc_lo, v5, v21
	v_add_co_ci_u32_e64 v69, null, v6, v22, vcc_lo
	v_sub_nc_u32_e32 v4, v4, v59
	flat_store_byte v[68:69], v8 glc slc
	flat_store_byte v[68:69], v9 offset:32 glc slc
	flat_store_byte v[68:69], v12 offset:64 glc slc
	;; [unrolled: 1-line block ×28, first 2 shown]
	buffer_load_dword v7, off, s[0:3], s33 offset:360 ; 4-byte Folded Reload
	flat_store_byte v[68:69], v66 offset:928 glc slc
	flat_store_byte v[68:69], v67 offset:960 glc slc
	;; [unrolled: 1-line block ×3, first 2 shown]
	s_waitcnt vmcnt(0)
	v_add_co_u32 v19, vcc_lo, v19, v7
	v_add_co_ci_u32_e64 v20, null, 0, v20, vcc_lo
	v_cmp_gt_i32_e32 vcc_lo, 1, v4
	v_add_co_u32 v21, s13, v21, v7
	v_add_co_ci_u32_e64 v22, null, 0, v22, s13
	s_or_b32 s25, vcc_lo, s25
	s_andn2_b32 exec_lo, exec_lo, s25
	s_cbranch_execz .LBB6_12429
.LBB6_11911:                            ;   Parent Loop BB6_9503 Depth=1
                                        ; =>  This Inner Loop Header: Depth=2
	s_trap 2
	ds_read_b64 v[10:11], v0
	s_waitcnt lgkmcnt(0)
	v_readfirstlane_b32 s13, v10
	s_and_b32 s26, s13, 0xff
	s_cmpk_lt_i32 s26, 0x80
	s_cbranch_scc1 .LBB6_11915
; %bb.11912:                            ;   in Loop: Header=BB6_11911 Depth=2
	s_and_b32 s27, 0xffff, s26
	s_cmpk_eq_i32 s27, 0x80
	s_mov_b32 s27, -1
	s_cbranch_scc0 .LBB6_11914
; %bb.11913:                            ;   in Loop: Header=BB6_11911 Depth=2
	s_mov_b32 s27, 0
.LBB6_11914:                            ;   in Loop: Header=BB6_11911 Depth=2
	s_mov_b32 s28, 0x7f800001
	s_branch .LBB6_11917
.LBB6_11915:                            ;   in Loop: Header=BB6_11911 Depth=2
	s_mov_b32 s27, 0
	s_mov_b32 s28, 0x7f800001
	s_cbranch_execz .LBB6_11917
; %bb.11916:                            ;   in Loop: Header=BB6_11911 Depth=2
	s_and_b32 s26, 0xffff, s26
	s_mov_b32 s28, 0
	s_cmp_lg_u32 s26, 0
	s_cselect_b32 s27, -1, 0
.LBB6_11917:                            ;   in Loop: Header=BB6_11911 Depth=2
	v_mov_b32_e32 v7, s28
	s_andn2_b32 vcc_lo, exec_lo, s27
	s_cbranch_vccnz .LBB6_11919
; %bb.11918:                            ;   in Loop: Header=BB6_11911 Depth=2
	s_and_b32 s26, s13, 7
	s_bfe_u32 s28, s13, 0x40003
	s_flbit_i32_b32 s27, s26
	v_lshlrev_b32_e32 v7, 24, v10
	s_min_u32 s27, s27, 32
	s_sub_i32 s29, s27, 28
	s_sub_i32 s27, 29, s27
	s_lshl_b32 s13, s13, s29
	v_and_b32_e32 v7, 0x80000000, v7
	s_and_b32 s13, s13, 7
	s_cmp_eq_u32 s28, 0
	s_cselect_b32 s27, s27, s28
	s_cselect_b32 s13, s13, s26
	s_lshl_b32 s26, s27, 23
	s_lshl_b32 s13, s13, 20
	s_add_i32 s26, s26, 0x3b800000
	v_or_b32_e32 v7, s26, v7
	v_or_b32_e32 v7, s13, v7
.LBB6_11919:                            ;   in Loop: Header=BB6_11911 Depth=2
	v_add_co_u32 v10, vcc_lo, v5, v19
	v_add_co_ci_u32_e64 v11, null, v6, v20, vcc_lo
	s_mov_b32 s13, 0
	s_mov_b32 s26, exec_lo
	flat_load_ubyte v8, v[10:11] slc
	s_waitcnt vmcnt(0) lgkmcnt(0)
	v_cmpx_lt_i16_e32 0x7f, v8
	s_xor_b32 s26, exec_lo, s26
	s_cbranch_execz .LBB6_12365
; %bb.11920:                            ;   in Loop: Header=BB6_11911 Depth=2
	s_mov_b32 s13, -1
	s_mov_b32 s27, exec_lo
	v_cmpx_eq_u16_e32 0x80, v8
; %bb.11921:                            ;   in Loop: Header=BB6_11911 Depth=2
	s_xor_b32 s13, exec_lo, -1
; %bb.11922:                            ;   in Loop: Header=BB6_11911 Depth=2
	s_or_b32 exec_lo, exec_lo, s27
	s_and_b32 s13, s13, exec_lo
	s_or_saveexec_b32 s26, s26
	v_mov_b32_e32 v9, 0x7f800001
	s_xor_b32 exec_lo, exec_lo, s26
	s_cbranch_execnz .LBB6_12366
.LBB6_11923:                            ;   in Loop: Header=BB6_11911 Depth=2
	s_or_b32 exec_lo, exec_lo, s26
	s_and_saveexec_b32 s26, s13
	s_cbranch_execz .LBB6_11925
.LBB6_11924:                            ;   in Loop: Header=BB6_11911 Depth=2
	v_and_b32_e32 v9, 0xffff, v8
	v_lshlrev_b32_e32 v8, 24, v8
	v_and_b32_e32 v12, 7, v9
	v_bfe_u32 v24, v9, 3, 4
	v_and_b32_e32 v8, 0x80000000, v8
	v_ffbh_u32_e32 v13, v12
	v_cmp_eq_u32_e32 vcc_lo, 0, v24
	v_min_u32_e32 v13, 32, v13
	v_subrev_nc_u32_e32 v23, 28, v13
	v_sub_nc_u32_e32 v13, 29, v13
	v_lshlrev_b32_e32 v9, v23, v9
	v_cndmask_b32_e32 v13, v24, v13, vcc_lo
	v_and_b32_e32 v9, 7, v9
	v_cndmask_b32_e32 v9, v12, v9, vcc_lo
	v_lshl_add_u32 v12, v13, 23, 0x3b800000
	v_lshlrev_b32_e32 v9, 20, v9
	v_or3_b32 v9, v8, v12, v9
.LBB6_11925:                            ;   in Loop: Header=BB6_11911 Depth=2
	s_or_b32 exec_lo, exec_lo, s26
	v_mul_f32_e32 v9, v7, v9
	v_and_b32_e32 v8, 0x7f800000, v9
	v_cmp_ne_u32_e32 vcc_lo, 0x7f800000, v8
	v_mov_b32_e32 v8, 0x80
	s_and_saveexec_b32 s26, vcc_lo
	s_cbranch_execz .LBB6_11933
; %bb.11926:                            ;   in Loop: Header=BB6_11911 Depth=2
	v_mov_b32_e32 v8, 0
	s_mov_b32 s27, exec_lo
	v_cmpx_ne_u32_e32 0, v9
	s_cbranch_execz .LBB6_11932
; %bb.11927:                            ;   in Loop: Header=BB6_11911 Depth=2
	v_bfe_u32 v8, v9, 23, 8
	v_and_b32_e32 v12, 0x7fffff, v9
	v_sub_nc_u32_e32 v13, 0x78, v8
	v_cmp_gt_u32_e32 vcc_lo, 0x79, v8
	v_or_b32_e32 v23, 0x800000, v12
	v_cndmask_b32_e32 v13, 0, v13, vcc_lo
	v_cmp_eq_u32_e32 vcc_lo, 0, v8
	v_add_nc_u32_e32 v8, 0xffffff89, v8
	v_cndmask_b32_e64 v13, v13, 0x77, vcc_lo
	v_cndmask_b32_e32 v12, v23, v12, vcc_lo
	v_cndmask_b32_e64 v8, v8, 0xffffff8a, vcc_lo
	v_lshl_add_u32 v23, 0x100000, v13, -1
	v_lshrrev_b32_e32 v24, v13, v12
	v_lshlrev_b32_e64 v26, v13, 0x80000
	v_add_nc_u32_e32 v13, v13, v8
	v_and_b32_e32 v12, v23, v12
	v_bfe_u32 v25, v24, 20, 1
	v_cmp_eq_u32_e64 s13, v12, v26
	v_add_nc_u32_e32 v23, -1, v25
	v_cndmask_b32_e64 v12, 0, v23, s13
	v_lshrrev_b32_e32 v23, 23, v24
	s_mov_b32 s13, exec_lo
	v_add_nc_u32_e32 v12, v12, v24
	v_xor_b32_e32 v23, 1, v23
	v_and_b32_e32 v8, 0xfffff, v12
	v_add_nc_u32_e32 v12, v8, v24
                                        ; implicit-def: $vgpr8
	v_cmpx_ne_u32_e64 v13, v23
	s_xor_b32 s13, exec_lo, s13
; %bb.11928:                            ;   in Loop: Header=BB6_11911 Depth=2
	v_cmp_lt_u32_e32 vcc_lo, 0xffffff, v12
	v_sub_nc_u32_e32 v8, v13, v23
	v_cndmask_b32_e64 v13, 0, 1, vcc_lo
	v_add_co_ci_u32_e64 v8, null, 0, v8, vcc_lo
	v_lshrrev_b32_e32 v12, v13, v12
; %bb.11929:                            ;   in Loop: Header=BB6_11911 Depth=2
	s_andn2_saveexec_b32 s13, s13
; %bb.11930:                            ;   in Loop: Header=BB6_11911 Depth=2
	v_bfe_u32 v8, v12, 23, 1
; %bb.11931:                            ;   in Loop: Header=BB6_11911 Depth=2
	s_or_b32 exec_lo, exec_lo, s13
	v_lshrrev_b32_e32 v12, 20, v12
	v_cmp_gt_i32_e32 vcc_lo, 16, v8
	v_min_i32_e32 v13, 15, v8
	v_and_b32_sdwa v9, v9, v81 dst_sel:DWORD dst_unused:UNUSED_PAD src0_sel:BYTE_3 src1_sel:DWORD
	v_cndmask_b32_e32 v12, 7, v12, vcc_lo
	v_lshlrev_b32_e32 v13, 3, v13
	v_and_b32_e32 v23, 7, v12
	v_or_b32_e32 v8, v8, v12
	v_or3_b32 v9, v13, v9, v23
	v_cmp_ne_u32_e32 vcc_lo, 0, v8
	v_cndmask_b32_e32 v8, 0, v9, vcc_lo
.LBB6_11932:                            ;   in Loop: Header=BB6_11911 Depth=2
	s_or_b32 exec_lo, exec_lo, s27
.LBB6_11933:                            ;   in Loop: Header=BB6_11911 Depth=2
	s_or_b32 exec_lo, exec_lo, s26
	flat_load_ubyte v9, v[10:11] offset:32 slc
	s_mov_b32 s13, 0
	s_mov_b32 s26, exec_lo
	s_waitcnt vmcnt(0) lgkmcnt(0)
	v_cmpx_lt_i16_e32 0x7f, v9
	s_xor_b32 s26, exec_lo, s26
	s_cbranch_execz .LBB6_12367
; %bb.11934:                            ;   in Loop: Header=BB6_11911 Depth=2
	s_mov_b32 s13, -1
	s_mov_b32 s27, exec_lo
	v_cmpx_eq_u16_e32 0x80, v9
; %bb.11935:                            ;   in Loop: Header=BB6_11911 Depth=2
	s_xor_b32 s13, exec_lo, -1
; %bb.11936:                            ;   in Loop: Header=BB6_11911 Depth=2
	s_or_b32 exec_lo, exec_lo, s27
	s_and_b32 s13, s13, exec_lo
	s_or_saveexec_b32 s26, s26
	v_mov_b32_e32 v12, 0x7f800001
	s_xor_b32 exec_lo, exec_lo, s26
	s_cbranch_execnz .LBB6_12368
.LBB6_11937:                            ;   in Loop: Header=BB6_11911 Depth=2
	s_or_b32 exec_lo, exec_lo, s26
	s_and_saveexec_b32 s26, s13
	s_cbranch_execz .LBB6_11939
.LBB6_11938:                            ;   in Loop: Header=BB6_11911 Depth=2
	v_and_b32_e32 v12, 0xffff, v9
	v_lshlrev_b32_e32 v9, 24, v9
	v_and_b32_e32 v13, 7, v12
	v_bfe_u32 v25, v12, 3, 4
	v_and_b32_e32 v9, 0x80000000, v9
	v_ffbh_u32_e32 v23, v13
	v_cmp_eq_u32_e32 vcc_lo, 0, v25
	v_min_u32_e32 v23, 32, v23
	v_subrev_nc_u32_e32 v24, 28, v23
	v_sub_nc_u32_e32 v23, 29, v23
	v_lshlrev_b32_e32 v12, v24, v12
	v_cndmask_b32_e32 v23, v25, v23, vcc_lo
	v_and_b32_e32 v12, 7, v12
	v_cndmask_b32_e32 v12, v13, v12, vcc_lo
	v_lshl_add_u32 v13, v23, 23, 0x3b800000
	v_lshlrev_b32_e32 v12, 20, v12
	v_or3_b32 v12, v9, v13, v12
.LBB6_11939:                            ;   in Loop: Header=BB6_11911 Depth=2
	s_or_b32 exec_lo, exec_lo, s26
	v_mul_f32_e32 v12, v7, v12
	v_and_b32_e32 v9, 0x7f800000, v12
	v_cmp_ne_u32_e32 vcc_lo, 0x7f800000, v9
	v_mov_b32_e32 v9, 0x80
	s_and_saveexec_b32 s26, vcc_lo
	s_cbranch_execz .LBB6_11947
; %bb.11940:                            ;   in Loop: Header=BB6_11911 Depth=2
	v_mov_b32_e32 v9, 0
	s_mov_b32 s27, exec_lo
	v_cmpx_ne_u32_e32 0, v12
	s_cbranch_execz .LBB6_11946
; %bb.11941:                            ;   in Loop: Header=BB6_11911 Depth=2
	v_bfe_u32 v9, v12, 23, 8
	v_and_b32_e32 v13, 0x7fffff, v12
	v_sub_nc_u32_e32 v23, 0x78, v9
	v_cmp_gt_u32_e32 vcc_lo, 0x79, v9
	v_or_b32_e32 v24, 0x800000, v13
	v_cndmask_b32_e32 v23, 0, v23, vcc_lo
	v_cmp_eq_u32_e32 vcc_lo, 0, v9
	v_add_nc_u32_e32 v9, 0xffffff89, v9
	v_cndmask_b32_e64 v23, v23, 0x77, vcc_lo
	v_cndmask_b32_e32 v13, v24, v13, vcc_lo
	v_cndmask_b32_e64 v9, v9, 0xffffff8a, vcc_lo
	v_lshl_add_u32 v24, 0x100000, v23, -1
	v_lshrrev_b32_e32 v25, v23, v13
	v_lshlrev_b32_e64 v27, v23, 0x80000
	v_add_nc_u32_e32 v23, v23, v9
	v_and_b32_e32 v13, v24, v13
	v_bfe_u32 v26, v25, 20, 1
	v_cmp_eq_u32_e64 s13, v13, v27
	v_add_nc_u32_e32 v24, -1, v26
	v_cndmask_b32_e64 v13, 0, v24, s13
	v_lshrrev_b32_e32 v24, 23, v25
	s_mov_b32 s13, exec_lo
	v_add_nc_u32_e32 v13, v13, v25
	v_xor_b32_e32 v24, 1, v24
	v_and_b32_e32 v9, 0xfffff, v13
	v_add_nc_u32_e32 v13, v9, v25
                                        ; implicit-def: $vgpr9
	v_cmpx_ne_u32_e64 v23, v24
	s_xor_b32 s13, exec_lo, s13
; %bb.11942:                            ;   in Loop: Header=BB6_11911 Depth=2
	v_cmp_lt_u32_e32 vcc_lo, 0xffffff, v13
	v_sub_nc_u32_e32 v9, v23, v24
	v_cndmask_b32_e64 v23, 0, 1, vcc_lo
	v_add_co_ci_u32_e64 v9, null, 0, v9, vcc_lo
	v_lshrrev_b32_e32 v13, v23, v13
; %bb.11943:                            ;   in Loop: Header=BB6_11911 Depth=2
	s_andn2_saveexec_b32 s13, s13
; %bb.11944:                            ;   in Loop: Header=BB6_11911 Depth=2
	v_bfe_u32 v9, v13, 23, 1
; %bb.11945:                            ;   in Loop: Header=BB6_11911 Depth=2
	s_or_b32 exec_lo, exec_lo, s13
	v_lshrrev_b32_e32 v13, 20, v13
	v_cmp_gt_i32_e32 vcc_lo, 16, v9
	v_min_i32_e32 v23, 15, v9
	v_and_b32_sdwa v12, v12, v81 dst_sel:DWORD dst_unused:UNUSED_PAD src0_sel:BYTE_3 src1_sel:DWORD
	v_cndmask_b32_e32 v13, 7, v13, vcc_lo
	v_lshlrev_b32_e32 v23, 3, v23
	v_and_b32_e32 v24, 7, v13
	v_or_b32_e32 v9, v9, v13
	v_or3_b32 v12, v23, v12, v24
	v_cmp_ne_u32_e32 vcc_lo, 0, v9
	v_cndmask_b32_e32 v9, 0, v12, vcc_lo
.LBB6_11946:                            ;   in Loop: Header=BB6_11911 Depth=2
	s_or_b32 exec_lo, exec_lo, s27
.LBB6_11947:                            ;   in Loop: Header=BB6_11911 Depth=2
	s_or_b32 exec_lo, exec_lo, s26
	flat_load_ubyte v12, v[10:11] offset:64 slc
	s_mov_b32 s13, 0
	s_mov_b32 s26, exec_lo
	s_waitcnt vmcnt(0) lgkmcnt(0)
	v_cmpx_lt_i16_e32 0x7f, v12
	s_xor_b32 s26, exec_lo, s26
	s_cbranch_execz .LBB6_12369
; %bb.11948:                            ;   in Loop: Header=BB6_11911 Depth=2
	s_mov_b32 s13, -1
	s_mov_b32 s27, exec_lo
	v_cmpx_eq_u16_e32 0x80, v12
; %bb.11949:                            ;   in Loop: Header=BB6_11911 Depth=2
	s_xor_b32 s13, exec_lo, -1
; %bb.11950:                            ;   in Loop: Header=BB6_11911 Depth=2
	s_or_b32 exec_lo, exec_lo, s27
	s_and_b32 s13, s13, exec_lo
	s_or_saveexec_b32 s26, s26
	v_mov_b32_e32 v13, 0x7f800001
	s_xor_b32 exec_lo, exec_lo, s26
	s_cbranch_execnz .LBB6_12370
.LBB6_11951:                            ;   in Loop: Header=BB6_11911 Depth=2
	s_or_b32 exec_lo, exec_lo, s26
	s_and_saveexec_b32 s26, s13
	s_cbranch_execz .LBB6_11953
.LBB6_11952:                            ;   in Loop: Header=BB6_11911 Depth=2
	v_and_b32_e32 v13, 0xffff, v12
	v_lshlrev_b32_e32 v12, 24, v12
	v_and_b32_e32 v23, 7, v13
	v_bfe_u32 v26, v13, 3, 4
	v_and_b32_e32 v12, 0x80000000, v12
	v_ffbh_u32_e32 v24, v23
	v_cmp_eq_u32_e32 vcc_lo, 0, v26
	v_min_u32_e32 v24, 32, v24
	v_subrev_nc_u32_e32 v25, 28, v24
	v_sub_nc_u32_e32 v24, 29, v24
	v_lshlrev_b32_e32 v13, v25, v13
	v_cndmask_b32_e32 v24, v26, v24, vcc_lo
	v_and_b32_e32 v13, 7, v13
	v_cndmask_b32_e32 v13, v23, v13, vcc_lo
	v_lshl_add_u32 v23, v24, 23, 0x3b800000
	v_lshlrev_b32_e32 v13, 20, v13
	v_or3_b32 v13, v12, v23, v13
.LBB6_11953:                            ;   in Loop: Header=BB6_11911 Depth=2
	s_or_b32 exec_lo, exec_lo, s26
	v_mul_f32_e32 v13, v7, v13
	v_and_b32_e32 v12, 0x7f800000, v13
	v_cmp_ne_u32_e32 vcc_lo, 0x7f800000, v12
	v_mov_b32_e32 v12, 0x80
	s_and_saveexec_b32 s26, vcc_lo
	s_cbranch_execz .LBB6_11961
; %bb.11954:                            ;   in Loop: Header=BB6_11911 Depth=2
	v_mov_b32_e32 v12, 0
	s_mov_b32 s27, exec_lo
	v_cmpx_ne_u32_e32 0, v13
	s_cbranch_execz .LBB6_11960
; %bb.11955:                            ;   in Loop: Header=BB6_11911 Depth=2
	v_bfe_u32 v12, v13, 23, 8
	v_and_b32_e32 v23, 0x7fffff, v13
	v_sub_nc_u32_e32 v24, 0x78, v12
	v_cmp_gt_u32_e32 vcc_lo, 0x79, v12
	v_or_b32_e32 v25, 0x800000, v23
	v_cndmask_b32_e32 v24, 0, v24, vcc_lo
	v_cmp_eq_u32_e32 vcc_lo, 0, v12
	v_add_nc_u32_e32 v12, 0xffffff89, v12
	v_cndmask_b32_e64 v24, v24, 0x77, vcc_lo
	v_cndmask_b32_e32 v23, v25, v23, vcc_lo
	v_cndmask_b32_e64 v12, v12, 0xffffff8a, vcc_lo
	v_lshl_add_u32 v25, 0x100000, v24, -1
	v_lshrrev_b32_e32 v26, v24, v23
	v_lshlrev_b32_e64 v28, v24, 0x80000
	v_add_nc_u32_e32 v24, v24, v12
	v_and_b32_e32 v23, v25, v23
	v_bfe_u32 v27, v26, 20, 1
	v_cmp_eq_u32_e64 s13, v23, v28
	v_add_nc_u32_e32 v25, -1, v27
	v_cndmask_b32_e64 v23, 0, v25, s13
	v_lshrrev_b32_e32 v25, 23, v26
	s_mov_b32 s13, exec_lo
	v_add_nc_u32_e32 v23, v23, v26
	v_xor_b32_e32 v25, 1, v25
	v_and_b32_e32 v12, 0xfffff, v23
	v_add_nc_u32_e32 v23, v12, v26
                                        ; implicit-def: $vgpr12
	v_cmpx_ne_u32_e64 v24, v25
	s_xor_b32 s13, exec_lo, s13
; %bb.11956:                            ;   in Loop: Header=BB6_11911 Depth=2
	v_cmp_lt_u32_e32 vcc_lo, 0xffffff, v23
	v_sub_nc_u32_e32 v12, v24, v25
	v_cndmask_b32_e64 v24, 0, 1, vcc_lo
	v_add_co_ci_u32_e64 v12, null, 0, v12, vcc_lo
	v_lshrrev_b32_e32 v23, v24, v23
; %bb.11957:                            ;   in Loop: Header=BB6_11911 Depth=2
	s_andn2_saveexec_b32 s13, s13
; %bb.11958:                            ;   in Loop: Header=BB6_11911 Depth=2
	v_bfe_u32 v12, v23, 23, 1
; %bb.11959:                            ;   in Loop: Header=BB6_11911 Depth=2
	s_or_b32 exec_lo, exec_lo, s13
	v_lshrrev_b32_e32 v23, 20, v23
	v_cmp_gt_i32_e32 vcc_lo, 16, v12
	v_min_i32_e32 v24, 15, v12
	v_and_b32_sdwa v13, v13, v81 dst_sel:DWORD dst_unused:UNUSED_PAD src0_sel:BYTE_3 src1_sel:DWORD
	v_cndmask_b32_e32 v23, 7, v23, vcc_lo
	v_lshlrev_b32_e32 v24, 3, v24
	v_and_b32_e32 v25, 7, v23
	v_or_b32_e32 v12, v12, v23
	v_or3_b32 v13, v24, v13, v25
	v_cmp_ne_u32_e32 vcc_lo, 0, v12
	v_cndmask_b32_e32 v12, 0, v13, vcc_lo
.LBB6_11960:                            ;   in Loop: Header=BB6_11911 Depth=2
	s_or_b32 exec_lo, exec_lo, s27
.LBB6_11961:                            ;   in Loop: Header=BB6_11911 Depth=2
	s_or_b32 exec_lo, exec_lo, s26
	flat_load_ubyte v13, v[10:11] offset:96 slc
	s_mov_b32 s13, 0
	s_mov_b32 s26, exec_lo
	s_waitcnt vmcnt(0) lgkmcnt(0)
	v_cmpx_lt_i16_e32 0x7f, v13
	s_xor_b32 s26, exec_lo, s26
	s_cbranch_execz .LBB6_12371
; %bb.11962:                            ;   in Loop: Header=BB6_11911 Depth=2
	s_mov_b32 s13, -1
	s_mov_b32 s27, exec_lo
	v_cmpx_eq_u16_e32 0x80, v13
; %bb.11963:                            ;   in Loop: Header=BB6_11911 Depth=2
	s_xor_b32 s13, exec_lo, -1
; %bb.11964:                            ;   in Loop: Header=BB6_11911 Depth=2
	s_or_b32 exec_lo, exec_lo, s27
	s_and_b32 s13, s13, exec_lo
	s_or_saveexec_b32 s26, s26
	v_mov_b32_e32 v23, 0x7f800001
	s_xor_b32 exec_lo, exec_lo, s26
	s_cbranch_execnz .LBB6_12372
.LBB6_11965:                            ;   in Loop: Header=BB6_11911 Depth=2
	s_or_b32 exec_lo, exec_lo, s26
	s_and_saveexec_b32 s26, s13
	s_cbranch_execz .LBB6_11967
.LBB6_11966:                            ;   in Loop: Header=BB6_11911 Depth=2
	v_and_b32_e32 v23, 0xffff, v13
	v_lshlrev_b32_e32 v13, 24, v13
	v_and_b32_e32 v24, 7, v23
	v_bfe_u32 v27, v23, 3, 4
	v_and_b32_e32 v13, 0x80000000, v13
	v_ffbh_u32_e32 v25, v24
	v_cmp_eq_u32_e32 vcc_lo, 0, v27
	v_min_u32_e32 v25, 32, v25
	v_subrev_nc_u32_e32 v26, 28, v25
	v_sub_nc_u32_e32 v25, 29, v25
	v_lshlrev_b32_e32 v23, v26, v23
	v_cndmask_b32_e32 v25, v27, v25, vcc_lo
	v_and_b32_e32 v23, 7, v23
	v_cndmask_b32_e32 v23, v24, v23, vcc_lo
	v_lshl_add_u32 v24, v25, 23, 0x3b800000
	v_lshlrev_b32_e32 v23, 20, v23
	v_or3_b32 v23, v13, v24, v23
.LBB6_11967:                            ;   in Loop: Header=BB6_11911 Depth=2
	s_or_b32 exec_lo, exec_lo, s26
	v_mul_f32_e32 v23, v7, v23
	v_and_b32_e32 v13, 0x7f800000, v23
	v_cmp_ne_u32_e32 vcc_lo, 0x7f800000, v13
	v_mov_b32_e32 v13, 0x80
	s_and_saveexec_b32 s26, vcc_lo
	s_cbranch_execz .LBB6_11975
; %bb.11968:                            ;   in Loop: Header=BB6_11911 Depth=2
	v_mov_b32_e32 v13, 0
	s_mov_b32 s27, exec_lo
	v_cmpx_ne_u32_e32 0, v23
	s_cbranch_execz .LBB6_11974
; %bb.11969:                            ;   in Loop: Header=BB6_11911 Depth=2
	v_bfe_u32 v13, v23, 23, 8
	v_and_b32_e32 v24, 0x7fffff, v23
	v_sub_nc_u32_e32 v25, 0x78, v13
	v_cmp_gt_u32_e32 vcc_lo, 0x79, v13
	v_or_b32_e32 v26, 0x800000, v24
	v_cndmask_b32_e32 v25, 0, v25, vcc_lo
	v_cmp_eq_u32_e32 vcc_lo, 0, v13
	v_add_nc_u32_e32 v13, 0xffffff89, v13
	v_cndmask_b32_e64 v25, v25, 0x77, vcc_lo
	v_cndmask_b32_e32 v24, v26, v24, vcc_lo
	v_cndmask_b32_e64 v13, v13, 0xffffff8a, vcc_lo
	v_lshl_add_u32 v26, 0x100000, v25, -1
	v_lshrrev_b32_e32 v27, v25, v24
	v_lshlrev_b32_e64 v29, v25, 0x80000
	v_add_nc_u32_e32 v25, v25, v13
	v_and_b32_e32 v24, v26, v24
	v_bfe_u32 v28, v27, 20, 1
	v_cmp_eq_u32_e64 s13, v24, v29
	v_add_nc_u32_e32 v26, -1, v28
	v_cndmask_b32_e64 v24, 0, v26, s13
	v_lshrrev_b32_e32 v26, 23, v27
	s_mov_b32 s13, exec_lo
	v_add_nc_u32_e32 v24, v24, v27
	v_xor_b32_e32 v26, 1, v26
	v_and_b32_e32 v13, 0xfffff, v24
	v_add_nc_u32_e32 v24, v13, v27
                                        ; implicit-def: $vgpr13
	v_cmpx_ne_u32_e64 v25, v26
	s_xor_b32 s13, exec_lo, s13
; %bb.11970:                            ;   in Loop: Header=BB6_11911 Depth=2
	v_cmp_lt_u32_e32 vcc_lo, 0xffffff, v24
	v_sub_nc_u32_e32 v13, v25, v26
	v_cndmask_b32_e64 v25, 0, 1, vcc_lo
	v_add_co_ci_u32_e64 v13, null, 0, v13, vcc_lo
	v_lshrrev_b32_e32 v24, v25, v24
; %bb.11971:                            ;   in Loop: Header=BB6_11911 Depth=2
	s_andn2_saveexec_b32 s13, s13
; %bb.11972:                            ;   in Loop: Header=BB6_11911 Depth=2
	v_bfe_u32 v13, v24, 23, 1
; %bb.11973:                            ;   in Loop: Header=BB6_11911 Depth=2
	s_or_b32 exec_lo, exec_lo, s13
	v_lshrrev_b32_e32 v24, 20, v24
	v_cmp_gt_i32_e32 vcc_lo, 16, v13
	v_min_i32_e32 v25, 15, v13
	v_and_b32_sdwa v23, v23, v81 dst_sel:DWORD dst_unused:UNUSED_PAD src0_sel:BYTE_3 src1_sel:DWORD
	v_cndmask_b32_e32 v24, 7, v24, vcc_lo
	v_lshlrev_b32_e32 v25, 3, v25
	v_and_b32_e32 v26, 7, v24
	v_or_b32_e32 v13, v13, v24
	v_or3_b32 v23, v25, v23, v26
	v_cmp_ne_u32_e32 vcc_lo, 0, v13
	v_cndmask_b32_e32 v13, 0, v23, vcc_lo
.LBB6_11974:                            ;   in Loop: Header=BB6_11911 Depth=2
	s_or_b32 exec_lo, exec_lo, s27
.LBB6_11975:                            ;   in Loop: Header=BB6_11911 Depth=2
	s_or_b32 exec_lo, exec_lo, s26
	flat_load_ubyte v23, v[10:11] offset:128 slc
	s_mov_b32 s13, 0
	s_mov_b32 s26, exec_lo
	s_waitcnt vmcnt(0) lgkmcnt(0)
	v_cmpx_lt_i16_e32 0x7f, v23
	s_xor_b32 s26, exec_lo, s26
	s_cbranch_execz .LBB6_12373
; %bb.11976:                            ;   in Loop: Header=BB6_11911 Depth=2
	s_mov_b32 s13, -1
	s_mov_b32 s27, exec_lo
	v_cmpx_eq_u16_e32 0x80, v23
; %bb.11977:                            ;   in Loop: Header=BB6_11911 Depth=2
	s_xor_b32 s13, exec_lo, -1
; %bb.11978:                            ;   in Loop: Header=BB6_11911 Depth=2
	s_or_b32 exec_lo, exec_lo, s27
	s_and_b32 s13, s13, exec_lo
	s_or_saveexec_b32 s26, s26
	v_mov_b32_e32 v24, 0x7f800001
	s_xor_b32 exec_lo, exec_lo, s26
	s_cbranch_execnz .LBB6_12374
.LBB6_11979:                            ;   in Loop: Header=BB6_11911 Depth=2
	s_or_b32 exec_lo, exec_lo, s26
	s_and_saveexec_b32 s26, s13
	s_cbranch_execz .LBB6_11981
.LBB6_11980:                            ;   in Loop: Header=BB6_11911 Depth=2
	v_and_b32_e32 v24, 0xffff, v23
	v_lshlrev_b32_e32 v23, 24, v23
	v_and_b32_e32 v25, 7, v24
	v_bfe_u32 v28, v24, 3, 4
	v_and_b32_e32 v23, 0x80000000, v23
	v_ffbh_u32_e32 v26, v25
	v_cmp_eq_u32_e32 vcc_lo, 0, v28
	v_min_u32_e32 v26, 32, v26
	v_subrev_nc_u32_e32 v27, 28, v26
	v_sub_nc_u32_e32 v26, 29, v26
	v_lshlrev_b32_e32 v24, v27, v24
	v_cndmask_b32_e32 v26, v28, v26, vcc_lo
	v_and_b32_e32 v24, 7, v24
	v_cndmask_b32_e32 v24, v25, v24, vcc_lo
	v_lshl_add_u32 v25, v26, 23, 0x3b800000
	v_lshlrev_b32_e32 v24, 20, v24
	v_or3_b32 v24, v23, v25, v24
.LBB6_11981:                            ;   in Loop: Header=BB6_11911 Depth=2
	s_or_b32 exec_lo, exec_lo, s26
	v_mul_f32_e32 v24, v7, v24
	v_and_b32_e32 v23, 0x7f800000, v24
	v_cmp_ne_u32_e32 vcc_lo, 0x7f800000, v23
	v_mov_b32_e32 v23, 0x80
	s_and_saveexec_b32 s26, vcc_lo
	s_cbranch_execz .LBB6_11989
; %bb.11982:                            ;   in Loop: Header=BB6_11911 Depth=2
	v_mov_b32_e32 v23, 0
	s_mov_b32 s27, exec_lo
	v_cmpx_ne_u32_e32 0, v24
	s_cbranch_execz .LBB6_11988
; %bb.11983:                            ;   in Loop: Header=BB6_11911 Depth=2
	v_bfe_u32 v23, v24, 23, 8
	v_and_b32_e32 v25, 0x7fffff, v24
	v_sub_nc_u32_e32 v26, 0x78, v23
	v_cmp_gt_u32_e32 vcc_lo, 0x79, v23
	v_or_b32_e32 v27, 0x800000, v25
	v_cndmask_b32_e32 v26, 0, v26, vcc_lo
	v_cmp_eq_u32_e32 vcc_lo, 0, v23
	v_add_nc_u32_e32 v23, 0xffffff89, v23
	v_cndmask_b32_e64 v26, v26, 0x77, vcc_lo
	v_cndmask_b32_e32 v25, v27, v25, vcc_lo
	v_cndmask_b32_e64 v23, v23, 0xffffff8a, vcc_lo
	v_lshl_add_u32 v27, 0x100000, v26, -1
	v_lshrrev_b32_e32 v28, v26, v25
	v_lshlrev_b32_e64 v30, v26, 0x80000
	v_add_nc_u32_e32 v26, v26, v23
	v_and_b32_e32 v25, v27, v25
	v_bfe_u32 v29, v28, 20, 1
	v_cmp_eq_u32_e64 s13, v25, v30
	v_add_nc_u32_e32 v27, -1, v29
	v_cndmask_b32_e64 v25, 0, v27, s13
	v_lshrrev_b32_e32 v27, 23, v28
	s_mov_b32 s13, exec_lo
	v_add_nc_u32_e32 v25, v25, v28
	v_xor_b32_e32 v27, 1, v27
	v_and_b32_e32 v23, 0xfffff, v25
	v_add_nc_u32_e32 v25, v23, v28
                                        ; implicit-def: $vgpr23
	v_cmpx_ne_u32_e64 v26, v27
	s_xor_b32 s13, exec_lo, s13
; %bb.11984:                            ;   in Loop: Header=BB6_11911 Depth=2
	v_cmp_lt_u32_e32 vcc_lo, 0xffffff, v25
	v_sub_nc_u32_e32 v23, v26, v27
	v_cndmask_b32_e64 v26, 0, 1, vcc_lo
	v_add_co_ci_u32_e64 v23, null, 0, v23, vcc_lo
	v_lshrrev_b32_e32 v25, v26, v25
; %bb.11985:                            ;   in Loop: Header=BB6_11911 Depth=2
	s_andn2_saveexec_b32 s13, s13
; %bb.11986:                            ;   in Loop: Header=BB6_11911 Depth=2
	v_bfe_u32 v23, v25, 23, 1
; %bb.11987:                            ;   in Loop: Header=BB6_11911 Depth=2
	s_or_b32 exec_lo, exec_lo, s13
	v_lshrrev_b32_e32 v25, 20, v25
	v_cmp_gt_i32_e32 vcc_lo, 16, v23
	v_min_i32_e32 v26, 15, v23
	v_and_b32_sdwa v24, v24, v81 dst_sel:DWORD dst_unused:UNUSED_PAD src0_sel:BYTE_3 src1_sel:DWORD
	v_cndmask_b32_e32 v25, 7, v25, vcc_lo
	v_lshlrev_b32_e32 v26, 3, v26
	v_and_b32_e32 v27, 7, v25
	v_or_b32_e32 v23, v23, v25
	v_or3_b32 v24, v26, v24, v27
	v_cmp_ne_u32_e32 vcc_lo, 0, v23
	v_cndmask_b32_e32 v23, 0, v24, vcc_lo
.LBB6_11988:                            ;   in Loop: Header=BB6_11911 Depth=2
	s_or_b32 exec_lo, exec_lo, s27
.LBB6_11989:                            ;   in Loop: Header=BB6_11911 Depth=2
	s_or_b32 exec_lo, exec_lo, s26
	flat_load_ubyte v24, v[10:11] offset:160 slc
	s_mov_b32 s13, 0
	s_mov_b32 s26, exec_lo
	s_waitcnt vmcnt(0) lgkmcnt(0)
	v_cmpx_lt_i16_e32 0x7f, v24
	s_xor_b32 s26, exec_lo, s26
	s_cbranch_execz .LBB6_12375
; %bb.11990:                            ;   in Loop: Header=BB6_11911 Depth=2
	s_mov_b32 s13, -1
	s_mov_b32 s27, exec_lo
	v_cmpx_eq_u16_e32 0x80, v24
; %bb.11991:                            ;   in Loop: Header=BB6_11911 Depth=2
	s_xor_b32 s13, exec_lo, -1
; %bb.11992:                            ;   in Loop: Header=BB6_11911 Depth=2
	s_or_b32 exec_lo, exec_lo, s27
	s_and_b32 s13, s13, exec_lo
	s_or_saveexec_b32 s26, s26
	v_mov_b32_e32 v25, 0x7f800001
	s_xor_b32 exec_lo, exec_lo, s26
	s_cbranch_execnz .LBB6_12376
.LBB6_11993:                            ;   in Loop: Header=BB6_11911 Depth=2
	s_or_b32 exec_lo, exec_lo, s26
	s_and_saveexec_b32 s26, s13
	s_cbranch_execz .LBB6_11995
.LBB6_11994:                            ;   in Loop: Header=BB6_11911 Depth=2
	v_and_b32_e32 v25, 0xffff, v24
	v_lshlrev_b32_e32 v24, 24, v24
	v_and_b32_e32 v26, 7, v25
	v_bfe_u32 v29, v25, 3, 4
	v_and_b32_e32 v24, 0x80000000, v24
	v_ffbh_u32_e32 v27, v26
	v_cmp_eq_u32_e32 vcc_lo, 0, v29
	v_min_u32_e32 v27, 32, v27
	v_subrev_nc_u32_e32 v28, 28, v27
	v_sub_nc_u32_e32 v27, 29, v27
	v_lshlrev_b32_e32 v25, v28, v25
	v_cndmask_b32_e32 v27, v29, v27, vcc_lo
	v_and_b32_e32 v25, 7, v25
	v_cndmask_b32_e32 v25, v26, v25, vcc_lo
	v_lshl_add_u32 v26, v27, 23, 0x3b800000
	v_lshlrev_b32_e32 v25, 20, v25
	v_or3_b32 v25, v24, v26, v25
.LBB6_11995:                            ;   in Loop: Header=BB6_11911 Depth=2
	s_or_b32 exec_lo, exec_lo, s26
	v_mul_f32_e32 v25, v7, v25
	v_and_b32_e32 v24, 0x7f800000, v25
	v_cmp_ne_u32_e32 vcc_lo, 0x7f800000, v24
	v_mov_b32_e32 v24, 0x80
	s_and_saveexec_b32 s26, vcc_lo
	s_cbranch_execz .LBB6_12003
; %bb.11996:                            ;   in Loop: Header=BB6_11911 Depth=2
	v_mov_b32_e32 v24, 0
	s_mov_b32 s27, exec_lo
	v_cmpx_ne_u32_e32 0, v25
	s_cbranch_execz .LBB6_12002
; %bb.11997:                            ;   in Loop: Header=BB6_11911 Depth=2
	v_bfe_u32 v24, v25, 23, 8
	v_and_b32_e32 v26, 0x7fffff, v25
	v_sub_nc_u32_e32 v27, 0x78, v24
	v_cmp_gt_u32_e32 vcc_lo, 0x79, v24
	v_or_b32_e32 v28, 0x800000, v26
	v_cndmask_b32_e32 v27, 0, v27, vcc_lo
	v_cmp_eq_u32_e32 vcc_lo, 0, v24
	v_add_nc_u32_e32 v24, 0xffffff89, v24
	v_cndmask_b32_e64 v27, v27, 0x77, vcc_lo
	v_cndmask_b32_e32 v26, v28, v26, vcc_lo
	v_cndmask_b32_e64 v24, v24, 0xffffff8a, vcc_lo
	v_lshl_add_u32 v28, 0x100000, v27, -1
	v_lshrrev_b32_e32 v29, v27, v26
	v_lshlrev_b32_e64 v31, v27, 0x80000
	v_add_nc_u32_e32 v27, v27, v24
	v_and_b32_e32 v26, v28, v26
	v_bfe_u32 v30, v29, 20, 1
	v_cmp_eq_u32_e64 s13, v26, v31
	v_add_nc_u32_e32 v28, -1, v30
	v_cndmask_b32_e64 v26, 0, v28, s13
	v_lshrrev_b32_e32 v28, 23, v29
	s_mov_b32 s13, exec_lo
	v_add_nc_u32_e32 v26, v26, v29
	v_xor_b32_e32 v28, 1, v28
	v_and_b32_e32 v24, 0xfffff, v26
	v_add_nc_u32_e32 v26, v24, v29
                                        ; implicit-def: $vgpr24
	v_cmpx_ne_u32_e64 v27, v28
	s_xor_b32 s13, exec_lo, s13
; %bb.11998:                            ;   in Loop: Header=BB6_11911 Depth=2
	v_cmp_lt_u32_e32 vcc_lo, 0xffffff, v26
	v_sub_nc_u32_e32 v24, v27, v28
	v_cndmask_b32_e64 v27, 0, 1, vcc_lo
	v_add_co_ci_u32_e64 v24, null, 0, v24, vcc_lo
	v_lshrrev_b32_e32 v26, v27, v26
; %bb.11999:                            ;   in Loop: Header=BB6_11911 Depth=2
	s_andn2_saveexec_b32 s13, s13
; %bb.12000:                            ;   in Loop: Header=BB6_11911 Depth=2
	v_bfe_u32 v24, v26, 23, 1
; %bb.12001:                            ;   in Loop: Header=BB6_11911 Depth=2
	s_or_b32 exec_lo, exec_lo, s13
	v_lshrrev_b32_e32 v26, 20, v26
	v_cmp_gt_i32_e32 vcc_lo, 16, v24
	v_min_i32_e32 v27, 15, v24
	v_and_b32_sdwa v25, v25, v81 dst_sel:DWORD dst_unused:UNUSED_PAD src0_sel:BYTE_3 src1_sel:DWORD
	v_cndmask_b32_e32 v26, 7, v26, vcc_lo
	v_lshlrev_b32_e32 v27, 3, v27
	v_and_b32_e32 v28, 7, v26
	v_or_b32_e32 v24, v24, v26
	v_or3_b32 v25, v27, v25, v28
	v_cmp_ne_u32_e32 vcc_lo, 0, v24
	v_cndmask_b32_e32 v24, 0, v25, vcc_lo
.LBB6_12002:                            ;   in Loop: Header=BB6_11911 Depth=2
	s_or_b32 exec_lo, exec_lo, s27
.LBB6_12003:                            ;   in Loop: Header=BB6_11911 Depth=2
	s_or_b32 exec_lo, exec_lo, s26
	flat_load_ubyte v25, v[10:11] offset:192 slc
	s_mov_b32 s13, 0
	s_mov_b32 s26, exec_lo
	s_waitcnt vmcnt(0) lgkmcnt(0)
	v_cmpx_lt_i16_e32 0x7f, v25
	s_xor_b32 s26, exec_lo, s26
	s_cbranch_execz .LBB6_12377
; %bb.12004:                            ;   in Loop: Header=BB6_11911 Depth=2
	s_mov_b32 s13, -1
	s_mov_b32 s27, exec_lo
	v_cmpx_eq_u16_e32 0x80, v25
; %bb.12005:                            ;   in Loop: Header=BB6_11911 Depth=2
	s_xor_b32 s13, exec_lo, -1
; %bb.12006:                            ;   in Loop: Header=BB6_11911 Depth=2
	s_or_b32 exec_lo, exec_lo, s27
	s_and_b32 s13, s13, exec_lo
	s_or_saveexec_b32 s26, s26
	v_mov_b32_e32 v26, 0x7f800001
	s_xor_b32 exec_lo, exec_lo, s26
	s_cbranch_execnz .LBB6_12378
.LBB6_12007:                            ;   in Loop: Header=BB6_11911 Depth=2
	s_or_b32 exec_lo, exec_lo, s26
	s_and_saveexec_b32 s26, s13
	s_cbranch_execz .LBB6_12009
.LBB6_12008:                            ;   in Loop: Header=BB6_11911 Depth=2
	v_and_b32_e32 v26, 0xffff, v25
	v_lshlrev_b32_e32 v25, 24, v25
	v_and_b32_e32 v27, 7, v26
	v_bfe_u32 v30, v26, 3, 4
	v_and_b32_e32 v25, 0x80000000, v25
	v_ffbh_u32_e32 v28, v27
	v_cmp_eq_u32_e32 vcc_lo, 0, v30
	v_min_u32_e32 v28, 32, v28
	v_subrev_nc_u32_e32 v29, 28, v28
	v_sub_nc_u32_e32 v28, 29, v28
	v_lshlrev_b32_e32 v26, v29, v26
	v_cndmask_b32_e32 v28, v30, v28, vcc_lo
	v_and_b32_e32 v26, 7, v26
	v_cndmask_b32_e32 v26, v27, v26, vcc_lo
	v_lshl_add_u32 v27, v28, 23, 0x3b800000
	v_lshlrev_b32_e32 v26, 20, v26
	v_or3_b32 v26, v25, v27, v26
.LBB6_12009:                            ;   in Loop: Header=BB6_11911 Depth=2
	s_or_b32 exec_lo, exec_lo, s26
	v_mul_f32_e32 v26, v7, v26
	v_and_b32_e32 v25, 0x7f800000, v26
	v_cmp_ne_u32_e32 vcc_lo, 0x7f800000, v25
	v_mov_b32_e32 v25, 0x80
	s_and_saveexec_b32 s26, vcc_lo
	s_cbranch_execz .LBB6_12017
; %bb.12010:                            ;   in Loop: Header=BB6_11911 Depth=2
	v_mov_b32_e32 v25, 0
	s_mov_b32 s27, exec_lo
	v_cmpx_ne_u32_e32 0, v26
	s_cbranch_execz .LBB6_12016
; %bb.12011:                            ;   in Loop: Header=BB6_11911 Depth=2
	v_bfe_u32 v25, v26, 23, 8
	v_and_b32_e32 v27, 0x7fffff, v26
	v_sub_nc_u32_e32 v28, 0x78, v25
	v_cmp_gt_u32_e32 vcc_lo, 0x79, v25
	v_or_b32_e32 v29, 0x800000, v27
	v_cndmask_b32_e32 v28, 0, v28, vcc_lo
	v_cmp_eq_u32_e32 vcc_lo, 0, v25
	v_add_nc_u32_e32 v25, 0xffffff89, v25
	v_cndmask_b32_e64 v28, v28, 0x77, vcc_lo
	v_cndmask_b32_e32 v27, v29, v27, vcc_lo
	v_cndmask_b32_e64 v25, v25, 0xffffff8a, vcc_lo
	v_lshl_add_u32 v29, 0x100000, v28, -1
	v_lshrrev_b32_e32 v30, v28, v27
	v_lshlrev_b32_e64 v32, v28, 0x80000
	v_add_nc_u32_e32 v28, v28, v25
	v_and_b32_e32 v27, v29, v27
	v_bfe_u32 v31, v30, 20, 1
	v_cmp_eq_u32_e64 s13, v27, v32
	v_add_nc_u32_e32 v29, -1, v31
	v_cndmask_b32_e64 v27, 0, v29, s13
	v_lshrrev_b32_e32 v29, 23, v30
	s_mov_b32 s13, exec_lo
	v_add_nc_u32_e32 v27, v27, v30
	v_xor_b32_e32 v29, 1, v29
	v_and_b32_e32 v25, 0xfffff, v27
	v_add_nc_u32_e32 v27, v25, v30
                                        ; implicit-def: $vgpr25
	v_cmpx_ne_u32_e64 v28, v29
	s_xor_b32 s13, exec_lo, s13
; %bb.12012:                            ;   in Loop: Header=BB6_11911 Depth=2
	v_cmp_lt_u32_e32 vcc_lo, 0xffffff, v27
	v_sub_nc_u32_e32 v25, v28, v29
	v_cndmask_b32_e64 v28, 0, 1, vcc_lo
	v_add_co_ci_u32_e64 v25, null, 0, v25, vcc_lo
	v_lshrrev_b32_e32 v27, v28, v27
; %bb.12013:                            ;   in Loop: Header=BB6_11911 Depth=2
	s_andn2_saveexec_b32 s13, s13
; %bb.12014:                            ;   in Loop: Header=BB6_11911 Depth=2
	v_bfe_u32 v25, v27, 23, 1
; %bb.12015:                            ;   in Loop: Header=BB6_11911 Depth=2
	s_or_b32 exec_lo, exec_lo, s13
	v_lshrrev_b32_e32 v27, 20, v27
	v_cmp_gt_i32_e32 vcc_lo, 16, v25
	v_min_i32_e32 v28, 15, v25
	v_and_b32_sdwa v26, v26, v81 dst_sel:DWORD dst_unused:UNUSED_PAD src0_sel:BYTE_3 src1_sel:DWORD
	v_cndmask_b32_e32 v27, 7, v27, vcc_lo
	v_lshlrev_b32_e32 v28, 3, v28
	v_and_b32_e32 v29, 7, v27
	v_or_b32_e32 v25, v25, v27
	v_or3_b32 v26, v28, v26, v29
	v_cmp_ne_u32_e32 vcc_lo, 0, v25
	v_cndmask_b32_e32 v25, 0, v26, vcc_lo
.LBB6_12016:                            ;   in Loop: Header=BB6_11911 Depth=2
	s_or_b32 exec_lo, exec_lo, s27
.LBB6_12017:                            ;   in Loop: Header=BB6_11911 Depth=2
	s_or_b32 exec_lo, exec_lo, s26
	flat_load_ubyte v26, v[10:11] offset:224 slc
	s_mov_b32 s13, 0
	s_mov_b32 s26, exec_lo
	s_waitcnt vmcnt(0) lgkmcnt(0)
	v_cmpx_lt_i16_e32 0x7f, v26
	s_xor_b32 s26, exec_lo, s26
	s_cbranch_execz .LBB6_12379
; %bb.12018:                            ;   in Loop: Header=BB6_11911 Depth=2
	s_mov_b32 s13, -1
	s_mov_b32 s27, exec_lo
	v_cmpx_eq_u16_e32 0x80, v26
; %bb.12019:                            ;   in Loop: Header=BB6_11911 Depth=2
	s_xor_b32 s13, exec_lo, -1
; %bb.12020:                            ;   in Loop: Header=BB6_11911 Depth=2
	s_or_b32 exec_lo, exec_lo, s27
	s_and_b32 s13, s13, exec_lo
	s_or_saveexec_b32 s26, s26
	v_mov_b32_e32 v27, 0x7f800001
	s_xor_b32 exec_lo, exec_lo, s26
	s_cbranch_execnz .LBB6_12380
.LBB6_12021:                            ;   in Loop: Header=BB6_11911 Depth=2
	s_or_b32 exec_lo, exec_lo, s26
	s_and_saveexec_b32 s26, s13
	s_cbranch_execz .LBB6_12023
.LBB6_12022:                            ;   in Loop: Header=BB6_11911 Depth=2
	v_and_b32_e32 v27, 0xffff, v26
	v_lshlrev_b32_e32 v26, 24, v26
	v_and_b32_e32 v28, 7, v27
	v_bfe_u32 v31, v27, 3, 4
	v_and_b32_e32 v26, 0x80000000, v26
	v_ffbh_u32_e32 v29, v28
	v_cmp_eq_u32_e32 vcc_lo, 0, v31
	v_min_u32_e32 v29, 32, v29
	v_subrev_nc_u32_e32 v30, 28, v29
	v_sub_nc_u32_e32 v29, 29, v29
	v_lshlrev_b32_e32 v27, v30, v27
	v_cndmask_b32_e32 v29, v31, v29, vcc_lo
	v_and_b32_e32 v27, 7, v27
	v_cndmask_b32_e32 v27, v28, v27, vcc_lo
	v_lshl_add_u32 v28, v29, 23, 0x3b800000
	v_lshlrev_b32_e32 v27, 20, v27
	v_or3_b32 v27, v26, v28, v27
.LBB6_12023:                            ;   in Loop: Header=BB6_11911 Depth=2
	s_or_b32 exec_lo, exec_lo, s26
	v_mul_f32_e32 v27, v7, v27
	v_and_b32_e32 v26, 0x7f800000, v27
	v_cmp_ne_u32_e32 vcc_lo, 0x7f800000, v26
	v_mov_b32_e32 v26, 0x80
	s_and_saveexec_b32 s26, vcc_lo
	s_cbranch_execz .LBB6_12031
; %bb.12024:                            ;   in Loop: Header=BB6_11911 Depth=2
	v_mov_b32_e32 v26, 0
	s_mov_b32 s27, exec_lo
	v_cmpx_ne_u32_e32 0, v27
	s_cbranch_execz .LBB6_12030
; %bb.12025:                            ;   in Loop: Header=BB6_11911 Depth=2
	v_bfe_u32 v26, v27, 23, 8
	v_and_b32_e32 v28, 0x7fffff, v27
	v_sub_nc_u32_e32 v29, 0x78, v26
	v_cmp_gt_u32_e32 vcc_lo, 0x79, v26
	v_or_b32_e32 v30, 0x800000, v28
	v_cndmask_b32_e32 v29, 0, v29, vcc_lo
	v_cmp_eq_u32_e32 vcc_lo, 0, v26
	v_add_nc_u32_e32 v26, 0xffffff89, v26
	v_cndmask_b32_e64 v29, v29, 0x77, vcc_lo
	v_cndmask_b32_e32 v28, v30, v28, vcc_lo
	v_cndmask_b32_e64 v26, v26, 0xffffff8a, vcc_lo
	v_lshl_add_u32 v30, 0x100000, v29, -1
	v_lshrrev_b32_e32 v31, v29, v28
	v_lshlrev_b32_e64 v33, v29, 0x80000
	v_add_nc_u32_e32 v29, v29, v26
	v_and_b32_e32 v28, v30, v28
	v_bfe_u32 v32, v31, 20, 1
	v_cmp_eq_u32_e64 s13, v28, v33
	v_add_nc_u32_e32 v30, -1, v32
	v_cndmask_b32_e64 v28, 0, v30, s13
	v_lshrrev_b32_e32 v30, 23, v31
	s_mov_b32 s13, exec_lo
	v_add_nc_u32_e32 v28, v28, v31
	v_xor_b32_e32 v30, 1, v30
	v_and_b32_e32 v26, 0xfffff, v28
	v_add_nc_u32_e32 v28, v26, v31
                                        ; implicit-def: $vgpr26
	v_cmpx_ne_u32_e64 v29, v30
	s_xor_b32 s13, exec_lo, s13
; %bb.12026:                            ;   in Loop: Header=BB6_11911 Depth=2
	v_cmp_lt_u32_e32 vcc_lo, 0xffffff, v28
	v_sub_nc_u32_e32 v26, v29, v30
	v_cndmask_b32_e64 v29, 0, 1, vcc_lo
	v_add_co_ci_u32_e64 v26, null, 0, v26, vcc_lo
	v_lshrrev_b32_e32 v28, v29, v28
; %bb.12027:                            ;   in Loop: Header=BB6_11911 Depth=2
	s_andn2_saveexec_b32 s13, s13
; %bb.12028:                            ;   in Loop: Header=BB6_11911 Depth=2
	v_bfe_u32 v26, v28, 23, 1
; %bb.12029:                            ;   in Loop: Header=BB6_11911 Depth=2
	s_or_b32 exec_lo, exec_lo, s13
	v_lshrrev_b32_e32 v28, 20, v28
	v_cmp_gt_i32_e32 vcc_lo, 16, v26
	v_min_i32_e32 v29, 15, v26
	v_and_b32_sdwa v27, v27, v81 dst_sel:DWORD dst_unused:UNUSED_PAD src0_sel:BYTE_3 src1_sel:DWORD
	v_cndmask_b32_e32 v28, 7, v28, vcc_lo
	v_lshlrev_b32_e32 v29, 3, v29
	v_and_b32_e32 v30, 7, v28
	v_or_b32_e32 v26, v26, v28
	v_or3_b32 v27, v29, v27, v30
	v_cmp_ne_u32_e32 vcc_lo, 0, v26
	v_cndmask_b32_e32 v26, 0, v27, vcc_lo
.LBB6_12030:                            ;   in Loop: Header=BB6_11911 Depth=2
	s_or_b32 exec_lo, exec_lo, s27
.LBB6_12031:                            ;   in Loop: Header=BB6_11911 Depth=2
	s_or_b32 exec_lo, exec_lo, s26
	flat_load_ubyte v27, v[10:11] offset:256 slc
	s_mov_b32 s13, 0
	s_mov_b32 s26, exec_lo
	s_waitcnt vmcnt(0) lgkmcnt(0)
	v_cmpx_lt_i16_e32 0x7f, v27
	s_xor_b32 s26, exec_lo, s26
	s_cbranch_execz .LBB6_12381
; %bb.12032:                            ;   in Loop: Header=BB6_11911 Depth=2
	s_mov_b32 s13, -1
	s_mov_b32 s27, exec_lo
	v_cmpx_eq_u16_e32 0x80, v27
; %bb.12033:                            ;   in Loop: Header=BB6_11911 Depth=2
	s_xor_b32 s13, exec_lo, -1
; %bb.12034:                            ;   in Loop: Header=BB6_11911 Depth=2
	s_or_b32 exec_lo, exec_lo, s27
	s_and_b32 s13, s13, exec_lo
	s_or_saveexec_b32 s26, s26
	v_mov_b32_e32 v28, 0x7f800001
	s_xor_b32 exec_lo, exec_lo, s26
	s_cbranch_execnz .LBB6_12382
.LBB6_12035:                            ;   in Loop: Header=BB6_11911 Depth=2
	s_or_b32 exec_lo, exec_lo, s26
	s_and_saveexec_b32 s26, s13
	s_cbranch_execz .LBB6_12037
.LBB6_12036:                            ;   in Loop: Header=BB6_11911 Depth=2
	v_and_b32_e32 v28, 0xffff, v27
	v_lshlrev_b32_e32 v27, 24, v27
	v_and_b32_e32 v29, 7, v28
	v_bfe_u32 v32, v28, 3, 4
	v_and_b32_e32 v27, 0x80000000, v27
	v_ffbh_u32_e32 v30, v29
	v_cmp_eq_u32_e32 vcc_lo, 0, v32
	v_min_u32_e32 v30, 32, v30
	v_subrev_nc_u32_e32 v31, 28, v30
	v_sub_nc_u32_e32 v30, 29, v30
	v_lshlrev_b32_e32 v28, v31, v28
	v_cndmask_b32_e32 v30, v32, v30, vcc_lo
	v_and_b32_e32 v28, 7, v28
	v_cndmask_b32_e32 v28, v29, v28, vcc_lo
	v_lshl_add_u32 v29, v30, 23, 0x3b800000
	v_lshlrev_b32_e32 v28, 20, v28
	v_or3_b32 v28, v27, v29, v28
.LBB6_12037:                            ;   in Loop: Header=BB6_11911 Depth=2
	s_or_b32 exec_lo, exec_lo, s26
	v_mul_f32_e32 v28, v7, v28
	v_and_b32_e32 v27, 0x7f800000, v28
	v_cmp_ne_u32_e32 vcc_lo, 0x7f800000, v27
	v_mov_b32_e32 v27, 0x80
	s_and_saveexec_b32 s26, vcc_lo
	s_cbranch_execz .LBB6_12045
; %bb.12038:                            ;   in Loop: Header=BB6_11911 Depth=2
	v_mov_b32_e32 v27, 0
	s_mov_b32 s27, exec_lo
	v_cmpx_ne_u32_e32 0, v28
	s_cbranch_execz .LBB6_12044
; %bb.12039:                            ;   in Loop: Header=BB6_11911 Depth=2
	v_bfe_u32 v27, v28, 23, 8
	v_and_b32_e32 v29, 0x7fffff, v28
	v_sub_nc_u32_e32 v30, 0x78, v27
	v_cmp_gt_u32_e32 vcc_lo, 0x79, v27
	v_or_b32_e32 v31, 0x800000, v29
	v_cndmask_b32_e32 v30, 0, v30, vcc_lo
	v_cmp_eq_u32_e32 vcc_lo, 0, v27
	v_add_nc_u32_e32 v27, 0xffffff89, v27
	v_cndmask_b32_e64 v30, v30, 0x77, vcc_lo
	v_cndmask_b32_e32 v29, v31, v29, vcc_lo
	v_cndmask_b32_e64 v27, v27, 0xffffff8a, vcc_lo
	v_lshl_add_u32 v31, 0x100000, v30, -1
	v_lshrrev_b32_e32 v32, v30, v29
	v_lshlrev_b32_e64 v34, v30, 0x80000
	v_add_nc_u32_e32 v30, v30, v27
	v_and_b32_e32 v29, v31, v29
	v_bfe_u32 v33, v32, 20, 1
	v_cmp_eq_u32_e64 s13, v29, v34
	v_add_nc_u32_e32 v31, -1, v33
	v_cndmask_b32_e64 v29, 0, v31, s13
	v_lshrrev_b32_e32 v31, 23, v32
	s_mov_b32 s13, exec_lo
	v_add_nc_u32_e32 v29, v29, v32
	v_xor_b32_e32 v31, 1, v31
	v_and_b32_e32 v27, 0xfffff, v29
	v_add_nc_u32_e32 v29, v27, v32
                                        ; implicit-def: $vgpr27
	v_cmpx_ne_u32_e64 v30, v31
	s_xor_b32 s13, exec_lo, s13
; %bb.12040:                            ;   in Loop: Header=BB6_11911 Depth=2
	v_cmp_lt_u32_e32 vcc_lo, 0xffffff, v29
	v_sub_nc_u32_e32 v27, v30, v31
	v_cndmask_b32_e64 v30, 0, 1, vcc_lo
	v_add_co_ci_u32_e64 v27, null, 0, v27, vcc_lo
	v_lshrrev_b32_e32 v29, v30, v29
; %bb.12041:                            ;   in Loop: Header=BB6_11911 Depth=2
	s_andn2_saveexec_b32 s13, s13
; %bb.12042:                            ;   in Loop: Header=BB6_11911 Depth=2
	v_bfe_u32 v27, v29, 23, 1
; %bb.12043:                            ;   in Loop: Header=BB6_11911 Depth=2
	s_or_b32 exec_lo, exec_lo, s13
	v_lshrrev_b32_e32 v29, 20, v29
	v_cmp_gt_i32_e32 vcc_lo, 16, v27
	v_min_i32_e32 v30, 15, v27
	v_and_b32_sdwa v28, v28, v81 dst_sel:DWORD dst_unused:UNUSED_PAD src0_sel:BYTE_3 src1_sel:DWORD
	v_cndmask_b32_e32 v29, 7, v29, vcc_lo
	v_lshlrev_b32_e32 v30, 3, v30
	v_and_b32_e32 v31, 7, v29
	v_or_b32_e32 v27, v27, v29
	v_or3_b32 v28, v30, v28, v31
	v_cmp_ne_u32_e32 vcc_lo, 0, v27
	v_cndmask_b32_e32 v27, 0, v28, vcc_lo
.LBB6_12044:                            ;   in Loop: Header=BB6_11911 Depth=2
	s_or_b32 exec_lo, exec_lo, s27
.LBB6_12045:                            ;   in Loop: Header=BB6_11911 Depth=2
	s_or_b32 exec_lo, exec_lo, s26
	flat_load_ubyte v28, v[10:11] offset:288 slc
	s_mov_b32 s13, 0
	s_mov_b32 s26, exec_lo
	s_waitcnt vmcnt(0) lgkmcnt(0)
	v_cmpx_lt_i16_e32 0x7f, v28
	s_xor_b32 s26, exec_lo, s26
	s_cbranch_execz .LBB6_12383
; %bb.12046:                            ;   in Loop: Header=BB6_11911 Depth=2
	s_mov_b32 s13, -1
	s_mov_b32 s27, exec_lo
	v_cmpx_eq_u16_e32 0x80, v28
; %bb.12047:                            ;   in Loop: Header=BB6_11911 Depth=2
	s_xor_b32 s13, exec_lo, -1
; %bb.12048:                            ;   in Loop: Header=BB6_11911 Depth=2
	s_or_b32 exec_lo, exec_lo, s27
	s_and_b32 s13, s13, exec_lo
	s_or_saveexec_b32 s26, s26
	v_mov_b32_e32 v29, 0x7f800001
	s_xor_b32 exec_lo, exec_lo, s26
	s_cbranch_execnz .LBB6_12384
.LBB6_12049:                            ;   in Loop: Header=BB6_11911 Depth=2
	s_or_b32 exec_lo, exec_lo, s26
	s_and_saveexec_b32 s26, s13
	s_cbranch_execz .LBB6_12051
.LBB6_12050:                            ;   in Loop: Header=BB6_11911 Depth=2
	v_and_b32_e32 v29, 0xffff, v28
	v_lshlrev_b32_e32 v28, 24, v28
	v_and_b32_e32 v30, 7, v29
	v_bfe_u32 v33, v29, 3, 4
	v_and_b32_e32 v28, 0x80000000, v28
	v_ffbh_u32_e32 v31, v30
	v_cmp_eq_u32_e32 vcc_lo, 0, v33
	v_min_u32_e32 v31, 32, v31
	v_subrev_nc_u32_e32 v32, 28, v31
	v_sub_nc_u32_e32 v31, 29, v31
	v_lshlrev_b32_e32 v29, v32, v29
	v_cndmask_b32_e32 v31, v33, v31, vcc_lo
	v_and_b32_e32 v29, 7, v29
	v_cndmask_b32_e32 v29, v30, v29, vcc_lo
	v_lshl_add_u32 v30, v31, 23, 0x3b800000
	v_lshlrev_b32_e32 v29, 20, v29
	v_or3_b32 v29, v28, v30, v29
.LBB6_12051:                            ;   in Loop: Header=BB6_11911 Depth=2
	s_or_b32 exec_lo, exec_lo, s26
	v_mul_f32_e32 v29, v7, v29
	v_and_b32_e32 v28, 0x7f800000, v29
	v_cmp_ne_u32_e32 vcc_lo, 0x7f800000, v28
	v_mov_b32_e32 v28, 0x80
	s_and_saveexec_b32 s26, vcc_lo
	s_cbranch_execz .LBB6_12059
; %bb.12052:                            ;   in Loop: Header=BB6_11911 Depth=2
	v_mov_b32_e32 v28, 0
	s_mov_b32 s27, exec_lo
	v_cmpx_ne_u32_e32 0, v29
	s_cbranch_execz .LBB6_12058
; %bb.12053:                            ;   in Loop: Header=BB6_11911 Depth=2
	v_bfe_u32 v28, v29, 23, 8
	v_and_b32_e32 v30, 0x7fffff, v29
	v_sub_nc_u32_e32 v31, 0x78, v28
	v_cmp_gt_u32_e32 vcc_lo, 0x79, v28
	v_or_b32_e32 v32, 0x800000, v30
	v_cndmask_b32_e32 v31, 0, v31, vcc_lo
	v_cmp_eq_u32_e32 vcc_lo, 0, v28
	v_add_nc_u32_e32 v28, 0xffffff89, v28
	v_cndmask_b32_e64 v31, v31, 0x77, vcc_lo
	v_cndmask_b32_e32 v30, v32, v30, vcc_lo
	v_cndmask_b32_e64 v28, v28, 0xffffff8a, vcc_lo
	v_lshl_add_u32 v32, 0x100000, v31, -1
	v_lshrrev_b32_e32 v33, v31, v30
	v_lshlrev_b32_e64 v35, v31, 0x80000
	v_add_nc_u32_e32 v31, v31, v28
	v_and_b32_e32 v30, v32, v30
	v_bfe_u32 v34, v33, 20, 1
	v_cmp_eq_u32_e64 s13, v30, v35
	v_add_nc_u32_e32 v32, -1, v34
	v_cndmask_b32_e64 v30, 0, v32, s13
	v_lshrrev_b32_e32 v32, 23, v33
	s_mov_b32 s13, exec_lo
	v_add_nc_u32_e32 v30, v30, v33
	v_xor_b32_e32 v32, 1, v32
	v_and_b32_e32 v28, 0xfffff, v30
	v_add_nc_u32_e32 v30, v28, v33
                                        ; implicit-def: $vgpr28
	v_cmpx_ne_u32_e64 v31, v32
	s_xor_b32 s13, exec_lo, s13
; %bb.12054:                            ;   in Loop: Header=BB6_11911 Depth=2
	v_cmp_lt_u32_e32 vcc_lo, 0xffffff, v30
	v_sub_nc_u32_e32 v28, v31, v32
	v_cndmask_b32_e64 v31, 0, 1, vcc_lo
	v_add_co_ci_u32_e64 v28, null, 0, v28, vcc_lo
	v_lshrrev_b32_e32 v30, v31, v30
; %bb.12055:                            ;   in Loop: Header=BB6_11911 Depth=2
	s_andn2_saveexec_b32 s13, s13
; %bb.12056:                            ;   in Loop: Header=BB6_11911 Depth=2
	v_bfe_u32 v28, v30, 23, 1
; %bb.12057:                            ;   in Loop: Header=BB6_11911 Depth=2
	s_or_b32 exec_lo, exec_lo, s13
	v_lshrrev_b32_e32 v30, 20, v30
	v_cmp_gt_i32_e32 vcc_lo, 16, v28
	v_min_i32_e32 v31, 15, v28
	v_and_b32_sdwa v29, v29, v81 dst_sel:DWORD dst_unused:UNUSED_PAD src0_sel:BYTE_3 src1_sel:DWORD
	v_cndmask_b32_e32 v30, 7, v30, vcc_lo
	v_lshlrev_b32_e32 v31, 3, v31
	v_and_b32_e32 v32, 7, v30
	v_or_b32_e32 v28, v28, v30
	v_or3_b32 v29, v31, v29, v32
	v_cmp_ne_u32_e32 vcc_lo, 0, v28
	v_cndmask_b32_e32 v28, 0, v29, vcc_lo
.LBB6_12058:                            ;   in Loop: Header=BB6_11911 Depth=2
	s_or_b32 exec_lo, exec_lo, s27
.LBB6_12059:                            ;   in Loop: Header=BB6_11911 Depth=2
	s_or_b32 exec_lo, exec_lo, s26
	flat_load_ubyte v29, v[10:11] offset:320 slc
	s_mov_b32 s13, 0
	s_mov_b32 s26, exec_lo
	s_waitcnt vmcnt(0) lgkmcnt(0)
	v_cmpx_lt_i16_e32 0x7f, v29
	s_xor_b32 s26, exec_lo, s26
	s_cbranch_execz .LBB6_12385
; %bb.12060:                            ;   in Loop: Header=BB6_11911 Depth=2
	s_mov_b32 s13, -1
	s_mov_b32 s27, exec_lo
	v_cmpx_eq_u16_e32 0x80, v29
; %bb.12061:                            ;   in Loop: Header=BB6_11911 Depth=2
	s_xor_b32 s13, exec_lo, -1
; %bb.12062:                            ;   in Loop: Header=BB6_11911 Depth=2
	s_or_b32 exec_lo, exec_lo, s27
	s_and_b32 s13, s13, exec_lo
	s_or_saveexec_b32 s26, s26
	v_mov_b32_e32 v30, 0x7f800001
	s_xor_b32 exec_lo, exec_lo, s26
	s_cbranch_execnz .LBB6_12386
.LBB6_12063:                            ;   in Loop: Header=BB6_11911 Depth=2
	s_or_b32 exec_lo, exec_lo, s26
	s_and_saveexec_b32 s26, s13
	s_cbranch_execz .LBB6_12065
.LBB6_12064:                            ;   in Loop: Header=BB6_11911 Depth=2
	v_and_b32_e32 v30, 0xffff, v29
	v_lshlrev_b32_e32 v29, 24, v29
	v_and_b32_e32 v31, 7, v30
	v_bfe_u32 v34, v30, 3, 4
	v_and_b32_e32 v29, 0x80000000, v29
	v_ffbh_u32_e32 v32, v31
	v_cmp_eq_u32_e32 vcc_lo, 0, v34
	v_min_u32_e32 v32, 32, v32
	v_subrev_nc_u32_e32 v33, 28, v32
	v_sub_nc_u32_e32 v32, 29, v32
	v_lshlrev_b32_e32 v30, v33, v30
	v_cndmask_b32_e32 v32, v34, v32, vcc_lo
	v_and_b32_e32 v30, 7, v30
	v_cndmask_b32_e32 v30, v31, v30, vcc_lo
	v_lshl_add_u32 v31, v32, 23, 0x3b800000
	v_lshlrev_b32_e32 v30, 20, v30
	v_or3_b32 v30, v29, v31, v30
.LBB6_12065:                            ;   in Loop: Header=BB6_11911 Depth=2
	s_or_b32 exec_lo, exec_lo, s26
	v_mul_f32_e32 v30, v7, v30
	v_and_b32_e32 v29, 0x7f800000, v30
	v_cmp_ne_u32_e32 vcc_lo, 0x7f800000, v29
	v_mov_b32_e32 v29, 0x80
	s_and_saveexec_b32 s26, vcc_lo
	s_cbranch_execz .LBB6_12073
; %bb.12066:                            ;   in Loop: Header=BB6_11911 Depth=2
	v_mov_b32_e32 v29, 0
	s_mov_b32 s27, exec_lo
	v_cmpx_ne_u32_e32 0, v30
	s_cbranch_execz .LBB6_12072
; %bb.12067:                            ;   in Loop: Header=BB6_11911 Depth=2
	v_bfe_u32 v29, v30, 23, 8
	v_and_b32_e32 v31, 0x7fffff, v30
	v_sub_nc_u32_e32 v32, 0x78, v29
	v_cmp_gt_u32_e32 vcc_lo, 0x79, v29
	v_or_b32_e32 v33, 0x800000, v31
	v_cndmask_b32_e32 v32, 0, v32, vcc_lo
	v_cmp_eq_u32_e32 vcc_lo, 0, v29
	v_add_nc_u32_e32 v29, 0xffffff89, v29
	v_cndmask_b32_e64 v32, v32, 0x77, vcc_lo
	v_cndmask_b32_e32 v31, v33, v31, vcc_lo
	v_cndmask_b32_e64 v29, v29, 0xffffff8a, vcc_lo
	v_lshl_add_u32 v33, 0x100000, v32, -1
	v_lshrrev_b32_e32 v34, v32, v31
	v_lshlrev_b32_e64 v36, v32, 0x80000
	v_add_nc_u32_e32 v32, v32, v29
	v_and_b32_e32 v31, v33, v31
	v_bfe_u32 v35, v34, 20, 1
	v_cmp_eq_u32_e64 s13, v31, v36
	v_add_nc_u32_e32 v33, -1, v35
	v_cndmask_b32_e64 v31, 0, v33, s13
	v_lshrrev_b32_e32 v33, 23, v34
	s_mov_b32 s13, exec_lo
	v_add_nc_u32_e32 v31, v31, v34
	v_xor_b32_e32 v33, 1, v33
	v_and_b32_e32 v29, 0xfffff, v31
	v_add_nc_u32_e32 v31, v29, v34
                                        ; implicit-def: $vgpr29
	v_cmpx_ne_u32_e64 v32, v33
	s_xor_b32 s13, exec_lo, s13
; %bb.12068:                            ;   in Loop: Header=BB6_11911 Depth=2
	v_cmp_lt_u32_e32 vcc_lo, 0xffffff, v31
	v_sub_nc_u32_e32 v29, v32, v33
	v_cndmask_b32_e64 v32, 0, 1, vcc_lo
	v_add_co_ci_u32_e64 v29, null, 0, v29, vcc_lo
	v_lshrrev_b32_e32 v31, v32, v31
; %bb.12069:                            ;   in Loop: Header=BB6_11911 Depth=2
	s_andn2_saveexec_b32 s13, s13
; %bb.12070:                            ;   in Loop: Header=BB6_11911 Depth=2
	v_bfe_u32 v29, v31, 23, 1
; %bb.12071:                            ;   in Loop: Header=BB6_11911 Depth=2
	s_or_b32 exec_lo, exec_lo, s13
	v_lshrrev_b32_e32 v31, 20, v31
	v_cmp_gt_i32_e32 vcc_lo, 16, v29
	v_min_i32_e32 v32, 15, v29
	v_and_b32_sdwa v30, v30, v81 dst_sel:DWORD dst_unused:UNUSED_PAD src0_sel:BYTE_3 src1_sel:DWORD
	v_cndmask_b32_e32 v31, 7, v31, vcc_lo
	v_lshlrev_b32_e32 v32, 3, v32
	v_and_b32_e32 v33, 7, v31
	v_or_b32_e32 v29, v29, v31
	v_or3_b32 v30, v32, v30, v33
	v_cmp_ne_u32_e32 vcc_lo, 0, v29
	v_cndmask_b32_e32 v29, 0, v30, vcc_lo
.LBB6_12072:                            ;   in Loop: Header=BB6_11911 Depth=2
	s_or_b32 exec_lo, exec_lo, s27
.LBB6_12073:                            ;   in Loop: Header=BB6_11911 Depth=2
	s_or_b32 exec_lo, exec_lo, s26
	flat_load_ubyte v30, v[10:11] offset:352 slc
	s_mov_b32 s13, 0
	s_mov_b32 s26, exec_lo
	s_waitcnt vmcnt(0) lgkmcnt(0)
	v_cmpx_lt_i16_e32 0x7f, v30
	s_xor_b32 s26, exec_lo, s26
	s_cbranch_execz .LBB6_12387
; %bb.12074:                            ;   in Loop: Header=BB6_11911 Depth=2
	s_mov_b32 s13, -1
	s_mov_b32 s27, exec_lo
	v_cmpx_eq_u16_e32 0x80, v30
; %bb.12075:                            ;   in Loop: Header=BB6_11911 Depth=2
	s_xor_b32 s13, exec_lo, -1
; %bb.12076:                            ;   in Loop: Header=BB6_11911 Depth=2
	s_or_b32 exec_lo, exec_lo, s27
	s_and_b32 s13, s13, exec_lo
	s_or_saveexec_b32 s26, s26
	v_mov_b32_e32 v31, 0x7f800001
	s_xor_b32 exec_lo, exec_lo, s26
	s_cbranch_execnz .LBB6_12388
.LBB6_12077:                            ;   in Loop: Header=BB6_11911 Depth=2
	s_or_b32 exec_lo, exec_lo, s26
	s_and_saveexec_b32 s26, s13
	s_cbranch_execz .LBB6_12079
.LBB6_12078:                            ;   in Loop: Header=BB6_11911 Depth=2
	v_and_b32_e32 v31, 0xffff, v30
	v_lshlrev_b32_e32 v30, 24, v30
	v_and_b32_e32 v32, 7, v31
	v_bfe_u32 v35, v31, 3, 4
	v_and_b32_e32 v30, 0x80000000, v30
	v_ffbh_u32_e32 v33, v32
	v_cmp_eq_u32_e32 vcc_lo, 0, v35
	v_min_u32_e32 v33, 32, v33
	v_subrev_nc_u32_e32 v34, 28, v33
	v_sub_nc_u32_e32 v33, 29, v33
	v_lshlrev_b32_e32 v31, v34, v31
	v_cndmask_b32_e32 v33, v35, v33, vcc_lo
	v_and_b32_e32 v31, 7, v31
	v_cndmask_b32_e32 v31, v32, v31, vcc_lo
	v_lshl_add_u32 v32, v33, 23, 0x3b800000
	v_lshlrev_b32_e32 v31, 20, v31
	v_or3_b32 v31, v30, v32, v31
.LBB6_12079:                            ;   in Loop: Header=BB6_11911 Depth=2
	s_or_b32 exec_lo, exec_lo, s26
	v_mul_f32_e32 v31, v7, v31
	v_and_b32_e32 v30, 0x7f800000, v31
	v_cmp_ne_u32_e32 vcc_lo, 0x7f800000, v30
	v_mov_b32_e32 v30, 0x80
	s_and_saveexec_b32 s26, vcc_lo
	s_cbranch_execz .LBB6_12087
; %bb.12080:                            ;   in Loop: Header=BB6_11911 Depth=2
	v_mov_b32_e32 v30, 0
	s_mov_b32 s27, exec_lo
	v_cmpx_ne_u32_e32 0, v31
	s_cbranch_execz .LBB6_12086
; %bb.12081:                            ;   in Loop: Header=BB6_11911 Depth=2
	v_bfe_u32 v30, v31, 23, 8
	v_and_b32_e32 v32, 0x7fffff, v31
	v_sub_nc_u32_e32 v33, 0x78, v30
	v_cmp_gt_u32_e32 vcc_lo, 0x79, v30
	v_or_b32_e32 v34, 0x800000, v32
	v_cndmask_b32_e32 v33, 0, v33, vcc_lo
	v_cmp_eq_u32_e32 vcc_lo, 0, v30
	v_add_nc_u32_e32 v30, 0xffffff89, v30
	v_cndmask_b32_e64 v33, v33, 0x77, vcc_lo
	v_cndmask_b32_e32 v32, v34, v32, vcc_lo
	v_cndmask_b32_e64 v30, v30, 0xffffff8a, vcc_lo
	v_lshl_add_u32 v34, 0x100000, v33, -1
	v_lshrrev_b32_e32 v35, v33, v32
	v_lshlrev_b32_e64 v37, v33, 0x80000
	v_add_nc_u32_e32 v33, v33, v30
	v_and_b32_e32 v32, v34, v32
	v_bfe_u32 v36, v35, 20, 1
	v_cmp_eq_u32_e64 s13, v32, v37
	v_add_nc_u32_e32 v34, -1, v36
	v_cndmask_b32_e64 v32, 0, v34, s13
	v_lshrrev_b32_e32 v34, 23, v35
	s_mov_b32 s13, exec_lo
	v_add_nc_u32_e32 v32, v32, v35
	v_xor_b32_e32 v34, 1, v34
	v_and_b32_e32 v30, 0xfffff, v32
	v_add_nc_u32_e32 v32, v30, v35
                                        ; implicit-def: $vgpr30
	v_cmpx_ne_u32_e64 v33, v34
	s_xor_b32 s13, exec_lo, s13
; %bb.12082:                            ;   in Loop: Header=BB6_11911 Depth=2
	v_cmp_lt_u32_e32 vcc_lo, 0xffffff, v32
	v_sub_nc_u32_e32 v30, v33, v34
	v_cndmask_b32_e64 v33, 0, 1, vcc_lo
	v_add_co_ci_u32_e64 v30, null, 0, v30, vcc_lo
	v_lshrrev_b32_e32 v32, v33, v32
; %bb.12083:                            ;   in Loop: Header=BB6_11911 Depth=2
	s_andn2_saveexec_b32 s13, s13
; %bb.12084:                            ;   in Loop: Header=BB6_11911 Depth=2
	v_bfe_u32 v30, v32, 23, 1
; %bb.12085:                            ;   in Loop: Header=BB6_11911 Depth=2
	s_or_b32 exec_lo, exec_lo, s13
	v_lshrrev_b32_e32 v32, 20, v32
	v_cmp_gt_i32_e32 vcc_lo, 16, v30
	v_min_i32_e32 v33, 15, v30
	v_and_b32_sdwa v31, v31, v81 dst_sel:DWORD dst_unused:UNUSED_PAD src0_sel:BYTE_3 src1_sel:DWORD
	v_cndmask_b32_e32 v32, 7, v32, vcc_lo
	v_lshlrev_b32_e32 v33, 3, v33
	v_and_b32_e32 v34, 7, v32
	v_or_b32_e32 v30, v30, v32
	v_or3_b32 v31, v33, v31, v34
	v_cmp_ne_u32_e32 vcc_lo, 0, v30
	v_cndmask_b32_e32 v30, 0, v31, vcc_lo
.LBB6_12086:                            ;   in Loop: Header=BB6_11911 Depth=2
	s_or_b32 exec_lo, exec_lo, s27
.LBB6_12087:                            ;   in Loop: Header=BB6_11911 Depth=2
	s_or_b32 exec_lo, exec_lo, s26
	flat_load_ubyte v31, v[10:11] offset:384 slc
	s_mov_b32 s13, 0
	s_mov_b32 s26, exec_lo
	s_waitcnt vmcnt(0) lgkmcnt(0)
	v_cmpx_lt_i16_e32 0x7f, v31
	s_xor_b32 s26, exec_lo, s26
	s_cbranch_execz .LBB6_12389
; %bb.12088:                            ;   in Loop: Header=BB6_11911 Depth=2
	s_mov_b32 s13, -1
	s_mov_b32 s27, exec_lo
	v_cmpx_eq_u16_e32 0x80, v31
; %bb.12089:                            ;   in Loop: Header=BB6_11911 Depth=2
	s_xor_b32 s13, exec_lo, -1
; %bb.12090:                            ;   in Loop: Header=BB6_11911 Depth=2
	s_or_b32 exec_lo, exec_lo, s27
	s_and_b32 s13, s13, exec_lo
	s_or_saveexec_b32 s26, s26
	v_mov_b32_e32 v32, 0x7f800001
	s_xor_b32 exec_lo, exec_lo, s26
	s_cbranch_execnz .LBB6_12390
.LBB6_12091:                            ;   in Loop: Header=BB6_11911 Depth=2
	s_or_b32 exec_lo, exec_lo, s26
	s_and_saveexec_b32 s26, s13
	s_cbranch_execz .LBB6_12093
.LBB6_12092:                            ;   in Loop: Header=BB6_11911 Depth=2
	v_and_b32_e32 v32, 0xffff, v31
	v_lshlrev_b32_e32 v31, 24, v31
	v_and_b32_e32 v33, 7, v32
	v_bfe_u32 v36, v32, 3, 4
	v_and_b32_e32 v31, 0x80000000, v31
	v_ffbh_u32_e32 v34, v33
	v_cmp_eq_u32_e32 vcc_lo, 0, v36
	v_min_u32_e32 v34, 32, v34
	v_subrev_nc_u32_e32 v35, 28, v34
	v_sub_nc_u32_e32 v34, 29, v34
	v_lshlrev_b32_e32 v32, v35, v32
	v_cndmask_b32_e32 v34, v36, v34, vcc_lo
	v_and_b32_e32 v32, 7, v32
	v_cndmask_b32_e32 v32, v33, v32, vcc_lo
	v_lshl_add_u32 v33, v34, 23, 0x3b800000
	v_lshlrev_b32_e32 v32, 20, v32
	v_or3_b32 v32, v31, v33, v32
.LBB6_12093:                            ;   in Loop: Header=BB6_11911 Depth=2
	s_or_b32 exec_lo, exec_lo, s26
	v_mul_f32_e32 v32, v7, v32
	v_and_b32_e32 v31, 0x7f800000, v32
	v_cmp_ne_u32_e32 vcc_lo, 0x7f800000, v31
	v_mov_b32_e32 v31, 0x80
	s_and_saveexec_b32 s26, vcc_lo
	s_cbranch_execz .LBB6_12101
; %bb.12094:                            ;   in Loop: Header=BB6_11911 Depth=2
	v_mov_b32_e32 v31, 0
	s_mov_b32 s27, exec_lo
	v_cmpx_ne_u32_e32 0, v32
	s_cbranch_execz .LBB6_12100
; %bb.12095:                            ;   in Loop: Header=BB6_11911 Depth=2
	v_bfe_u32 v31, v32, 23, 8
	v_and_b32_e32 v33, 0x7fffff, v32
	v_sub_nc_u32_e32 v34, 0x78, v31
	v_cmp_gt_u32_e32 vcc_lo, 0x79, v31
	v_or_b32_e32 v35, 0x800000, v33
	v_cndmask_b32_e32 v34, 0, v34, vcc_lo
	v_cmp_eq_u32_e32 vcc_lo, 0, v31
	v_add_nc_u32_e32 v31, 0xffffff89, v31
	v_cndmask_b32_e64 v34, v34, 0x77, vcc_lo
	v_cndmask_b32_e32 v33, v35, v33, vcc_lo
	v_cndmask_b32_e64 v31, v31, 0xffffff8a, vcc_lo
	v_lshl_add_u32 v35, 0x100000, v34, -1
	v_lshrrev_b32_e32 v36, v34, v33
	v_lshlrev_b32_e64 v48, v34, 0x80000
	v_add_nc_u32_e32 v34, v34, v31
	v_and_b32_e32 v33, v35, v33
	v_bfe_u32 v37, v36, 20, 1
	v_cmp_eq_u32_e64 s13, v33, v48
	v_add_nc_u32_e32 v35, -1, v37
	v_cndmask_b32_e64 v33, 0, v35, s13
	v_lshrrev_b32_e32 v35, 23, v36
	s_mov_b32 s13, exec_lo
	v_add_nc_u32_e32 v33, v33, v36
	v_xor_b32_e32 v35, 1, v35
	v_and_b32_e32 v31, 0xfffff, v33
	v_add_nc_u32_e32 v33, v31, v36
                                        ; implicit-def: $vgpr31
	v_cmpx_ne_u32_e64 v34, v35
	s_xor_b32 s13, exec_lo, s13
; %bb.12096:                            ;   in Loop: Header=BB6_11911 Depth=2
	v_cmp_lt_u32_e32 vcc_lo, 0xffffff, v33
	v_sub_nc_u32_e32 v31, v34, v35
	v_cndmask_b32_e64 v34, 0, 1, vcc_lo
	v_add_co_ci_u32_e64 v31, null, 0, v31, vcc_lo
	v_lshrrev_b32_e32 v33, v34, v33
; %bb.12097:                            ;   in Loop: Header=BB6_11911 Depth=2
	s_andn2_saveexec_b32 s13, s13
; %bb.12098:                            ;   in Loop: Header=BB6_11911 Depth=2
	v_bfe_u32 v31, v33, 23, 1
; %bb.12099:                            ;   in Loop: Header=BB6_11911 Depth=2
	s_or_b32 exec_lo, exec_lo, s13
	v_lshrrev_b32_e32 v33, 20, v33
	v_cmp_gt_i32_e32 vcc_lo, 16, v31
	v_min_i32_e32 v34, 15, v31
	v_and_b32_sdwa v32, v32, v81 dst_sel:DWORD dst_unused:UNUSED_PAD src0_sel:BYTE_3 src1_sel:DWORD
	v_cndmask_b32_e32 v33, 7, v33, vcc_lo
	v_lshlrev_b32_e32 v34, 3, v34
	v_and_b32_e32 v35, 7, v33
	v_or_b32_e32 v31, v31, v33
	v_or3_b32 v32, v34, v32, v35
	v_cmp_ne_u32_e32 vcc_lo, 0, v31
	v_cndmask_b32_e32 v31, 0, v32, vcc_lo
.LBB6_12100:                            ;   in Loop: Header=BB6_11911 Depth=2
	s_or_b32 exec_lo, exec_lo, s27
.LBB6_12101:                            ;   in Loop: Header=BB6_11911 Depth=2
	s_or_b32 exec_lo, exec_lo, s26
	flat_load_ubyte v32, v[10:11] offset:416 slc
	s_mov_b32 s13, 0
	s_mov_b32 s26, exec_lo
	s_waitcnt vmcnt(0) lgkmcnt(0)
	v_cmpx_lt_i16_e32 0x7f, v32
	s_xor_b32 s26, exec_lo, s26
	s_cbranch_execz .LBB6_12391
; %bb.12102:                            ;   in Loop: Header=BB6_11911 Depth=2
	s_mov_b32 s13, -1
	s_mov_b32 s27, exec_lo
	v_cmpx_eq_u16_e32 0x80, v32
; %bb.12103:                            ;   in Loop: Header=BB6_11911 Depth=2
	s_xor_b32 s13, exec_lo, -1
; %bb.12104:                            ;   in Loop: Header=BB6_11911 Depth=2
	s_or_b32 exec_lo, exec_lo, s27
	s_and_b32 s13, s13, exec_lo
	s_or_saveexec_b32 s26, s26
	v_mov_b32_e32 v33, 0x7f800001
	s_xor_b32 exec_lo, exec_lo, s26
	s_cbranch_execnz .LBB6_12392
.LBB6_12105:                            ;   in Loop: Header=BB6_11911 Depth=2
	s_or_b32 exec_lo, exec_lo, s26
	s_and_saveexec_b32 s26, s13
	s_cbranch_execz .LBB6_12107
.LBB6_12106:                            ;   in Loop: Header=BB6_11911 Depth=2
	v_and_b32_e32 v33, 0xffff, v32
	v_lshlrev_b32_e32 v32, 24, v32
	v_and_b32_e32 v34, 7, v33
	v_bfe_u32 v37, v33, 3, 4
	v_and_b32_e32 v32, 0x80000000, v32
	v_ffbh_u32_e32 v35, v34
	v_cmp_eq_u32_e32 vcc_lo, 0, v37
	v_min_u32_e32 v35, 32, v35
	v_subrev_nc_u32_e32 v36, 28, v35
	v_sub_nc_u32_e32 v35, 29, v35
	v_lshlrev_b32_e32 v33, v36, v33
	v_cndmask_b32_e32 v35, v37, v35, vcc_lo
	v_and_b32_e32 v33, 7, v33
	v_cndmask_b32_e32 v33, v34, v33, vcc_lo
	v_lshl_add_u32 v34, v35, 23, 0x3b800000
	v_lshlrev_b32_e32 v33, 20, v33
	v_or3_b32 v33, v32, v34, v33
.LBB6_12107:                            ;   in Loop: Header=BB6_11911 Depth=2
	s_or_b32 exec_lo, exec_lo, s26
	v_mul_f32_e32 v33, v7, v33
	v_and_b32_e32 v32, 0x7f800000, v33
	v_cmp_ne_u32_e32 vcc_lo, 0x7f800000, v32
	v_mov_b32_e32 v32, 0x80
	s_and_saveexec_b32 s26, vcc_lo
	s_cbranch_execz .LBB6_12115
; %bb.12108:                            ;   in Loop: Header=BB6_11911 Depth=2
	v_mov_b32_e32 v32, 0
	s_mov_b32 s27, exec_lo
	v_cmpx_ne_u32_e32 0, v33
	s_cbranch_execz .LBB6_12114
; %bb.12109:                            ;   in Loop: Header=BB6_11911 Depth=2
	v_bfe_u32 v32, v33, 23, 8
	v_and_b32_e32 v34, 0x7fffff, v33
	v_sub_nc_u32_e32 v35, 0x78, v32
	v_cmp_gt_u32_e32 vcc_lo, 0x79, v32
	v_or_b32_e32 v36, 0x800000, v34
	v_cndmask_b32_e32 v35, 0, v35, vcc_lo
	v_cmp_eq_u32_e32 vcc_lo, 0, v32
	v_add_nc_u32_e32 v32, 0xffffff89, v32
	v_cndmask_b32_e64 v35, v35, 0x77, vcc_lo
	v_cndmask_b32_e32 v34, v36, v34, vcc_lo
	v_cndmask_b32_e64 v32, v32, 0xffffff8a, vcc_lo
	v_lshl_add_u32 v36, 0x100000, v35, -1
	v_lshrrev_b32_e32 v37, v35, v34
	v_lshlrev_b32_e64 v49, v35, 0x80000
	v_add_nc_u32_e32 v35, v35, v32
	v_and_b32_e32 v34, v36, v34
	v_bfe_u32 v48, v37, 20, 1
	v_cmp_eq_u32_e64 s13, v34, v49
	v_add_nc_u32_e32 v36, -1, v48
	v_cndmask_b32_e64 v34, 0, v36, s13
	v_lshrrev_b32_e32 v36, 23, v37
	s_mov_b32 s13, exec_lo
	v_add_nc_u32_e32 v34, v34, v37
	v_xor_b32_e32 v36, 1, v36
	v_and_b32_e32 v32, 0xfffff, v34
	v_add_nc_u32_e32 v34, v32, v37
                                        ; implicit-def: $vgpr32
	v_cmpx_ne_u32_e64 v35, v36
	s_xor_b32 s13, exec_lo, s13
; %bb.12110:                            ;   in Loop: Header=BB6_11911 Depth=2
	v_cmp_lt_u32_e32 vcc_lo, 0xffffff, v34
	v_sub_nc_u32_e32 v32, v35, v36
	v_cndmask_b32_e64 v35, 0, 1, vcc_lo
	v_add_co_ci_u32_e64 v32, null, 0, v32, vcc_lo
	v_lshrrev_b32_e32 v34, v35, v34
; %bb.12111:                            ;   in Loop: Header=BB6_11911 Depth=2
	s_andn2_saveexec_b32 s13, s13
; %bb.12112:                            ;   in Loop: Header=BB6_11911 Depth=2
	v_bfe_u32 v32, v34, 23, 1
; %bb.12113:                            ;   in Loop: Header=BB6_11911 Depth=2
	s_or_b32 exec_lo, exec_lo, s13
	v_lshrrev_b32_e32 v34, 20, v34
	v_cmp_gt_i32_e32 vcc_lo, 16, v32
	v_min_i32_e32 v35, 15, v32
	v_and_b32_sdwa v33, v33, v81 dst_sel:DWORD dst_unused:UNUSED_PAD src0_sel:BYTE_3 src1_sel:DWORD
	v_cndmask_b32_e32 v34, 7, v34, vcc_lo
	v_lshlrev_b32_e32 v35, 3, v35
	v_and_b32_e32 v36, 7, v34
	v_or_b32_e32 v32, v32, v34
	v_or3_b32 v33, v35, v33, v36
	v_cmp_ne_u32_e32 vcc_lo, 0, v32
	v_cndmask_b32_e32 v32, 0, v33, vcc_lo
.LBB6_12114:                            ;   in Loop: Header=BB6_11911 Depth=2
	s_or_b32 exec_lo, exec_lo, s27
.LBB6_12115:                            ;   in Loop: Header=BB6_11911 Depth=2
	s_or_b32 exec_lo, exec_lo, s26
	flat_load_ubyte v33, v[10:11] offset:448 slc
	s_mov_b32 s13, 0
	s_mov_b32 s26, exec_lo
	s_waitcnt vmcnt(0) lgkmcnt(0)
	v_cmpx_lt_i16_e32 0x7f, v33
	s_xor_b32 s26, exec_lo, s26
	s_cbranch_execz .LBB6_12393
; %bb.12116:                            ;   in Loop: Header=BB6_11911 Depth=2
	s_mov_b32 s13, -1
	s_mov_b32 s27, exec_lo
	v_cmpx_eq_u16_e32 0x80, v33
; %bb.12117:                            ;   in Loop: Header=BB6_11911 Depth=2
	s_xor_b32 s13, exec_lo, -1
; %bb.12118:                            ;   in Loop: Header=BB6_11911 Depth=2
	s_or_b32 exec_lo, exec_lo, s27
	s_and_b32 s13, s13, exec_lo
	s_or_saveexec_b32 s26, s26
	v_mov_b32_e32 v34, 0x7f800001
	s_xor_b32 exec_lo, exec_lo, s26
	s_cbranch_execnz .LBB6_12394
.LBB6_12119:                            ;   in Loop: Header=BB6_11911 Depth=2
	s_or_b32 exec_lo, exec_lo, s26
	s_and_saveexec_b32 s26, s13
	s_cbranch_execz .LBB6_12121
.LBB6_12120:                            ;   in Loop: Header=BB6_11911 Depth=2
	v_and_b32_e32 v34, 0xffff, v33
	v_lshlrev_b32_e32 v33, 24, v33
	v_and_b32_e32 v35, 7, v34
	v_bfe_u32 v48, v34, 3, 4
	v_and_b32_e32 v33, 0x80000000, v33
	v_ffbh_u32_e32 v36, v35
	v_cmp_eq_u32_e32 vcc_lo, 0, v48
	v_min_u32_e32 v36, 32, v36
	v_subrev_nc_u32_e32 v37, 28, v36
	v_sub_nc_u32_e32 v36, 29, v36
	v_lshlrev_b32_e32 v34, v37, v34
	v_cndmask_b32_e32 v36, v48, v36, vcc_lo
	v_and_b32_e32 v34, 7, v34
	v_cndmask_b32_e32 v34, v35, v34, vcc_lo
	v_lshl_add_u32 v35, v36, 23, 0x3b800000
	v_lshlrev_b32_e32 v34, 20, v34
	v_or3_b32 v34, v33, v35, v34
.LBB6_12121:                            ;   in Loop: Header=BB6_11911 Depth=2
	s_or_b32 exec_lo, exec_lo, s26
	v_mul_f32_e32 v34, v7, v34
	v_and_b32_e32 v33, 0x7f800000, v34
	v_cmp_ne_u32_e32 vcc_lo, 0x7f800000, v33
	v_mov_b32_e32 v33, 0x80
	s_and_saveexec_b32 s26, vcc_lo
	s_cbranch_execz .LBB6_12129
; %bb.12122:                            ;   in Loop: Header=BB6_11911 Depth=2
	v_mov_b32_e32 v33, 0
	s_mov_b32 s27, exec_lo
	v_cmpx_ne_u32_e32 0, v34
	s_cbranch_execz .LBB6_12128
; %bb.12123:                            ;   in Loop: Header=BB6_11911 Depth=2
	v_bfe_u32 v33, v34, 23, 8
	v_and_b32_e32 v35, 0x7fffff, v34
	v_sub_nc_u32_e32 v36, 0x78, v33
	v_cmp_gt_u32_e32 vcc_lo, 0x79, v33
	v_or_b32_e32 v37, 0x800000, v35
	v_cndmask_b32_e32 v36, 0, v36, vcc_lo
	v_cmp_eq_u32_e32 vcc_lo, 0, v33
	v_add_nc_u32_e32 v33, 0xffffff89, v33
	v_cndmask_b32_e64 v36, v36, 0x77, vcc_lo
	v_cndmask_b32_e32 v35, v37, v35, vcc_lo
	v_cndmask_b32_e64 v33, v33, 0xffffff8a, vcc_lo
	v_lshl_add_u32 v37, 0x100000, v36, -1
	v_lshrrev_b32_e32 v48, v36, v35
	v_lshlrev_b32_e64 v50, v36, 0x80000
	v_add_nc_u32_e32 v36, v36, v33
	v_and_b32_e32 v35, v37, v35
	v_bfe_u32 v49, v48, 20, 1
	v_cmp_eq_u32_e64 s13, v35, v50
	v_add_nc_u32_e32 v37, -1, v49
	v_cndmask_b32_e64 v35, 0, v37, s13
	v_lshrrev_b32_e32 v37, 23, v48
	s_mov_b32 s13, exec_lo
	v_add_nc_u32_e32 v35, v35, v48
	v_xor_b32_e32 v37, 1, v37
	v_and_b32_e32 v33, 0xfffff, v35
	v_add_nc_u32_e32 v35, v33, v48
                                        ; implicit-def: $vgpr33
	v_cmpx_ne_u32_e64 v36, v37
	s_xor_b32 s13, exec_lo, s13
; %bb.12124:                            ;   in Loop: Header=BB6_11911 Depth=2
	v_cmp_lt_u32_e32 vcc_lo, 0xffffff, v35
	v_sub_nc_u32_e32 v33, v36, v37
	v_cndmask_b32_e64 v36, 0, 1, vcc_lo
	v_add_co_ci_u32_e64 v33, null, 0, v33, vcc_lo
	v_lshrrev_b32_e32 v35, v36, v35
; %bb.12125:                            ;   in Loop: Header=BB6_11911 Depth=2
	s_andn2_saveexec_b32 s13, s13
; %bb.12126:                            ;   in Loop: Header=BB6_11911 Depth=2
	v_bfe_u32 v33, v35, 23, 1
; %bb.12127:                            ;   in Loop: Header=BB6_11911 Depth=2
	s_or_b32 exec_lo, exec_lo, s13
	v_lshrrev_b32_e32 v35, 20, v35
	v_cmp_gt_i32_e32 vcc_lo, 16, v33
	v_min_i32_e32 v36, 15, v33
	v_and_b32_sdwa v34, v34, v81 dst_sel:DWORD dst_unused:UNUSED_PAD src0_sel:BYTE_3 src1_sel:DWORD
	v_cndmask_b32_e32 v35, 7, v35, vcc_lo
	v_lshlrev_b32_e32 v36, 3, v36
	v_and_b32_e32 v37, 7, v35
	v_or_b32_e32 v33, v33, v35
	v_or3_b32 v34, v36, v34, v37
	v_cmp_ne_u32_e32 vcc_lo, 0, v33
	v_cndmask_b32_e32 v33, 0, v34, vcc_lo
.LBB6_12128:                            ;   in Loop: Header=BB6_11911 Depth=2
	s_or_b32 exec_lo, exec_lo, s27
.LBB6_12129:                            ;   in Loop: Header=BB6_11911 Depth=2
	s_or_b32 exec_lo, exec_lo, s26
	flat_load_ubyte v34, v[10:11] offset:480 slc
	s_mov_b32 s13, 0
	s_mov_b32 s26, exec_lo
	s_waitcnt vmcnt(0) lgkmcnt(0)
	v_cmpx_lt_i16_e32 0x7f, v34
	s_xor_b32 s26, exec_lo, s26
	s_cbranch_execz .LBB6_12395
; %bb.12130:                            ;   in Loop: Header=BB6_11911 Depth=2
	s_mov_b32 s13, -1
	s_mov_b32 s27, exec_lo
	v_cmpx_eq_u16_e32 0x80, v34
; %bb.12131:                            ;   in Loop: Header=BB6_11911 Depth=2
	s_xor_b32 s13, exec_lo, -1
; %bb.12132:                            ;   in Loop: Header=BB6_11911 Depth=2
	s_or_b32 exec_lo, exec_lo, s27
	s_and_b32 s13, s13, exec_lo
	s_or_saveexec_b32 s26, s26
	v_mov_b32_e32 v35, 0x7f800001
	s_xor_b32 exec_lo, exec_lo, s26
	s_cbranch_execnz .LBB6_12396
.LBB6_12133:                            ;   in Loop: Header=BB6_11911 Depth=2
	s_or_b32 exec_lo, exec_lo, s26
	s_and_saveexec_b32 s26, s13
	s_cbranch_execz .LBB6_12135
.LBB6_12134:                            ;   in Loop: Header=BB6_11911 Depth=2
	v_and_b32_e32 v35, 0xffff, v34
	v_lshlrev_b32_e32 v34, 24, v34
	v_and_b32_e32 v36, 7, v35
	v_bfe_u32 v49, v35, 3, 4
	v_and_b32_e32 v34, 0x80000000, v34
	v_ffbh_u32_e32 v37, v36
	v_cmp_eq_u32_e32 vcc_lo, 0, v49
	v_min_u32_e32 v37, 32, v37
	v_subrev_nc_u32_e32 v48, 28, v37
	v_sub_nc_u32_e32 v37, 29, v37
	v_lshlrev_b32_e32 v35, v48, v35
	v_cndmask_b32_e32 v37, v49, v37, vcc_lo
	v_and_b32_e32 v35, 7, v35
	v_cndmask_b32_e32 v35, v36, v35, vcc_lo
	v_lshl_add_u32 v36, v37, 23, 0x3b800000
	v_lshlrev_b32_e32 v35, 20, v35
	v_or3_b32 v35, v34, v36, v35
.LBB6_12135:                            ;   in Loop: Header=BB6_11911 Depth=2
	s_or_b32 exec_lo, exec_lo, s26
	v_mul_f32_e32 v35, v7, v35
	v_and_b32_e32 v34, 0x7f800000, v35
	v_cmp_ne_u32_e32 vcc_lo, 0x7f800000, v34
	v_mov_b32_e32 v34, 0x80
	s_and_saveexec_b32 s26, vcc_lo
	s_cbranch_execz .LBB6_12143
; %bb.12136:                            ;   in Loop: Header=BB6_11911 Depth=2
	v_mov_b32_e32 v34, 0
	s_mov_b32 s27, exec_lo
	v_cmpx_ne_u32_e32 0, v35
	s_cbranch_execz .LBB6_12142
; %bb.12137:                            ;   in Loop: Header=BB6_11911 Depth=2
	v_bfe_u32 v34, v35, 23, 8
	v_and_b32_e32 v36, 0x7fffff, v35
	v_sub_nc_u32_e32 v37, 0x78, v34
	v_cmp_gt_u32_e32 vcc_lo, 0x79, v34
	v_or_b32_e32 v48, 0x800000, v36
	v_cndmask_b32_e32 v37, 0, v37, vcc_lo
	v_cmp_eq_u32_e32 vcc_lo, 0, v34
	v_add_nc_u32_e32 v34, 0xffffff89, v34
	v_cndmask_b32_e64 v37, v37, 0x77, vcc_lo
	v_cndmask_b32_e32 v36, v48, v36, vcc_lo
	v_cndmask_b32_e64 v34, v34, 0xffffff8a, vcc_lo
	v_lshl_add_u32 v48, 0x100000, v37, -1
	v_lshrrev_b32_e32 v49, v37, v36
	v_lshlrev_b32_e64 v51, v37, 0x80000
	v_add_nc_u32_e32 v37, v37, v34
	v_and_b32_e32 v36, v48, v36
	v_bfe_u32 v50, v49, 20, 1
	v_cmp_eq_u32_e64 s13, v36, v51
	v_add_nc_u32_e32 v48, -1, v50
	v_cndmask_b32_e64 v36, 0, v48, s13
	v_lshrrev_b32_e32 v48, 23, v49
	s_mov_b32 s13, exec_lo
	v_add_nc_u32_e32 v36, v36, v49
	v_xor_b32_e32 v48, 1, v48
	v_and_b32_e32 v34, 0xfffff, v36
	v_add_nc_u32_e32 v36, v34, v49
                                        ; implicit-def: $vgpr34
	v_cmpx_ne_u32_e64 v37, v48
	s_xor_b32 s13, exec_lo, s13
; %bb.12138:                            ;   in Loop: Header=BB6_11911 Depth=2
	v_cmp_lt_u32_e32 vcc_lo, 0xffffff, v36
	v_sub_nc_u32_e32 v34, v37, v48
	v_cndmask_b32_e64 v37, 0, 1, vcc_lo
	v_add_co_ci_u32_e64 v34, null, 0, v34, vcc_lo
	v_lshrrev_b32_e32 v36, v37, v36
; %bb.12139:                            ;   in Loop: Header=BB6_11911 Depth=2
	s_andn2_saveexec_b32 s13, s13
; %bb.12140:                            ;   in Loop: Header=BB6_11911 Depth=2
	v_bfe_u32 v34, v36, 23, 1
; %bb.12141:                            ;   in Loop: Header=BB6_11911 Depth=2
	s_or_b32 exec_lo, exec_lo, s13
	v_lshrrev_b32_e32 v36, 20, v36
	v_cmp_gt_i32_e32 vcc_lo, 16, v34
	v_min_i32_e32 v37, 15, v34
	v_and_b32_sdwa v35, v35, v81 dst_sel:DWORD dst_unused:UNUSED_PAD src0_sel:BYTE_3 src1_sel:DWORD
	v_cndmask_b32_e32 v36, 7, v36, vcc_lo
	v_lshlrev_b32_e32 v37, 3, v37
	v_and_b32_e32 v48, 7, v36
	v_or_b32_e32 v34, v34, v36
	v_or3_b32 v35, v37, v35, v48
	v_cmp_ne_u32_e32 vcc_lo, 0, v34
	v_cndmask_b32_e32 v34, 0, v35, vcc_lo
.LBB6_12142:                            ;   in Loop: Header=BB6_11911 Depth=2
	s_or_b32 exec_lo, exec_lo, s27
.LBB6_12143:                            ;   in Loop: Header=BB6_11911 Depth=2
	s_or_b32 exec_lo, exec_lo, s26
	flat_load_ubyte v35, v[10:11] offset:512 slc
	s_mov_b32 s13, 0
	s_mov_b32 s26, exec_lo
	s_waitcnt vmcnt(0) lgkmcnt(0)
	v_cmpx_lt_i16_e32 0x7f, v35
	s_xor_b32 s26, exec_lo, s26
	s_cbranch_execz .LBB6_12397
; %bb.12144:                            ;   in Loop: Header=BB6_11911 Depth=2
	s_mov_b32 s13, -1
	s_mov_b32 s27, exec_lo
	v_cmpx_eq_u16_e32 0x80, v35
; %bb.12145:                            ;   in Loop: Header=BB6_11911 Depth=2
	s_xor_b32 s13, exec_lo, -1
; %bb.12146:                            ;   in Loop: Header=BB6_11911 Depth=2
	s_or_b32 exec_lo, exec_lo, s27
	s_and_b32 s13, s13, exec_lo
	s_or_saveexec_b32 s26, s26
	v_mov_b32_e32 v36, 0x7f800001
	s_xor_b32 exec_lo, exec_lo, s26
	s_cbranch_execnz .LBB6_12398
.LBB6_12147:                            ;   in Loop: Header=BB6_11911 Depth=2
	s_or_b32 exec_lo, exec_lo, s26
	s_and_saveexec_b32 s26, s13
	s_cbranch_execz .LBB6_12149
.LBB6_12148:                            ;   in Loop: Header=BB6_11911 Depth=2
	v_and_b32_e32 v36, 0xffff, v35
	v_lshlrev_b32_e32 v35, 24, v35
	v_and_b32_e32 v37, 7, v36
	v_bfe_u32 v50, v36, 3, 4
	v_and_b32_e32 v35, 0x80000000, v35
	v_ffbh_u32_e32 v48, v37
	v_cmp_eq_u32_e32 vcc_lo, 0, v50
	v_min_u32_e32 v48, 32, v48
	v_subrev_nc_u32_e32 v49, 28, v48
	v_sub_nc_u32_e32 v48, 29, v48
	v_lshlrev_b32_e32 v36, v49, v36
	v_cndmask_b32_e32 v48, v50, v48, vcc_lo
	v_and_b32_e32 v36, 7, v36
	v_cndmask_b32_e32 v36, v37, v36, vcc_lo
	v_lshl_add_u32 v37, v48, 23, 0x3b800000
	v_lshlrev_b32_e32 v36, 20, v36
	v_or3_b32 v36, v35, v37, v36
.LBB6_12149:                            ;   in Loop: Header=BB6_11911 Depth=2
	s_or_b32 exec_lo, exec_lo, s26
	v_mul_f32_e32 v36, v7, v36
	v_and_b32_e32 v35, 0x7f800000, v36
	v_cmp_ne_u32_e32 vcc_lo, 0x7f800000, v35
	v_mov_b32_e32 v35, 0x80
	s_and_saveexec_b32 s26, vcc_lo
	s_cbranch_execz .LBB6_12157
; %bb.12150:                            ;   in Loop: Header=BB6_11911 Depth=2
	v_mov_b32_e32 v35, 0
	s_mov_b32 s27, exec_lo
	v_cmpx_ne_u32_e32 0, v36
	s_cbranch_execz .LBB6_12156
; %bb.12151:                            ;   in Loop: Header=BB6_11911 Depth=2
	v_bfe_u32 v35, v36, 23, 8
	v_and_b32_e32 v37, 0x7fffff, v36
	v_sub_nc_u32_e32 v48, 0x78, v35
	v_cmp_gt_u32_e32 vcc_lo, 0x79, v35
	v_or_b32_e32 v49, 0x800000, v37
	v_cndmask_b32_e32 v48, 0, v48, vcc_lo
	v_cmp_eq_u32_e32 vcc_lo, 0, v35
	v_add_nc_u32_e32 v35, 0xffffff89, v35
	v_cndmask_b32_e64 v48, v48, 0x77, vcc_lo
	v_cndmask_b32_e32 v37, v49, v37, vcc_lo
	v_cndmask_b32_e64 v35, v35, 0xffffff8a, vcc_lo
	v_lshl_add_u32 v49, 0x100000, v48, -1
	v_lshrrev_b32_e32 v50, v48, v37
	v_lshlrev_b32_e64 v52, v48, 0x80000
	v_add_nc_u32_e32 v48, v48, v35
	v_and_b32_e32 v37, v49, v37
	v_bfe_u32 v51, v50, 20, 1
	v_cmp_eq_u32_e64 s13, v37, v52
	v_add_nc_u32_e32 v49, -1, v51
	v_cndmask_b32_e64 v37, 0, v49, s13
	v_lshrrev_b32_e32 v49, 23, v50
	s_mov_b32 s13, exec_lo
	v_add_nc_u32_e32 v37, v37, v50
	v_xor_b32_e32 v49, 1, v49
	v_and_b32_e32 v35, 0xfffff, v37
	v_add_nc_u32_e32 v37, v35, v50
                                        ; implicit-def: $vgpr35
	v_cmpx_ne_u32_e64 v48, v49
	s_xor_b32 s13, exec_lo, s13
; %bb.12152:                            ;   in Loop: Header=BB6_11911 Depth=2
	v_cmp_lt_u32_e32 vcc_lo, 0xffffff, v37
	v_sub_nc_u32_e32 v35, v48, v49
	v_cndmask_b32_e64 v48, 0, 1, vcc_lo
	v_add_co_ci_u32_e64 v35, null, 0, v35, vcc_lo
	v_lshrrev_b32_e32 v37, v48, v37
; %bb.12153:                            ;   in Loop: Header=BB6_11911 Depth=2
	s_andn2_saveexec_b32 s13, s13
; %bb.12154:                            ;   in Loop: Header=BB6_11911 Depth=2
	v_bfe_u32 v35, v37, 23, 1
; %bb.12155:                            ;   in Loop: Header=BB6_11911 Depth=2
	s_or_b32 exec_lo, exec_lo, s13
	v_lshrrev_b32_e32 v37, 20, v37
	v_cmp_gt_i32_e32 vcc_lo, 16, v35
	v_min_i32_e32 v48, 15, v35
	v_and_b32_sdwa v36, v36, v81 dst_sel:DWORD dst_unused:UNUSED_PAD src0_sel:BYTE_3 src1_sel:DWORD
	v_cndmask_b32_e32 v37, 7, v37, vcc_lo
	v_lshlrev_b32_e32 v48, 3, v48
	v_and_b32_e32 v49, 7, v37
	v_or_b32_e32 v35, v35, v37
	v_or3_b32 v36, v48, v36, v49
	v_cmp_ne_u32_e32 vcc_lo, 0, v35
	v_cndmask_b32_e32 v35, 0, v36, vcc_lo
.LBB6_12156:                            ;   in Loop: Header=BB6_11911 Depth=2
	s_or_b32 exec_lo, exec_lo, s27
.LBB6_12157:                            ;   in Loop: Header=BB6_11911 Depth=2
	s_or_b32 exec_lo, exec_lo, s26
	flat_load_ubyte v36, v[10:11] offset:544 slc
	s_mov_b32 s13, 0
	s_mov_b32 s26, exec_lo
	s_waitcnt vmcnt(0) lgkmcnt(0)
	v_cmpx_lt_i16_e32 0x7f, v36
	s_xor_b32 s26, exec_lo, s26
	s_cbranch_execz .LBB6_12399
; %bb.12158:                            ;   in Loop: Header=BB6_11911 Depth=2
	s_mov_b32 s13, -1
	s_mov_b32 s27, exec_lo
	v_cmpx_eq_u16_e32 0x80, v36
; %bb.12159:                            ;   in Loop: Header=BB6_11911 Depth=2
	s_xor_b32 s13, exec_lo, -1
; %bb.12160:                            ;   in Loop: Header=BB6_11911 Depth=2
	s_or_b32 exec_lo, exec_lo, s27
	s_and_b32 s13, s13, exec_lo
	s_or_saveexec_b32 s26, s26
	v_mov_b32_e32 v37, 0x7f800001
	s_xor_b32 exec_lo, exec_lo, s26
	s_cbranch_execnz .LBB6_12400
.LBB6_12161:                            ;   in Loop: Header=BB6_11911 Depth=2
	s_or_b32 exec_lo, exec_lo, s26
	s_and_saveexec_b32 s26, s13
	s_cbranch_execz .LBB6_12163
.LBB6_12162:                            ;   in Loop: Header=BB6_11911 Depth=2
	v_and_b32_e32 v37, 0xffff, v36
	v_lshlrev_b32_e32 v36, 24, v36
	v_and_b32_e32 v48, 7, v37
	v_bfe_u32 v51, v37, 3, 4
	v_and_b32_e32 v36, 0x80000000, v36
	v_ffbh_u32_e32 v49, v48
	v_cmp_eq_u32_e32 vcc_lo, 0, v51
	v_min_u32_e32 v49, 32, v49
	v_subrev_nc_u32_e32 v50, 28, v49
	v_sub_nc_u32_e32 v49, 29, v49
	v_lshlrev_b32_e32 v37, v50, v37
	v_cndmask_b32_e32 v49, v51, v49, vcc_lo
	v_and_b32_e32 v37, 7, v37
	v_cndmask_b32_e32 v37, v48, v37, vcc_lo
	v_lshl_add_u32 v48, v49, 23, 0x3b800000
	v_lshlrev_b32_e32 v37, 20, v37
	v_or3_b32 v37, v36, v48, v37
.LBB6_12163:                            ;   in Loop: Header=BB6_11911 Depth=2
	s_or_b32 exec_lo, exec_lo, s26
	v_mul_f32_e32 v37, v7, v37
	v_and_b32_e32 v36, 0x7f800000, v37
	v_cmp_ne_u32_e32 vcc_lo, 0x7f800000, v36
	v_mov_b32_e32 v36, 0x80
	s_and_saveexec_b32 s26, vcc_lo
	s_cbranch_execz .LBB6_12171
; %bb.12164:                            ;   in Loop: Header=BB6_11911 Depth=2
	v_mov_b32_e32 v36, 0
	s_mov_b32 s27, exec_lo
	v_cmpx_ne_u32_e32 0, v37
	s_cbranch_execz .LBB6_12170
; %bb.12165:                            ;   in Loop: Header=BB6_11911 Depth=2
	v_bfe_u32 v36, v37, 23, 8
	v_and_b32_e32 v48, 0x7fffff, v37
	v_sub_nc_u32_e32 v49, 0x78, v36
	v_cmp_gt_u32_e32 vcc_lo, 0x79, v36
	v_or_b32_e32 v50, 0x800000, v48
	v_cndmask_b32_e32 v49, 0, v49, vcc_lo
	v_cmp_eq_u32_e32 vcc_lo, 0, v36
	v_add_nc_u32_e32 v36, 0xffffff89, v36
	v_cndmask_b32_e64 v49, v49, 0x77, vcc_lo
	v_cndmask_b32_e32 v48, v50, v48, vcc_lo
	v_cndmask_b32_e64 v36, v36, 0xffffff8a, vcc_lo
	v_lshl_add_u32 v50, 0x100000, v49, -1
	v_lshrrev_b32_e32 v51, v49, v48
	v_lshlrev_b32_e64 v53, v49, 0x80000
	v_add_nc_u32_e32 v49, v49, v36
	v_and_b32_e32 v48, v50, v48
	v_bfe_u32 v52, v51, 20, 1
	v_cmp_eq_u32_e64 s13, v48, v53
	v_add_nc_u32_e32 v50, -1, v52
	v_cndmask_b32_e64 v48, 0, v50, s13
	v_lshrrev_b32_e32 v50, 23, v51
	s_mov_b32 s13, exec_lo
	v_add_nc_u32_e32 v48, v48, v51
	v_xor_b32_e32 v50, 1, v50
	v_and_b32_e32 v36, 0xfffff, v48
	v_add_nc_u32_e32 v48, v36, v51
                                        ; implicit-def: $vgpr36
	v_cmpx_ne_u32_e64 v49, v50
	s_xor_b32 s13, exec_lo, s13
; %bb.12166:                            ;   in Loop: Header=BB6_11911 Depth=2
	v_cmp_lt_u32_e32 vcc_lo, 0xffffff, v48
	v_sub_nc_u32_e32 v36, v49, v50
	v_cndmask_b32_e64 v49, 0, 1, vcc_lo
	v_add_co_ci_u32_e64 v36, null, 0, v36, vcc_lo
	v_lshrrev_b32_e32 v48, v49, v48
; %bb.12167:                            ;   in Loop: Header=BB6_11911 Depth=2
	s_andn2_saveexec_b32 s13, s13
; %bb.12168:                            ;   in Loop: Header=BB6_11911 Depth=2
	v_bfe_u32 v36, v48, 23, 1
; %bb.12169:                            ;   in Loop: Header=BB6_11911 Depth=2
	s_or_b32 exec_lo, exec_lo, s13
	v_lshrrev_b32_e32 v48, 20, v48
	v_cmp_gt_i32_e32 vcc_lo, 16, v36
	v_min_i32_e32 v49, 15, v36
	v_and_b32_sdwa v37, v37, v81 dst_sel:DWORD dst_unused:UNUSED_PAD src0_sel:BYTE_3 src1_sel:DWORD
	v_cndmask_b32_e32 v48, 7, v48, vcc_lo
	v_lshlrev_b32_e32 v49, 3, v49
	v_and_b32_e32 v50, 7, v48
	v_or_b32_e32 v36, v36, v48
	v_or3_b32 v37, v49, v37, v50
	v_cmp_ne_u32_e32 vcc_lo, 0, v36
	v_cndmask_b32_e32 v36, 0, v37, vcc_lo
.LBB6_12170:                            ;   in Loop: Header=BB6_11911 Depth=2
	s_or_b32 exec_lo, exec_lo, s27
.LBB6_12171:                            ;   in Loop: Header=BB6_11911 Depth=2
	s_or_b32 exec_lo, exec_lo, s26
	flat_load_ubyte v37, v[10:11] offset:576 slc
	s_mov_b32 s13, 0
	s_mov_b32 s26, exec_lo
	s_waitcnt vmcnt(0) lgkmcnt(0)
	v_cmpx_lt_i16_e32 0x7f, v37
	s_xor_b32 s26, exec_lo, s26
	s_cbranch_execz .LBB6_12401
; %bb.12172:                            ;   in Loop: Header=BB6_11911 Depth=2
	s_mov_b32 s13, -1
	s_mov_b32 s27, exec_lo
	v_cmpx_eq_u16_e32 0x80, v37
; %bb.12173:                            ;   in Loop: Header=BB6_11911 Depth=2
	s_xor_b32 s13, exec_lo, -1
; %bb.12174:                            ;   in Loop: Header=BB6_11911 Depth=2
	s_or_b32 exec_lo, exec_lo, s27
	s_and_b32 s13, s13, exec_lo
	s_or_saveexec_b32 s26, s26
	v_mov_b32_e32 v48, 0x7f800001
	s_xor_b32 exec_lo, exec_lo, s26
	s_cbranch_execnz .LBB6_12402
.LBB6_12175:                            ;   in Loop: Header=BB6_11911 Depth=2
	s_or_b32 exec_lo, exec_lo, s26
	s_and_saveexec_b32 s26, s13
	s_cbranch_execz .LBB6_12177
.LBB6_12176:                            ;   in Loop: Header=BB6_11911 Depth=2
	v_and_b32_e32 v48, 0xffff, v37
	v_lshlrev_b32_e32 v37, 24, v37
	v_and_b32_e32 v49, 7, v48
	v_bfe_u32 v52, v48, 3, 4
	v_and_b32_e32 v37, 0x80000000, v37
	v_ffbh_u32_e32 v50, v49
	v_cmp_eq_u32_e32 vcc_lo, 0, v52
	v_min_u32_e32 v50, 32, v50
	v_subrev_nc_u32_e32 v51, 28, v50
	v_sub_nc_u32_e32 v50, 29, v50
	v_lshlrev_b32_e32 v48, v51, v48
	v_cndmask_b32_e32 v50, v52, v50, vcc_lo
	v_and_b32_e32 v48, 7, v48
	v_cndmask_b32_e32 v48, v49, v48, vcc_lo
	v_lshl_add_u32 v49, v50, 23, 0x3b800000
	v_lshlrev_b32_e32 v48, 20, v48
	v_or3_b32 v48, v37, v49, v48
.LBB6_12177:                            ;   in Loop: Header=BB6_11911 Depth=2
	s_or_b32 exec_lo, exec_lo, s26
	v_mul_f32_e32 v48, v7, v48
	v_and_b32_e32 v37, 0x7f800000, v48
	v_cmp_ne_u32_e32 vcc_lo, 0x7f800000, v37
	v_mov_b32_e32 v37, 0x80
	s_and_saveexec_b32 s26, vcc_lo
	s_cbranch_execz .LBB6_12185
; %bb.12178:                            ;   in Loop: Header=BB6_11911 Depth=2
	v_mov_b32_e32 v37, 0
	s_mov_b32 s27, exec_lo
	v_cmpx_ne_u32_e32 0, v48
	s_cbranch_execz .LBB6_12184
; %bb.12179:                            ;   in Loop: Header=BB6_11911 Depth=2
	v_bfe_u32 v37, v48, 23, 8
	v_and_b32_e32 v49, 0x7fffff, v48
	v_sub_nc_u32_e32 v50, 0x78, v37
	v_cmp_gt_u32_e32 vcc_lo, 0x79, v37
	v_or_b32_e32 v51, 0x800000, v49
	v_cndmask_b32_e32 v50, 0, v50, vcc_lo
	v_cmp_eq_u32_e32 vcc_lo, 0, v37
	v_add_nc_u32_e32 v37, 0xffffff89, v37
	v_cndmask_b32_e64 v50, v50, 0x77, vcc_lo
	v_cndmask_b32_e32 v49, v51, v49, vcc_lo
	v_cndmask_b32_e64 v37, v37, 0xffffff8a, vcc_lo
	v_lshl_add_u32 v51, 0x100000, v50, -1
	v_lshrrev_b32_e32 v52, v50, v49
	v_lshlrev_b32_e64 v54, v50, 0x80000
	v_add_nc_u32_e32 v50, v50, v37
	v_and_b32_e32 v49, v51, v49
	v_bfe_u32 v53, v52, 20, 1
	v_cmp_eq_u32_e64 s13, v49, v54
	v_add_nc_u32_e32 v51, -1, v53
	v_cndmask_b32_e64 v49, 0, v51, s13
	v_lshrrev_b32_e32 v51, 23, v52
	s_mov_b32 s13, exec_lo
	v_add_nc_u32_e32 v49, v49, v52
	v_xor_b32_e32 v51, 1, v51
	v_and_b32_e32 v37, 0xfffff, v49
	v_add_nc_u32_e32 v49, v37, v52
                                        ; implicit-def: $vgpr37
	v_cmpx_ne_u32_e64 v50, v51
	s_xor_b32 s13, exec_lo, s13
; %bb.12180:                            ;   in Loop: Header=BB6_11911 Depth=2
	v_cmp_lt_u32_e32 vcc_lo, 0xffffff, v49
	v_sub_nc_u32_e32 v37, v50, v51
	v_cndmask_b32_e64 v50, 0, 1, vcc_lo
	v_add_co_ci_u32_e64 v37, null, 0, v37, vcc_lo
	v_lshrrev_b32_e32 v49, v50, v49
; %bb.12181:                            ;   in Loop: Header=BB6_11911 Depth=2
	s_andn2_saveexec_b32 s13, s13
; %bb.12182:                            ;   in Loop: Header=BB6_11911 Depth=2
	v_bfe_u32 v37, v49, 23, 1
; %bb.12183:                            ;   in Loop: Header=BB6_11911 Depth=2
	s_or_b32 exec_lo, exec_lo, s13
	v_lshrrev_b32_e32 v49, 20, v49
	v_cmp_gt_i32_e32 vcc_lo, 16, v37
	v_min_i32_e32 v50, 15, v37
	v_and_b32_sdwa v48, v48, v81 dst_sel:DWORD dst_unused:UNUSED_PAD src0_sel:BYTE_3 src1_sel:DWORD
	v_cndmask_b32_e32 v49, 7, v49, vcc_lo
	v_lshlrev_b32_e32 v50, 3, v50
	v_and_b32_e32 v51, 7, v49
	v_or_b32_e32 v37, v37, v49
	v_or3_b32 v48, v50, v48, v51
	v_cmp_ne_u32_e32 vcc_lo, 0, v37
	v_cndmask_b32_e32 v37, 0, v48, vcc_lo
.LBB6_12184:                            ;   in Loop: Header=BB6_11911 Depth=2
	s_or_b32 exec_lo, exec_lo, s27
.LBB6_12185:                            ;   in Loop: Header=BB6_11911 Depth=2
	s_or_b32 exec_lo, exec_lo, s26
	flat_load_ubyte v48, v[10:11] offset:608 slc
	s_mov_b32 s13, 0
	s_mov_b32 s26, exec_lo
	s_waitcnt vmcnt(0) lgkmcnt(0)
	v_cmpx_lt_i16_e32 0x7f, v48
	s_xor_b32 s26, exec_lo, s26
	s_cbranch_execz .LBB6_12403
; %bb.12186:                            ;   in Loop: Header=BB6_11911 Depth=2
	s_mov_b32 s13, -1
	s_mov_b32 s27, exec_lo
	v_cmpx_eq_u16_e32 0x80, v48
; %bb.12187:                            ;   in Loop: Header=BB6_11911 Depth=2
	s_xor_b32 s13, exec_lo, -1
; %bb.12188:                            ;   in Loop: Header=BB6_11911 Depth=2
	s_or_b32 exec_lo, exec_lo, s27
	s_and_b32 s13, s13, exec_lo
	s_or_saveexec_b32 s26, s26
	v_mov_b32_e32 v49, 0x7f800001
	s_xor_b32 exec_lo, exec_lo, s26
	s_cbranch_execnz .LBB6_12404
.LBB6_12189:                            ;   in Loop: Header=BB6_11911 Depth=2
	s_or_b32 exec_lo, exec_lo, s26
	s_and_saveexec_b32 s26, s13
	s_cbranch_execz .LBB6_12191
.LBB6_12190:                            ;   in Loop: Header=BB6_11911 Depth=2
	v_and_b32_e32 v49, 0xffff, v48
	v_lshlrev_b32_e32 v48, 24, v48
	v_and_b32_e32 v50, 7, v49
	v_bfe_u32 v53, v49, 3, 4
	v_and_b32_e32 v48, 0x80000000, v48
	v_ffbh_u32_e32 v51, v50
	v_cmp_eq_u32_e32 vcc_lo, 0, v53
	v_min_u32_e32 v51, 32, v51
	v_subrev_nc_u32_e32 v52, 28, v51
	v_sub_nc_u32_e32 v51, 29, v51
	v_lshlrev_b32_e32 v49, v52, v49
	v_cndmask_b32_e32 v51, v53, v51, vcc_lo
	v_and_b32_e32 v49, 7, v49
	v_cndmask_b32_e32 v49, v50, v49, vcc_lo
	v_lshl_add_u32 v50, v51, 23, 0x3b800000
	v_lshlrev_b32_e32 v49, 20, v49
	v_or3_b32 v49, v48, v50, v49
.LBB6_12191:                            ;   in Loop: Header=BB6_11911 Depth=2
	s_or_b32 exec_lo, exec_lo, s26
	v_mul_f32_e32 v49, v7, v49
	v_and_b32_e32 v48, 0x7f800000, v49
	v_cmp_ne_u32_e32 vcc_lo, 0x7f800000, v48
	v_mov_b32_e32 v48, 0x80
	s_and_saveexec_b32 s26, vcc_lo
	s_cbranch_execz .LBB6_12199
; %bb.12192:                            ;   in Loop: Header=BB6_11911 Depth=2
	v_mov_b32_e32 v48, 0
	s_mov_b32 s27, exec_lo
	v_cmpx_ne_u32_e32 0, v49
	s_cbranch_execz .LBB6_12198
; %bb.12193:                            ;   in Loop: Header=BB6_11911 Depth=2
	v_bfe_u32 v48, v49, 23, 8
	v_and_b32_e32 v50, 0x7fffff, v49
	v_sub_nc_u32_e32 v51, 0x78, v48
	v_cmp_gt_u32_e32 vcc_lo, 0x79, v48
	v_or_b32_e32 v52, 0x800000, v50
	v_cndmask_b32_e32 v51, 0, v51, vcc_lo
	v_cmp_eq_u32_e32 vcc_lo, 0, v48
	v_add_nc_u32_e32 v48, 0xffffff89, v48
	v_cndmask_b32_e64 v51, v51, 0x77, vcc_lo
	v_cndmask_b32_e32 v50, v52, v50, vcc_lo
	v_cndmask_b32_e64 v48, v48, 0xffffff8a, vcc_lo
	v_lshl_add_u32 v52, 0x100000, v51, -1
	v_lshrrev_b32_e32 v53, v51, v50
	v_lshlrev_b32_e64 v55, v51, 0x80000
	v_add_nc_u32_e32 v51, v51, v48
	v_and_b32_e32 v50, v52, v50
	v_bfe_u32 v54, v53, 20, 1
	v_cmp_eq_u32_e64 s13, v50, v55
	v_add_nc_u32_e32 v52, -1, v54
	v_cndmask_b32_e64 v50, 0, v52, s13
	v_lshrrev_b32_e32 v52, 23, v53
	s_mov_b32 s13, exec_lo
	v_add_nc_u32_e32 v50, v50, v53
	v_xor_b32_e32 v52, 1, v52
	v_and_b32_e32 v48, 0xfffff, v50
	v_add_nc_u32_e32 v50, v48, v53
                                        ; implicit-def: $vgpr48
	v_cmpx_ne_u32_e64 v51, v52
	s_xor_b32 s13, exec_lo, s13
; %bb.12194:                            ;   in Loop: Header=BB6_11911 Depth=2
	v_cmp_lt_u32_e32 vcc_lo, 0xffffff, v50
	v_sub_nc_u32_e32 v48, v51, v52
	v_cndmask_b32_e64 v51, 0, 1, vcc_lo
	v_add_co_ci_u32_e64 v48, null, 0, v48, vcc_lo
	v_lshrrev_b32_e32 v50, v51, v50
; %bb.12195:                            ;   in Loop: Header=BB6_11911 Depth=2
	s_andn2_saveexec_b32 s13, s13
; %bb.12196:                            ;   in Loop: Header=BB6_11911 Depth=2
	v_bfe_u32 v48, v50, 23, 1
; %bb.12197:                            ;   in Loop: Header=BB6_11911 Depth=2
	s_or_b32 exec_lo, exec_lo, s13
	v_lshrrev_b32_e32 v50, 20, v50
	v_cmp_gt_i32_e32 vcc_lo, 16, v48
	v_min_i32_e32 v51, 15, v48
	v_and_b32_sdwa v49, v49, v81 dst_sel:DWORD dst_unused:UNUSED_PAD src0_sel:BYTE_3 src1_sel:DWORD
	v_cndmask_b32_e32 v50, 7, v50, vcc_lo
	v_lshlrev_b32_e32 v51, 3, v51
	v_and_b32_e32 v52, 7, v50
	v_or_b32_e32 v48, v48, v50
	v_or3_b32 v49, v51, v49, v52
	v_cmp_ne_u32_e32 vcc_lo, 0, v48
	v_cndmask_b32_e32 v48, 0, v49, vcc_lo
.LBB6_12198:                            ;   in Loop: Header=BB6_11911 Depth=2
	s_or_b32 exec_lo, exec_lo, s27
.LBB6_12199:                            ;   in Loop: Header=BB6_11911 Depth=2
	s_or_b32 exec_lo, exec_lo, s26
	flat_load_ubyte v49, v[10:11] offset:640 slc
	s_mov_b32 s13, 0
	s_mov_b32 s26, exec_lo
	s_waitcnt vmcnt(0) lgkmcnt(0)
	v_cmpx_lt_i16_e32 0x7f, v49
	s_xor_b32 s26, exec_lo, s26
	s_cbranch_execz .LBB6_12405
; %bb.12200:                            ;   in Loop: Header=BB6_11911 Depth=2
	s_mov_b32 s13, -1
	s_mov_b32 s27, exec_lo
	v_cmpx_eq_u16_e32 0x80, v49
; %bb.12201:                            ;   in Loop: Header=BB6_11911 Depth=2
	s_xor_b32 s13, exec_lo, -1
; %bb.12202:                            ;   in Loop: Header=BB6_11911 Depth=2
	s_or_b32 exec_lo, exec_lo, s27
	s_and_b32 s13, s13, exec_lo
	s_or_saveexec_b32 s26, s26
	v_mov_b32_e32 v50, 0x7f800001
	s_xor_b32 exec_lo, exec_lo, s26
	s_cbranch_execnz .LBB6_12406
.LBB6_12203:                            ;   in Loop: Header=BB6_11911 Depth=2
	s_or_b32 exec_lo, exec_lo, s26
	s_and_saveexec_b32 s26, s13
	s_cbranch_execz .LBB6_12205
.LBB6_12204:                            ;   in Loop: Header=BB6_11911 Depth=2
	v_and_b32_e32 v50, 0xffff, v49
	v_lshlrev_b32_e32 v49, 24, v49
	v_and_b32_e32 v51, 7, v50
	v_bfe_u32 v54, v50, 3, 4
	v_and_b32_e32 v49, 0x80000000, v49
	v_ffbh_u32_e32 v52, v51
	v_cmp_eq_u32_e32 vcc_lo, 0, v54
	v_min_u32_e32 v52, 32, v52
	v_subrev_nc_u32_e32 v53, 28, v52
	v_sub_nc_u32_e32 v52, 29, v52
	v_lshlrev_b32_e32 v50, v53, v50
	v_cndmask_b32_e32 v52, v54, v52, vcc_lo
	v_and_b32_e32 v50, 7, v50
	v_cndmask_b32_e32 v50, v51, v50, vcc_lo
	v_lshl_add_u32 v51, v52, 23, 0x3b800000
	v_lshlrev_b32_e32 v50, 20, v50
	v_or3_b32 v50, v49, v51, v50
.LBB6_12205:                            ;   in Loop: Header=BB6_11911 Depth=2
	s_or_b32 exec_lo, exec_lo, s26
	v_mul_f32_e32 v50, v7, v50
	v_and_b32_e32 v49, 0x7f800000, v50
	v_cmp_ne_u32_e32 vcc_lo, 0x7f800000, v49
	v_mov_b32_e32 v49, 0x80
	s_and_saveexec_b32 s26, vcc_lo
	s_cbranch_execz .LBB6_12213
; %bb.12206:                            ;   in Loop: Header=BB6_11911 Depth=2
	v_mov_b32_e32 v49, 0
	s_mov_b32 s27, exec_lo
	v_cmpx_ne_u32_e32 0, v50
	s_cbranch_execz .LBB6_12212
; %bb.12207:                            ;   in Loop: Header=BB6_11911 Depth=2
	v_bfe_u32 v49, v50, 23, 8
	v_and_b32_e32 v51, 0x7fffff, v50
	v_sub_nc_u32_e32 v52, 0x78, v49
	v_cmp_gt_u32_e32 vcc_lo, 0x79, v49
	v_or_b32_e32 v53, 0x800000, v51
	v_cndmask_b32_e32 v52, 0, v52, vcc_lo
	v_cmp_eq_u32_e32 vcc_lo, 0, v49
	v_add_nc_u32_e32 v49, 0xffffff89, v49
	v_cndmask_b32_e64 v52, v52, 0x77, vcc_lo
	v_cndmask_b32_e32 v51, v53, v51, vcc_lo
	v_cndmask_b32_e64 v49, v49, 0xffffff8a, vcc_lo
	v_lshl_add_u32 v53, 0x100000, v52, -1
	v_lshrrev_b32_e32 v54, v52, v51
	v_lshlrev_b32_e64 v64, v52, 0x80000
	v_add_nc_u32_e32 v52, v52, v49
	v_and_b32_e32 v51, v53, v51
	v_bfe_u32 v55, v54, 20, 1
	v_cmp_eq_u32_e64 s13, v51, v64
	v_add_nc_u32_e32 v53, -1, v55
	v_cndmask_b32_e64 v51, 0, v53, s13
	v_lshrrev_b32_e32 v53, 23, v54
	s_mov_b32 s13, exec_lo
	v_add_nc_u32_e32 v51, v51, v54
	v_xor_b32_e32 v53, 1, v53
	v_and_b32_e32 v49, 0xfffff, v51
	v_add_nc_u32_e32 v51, v49, v54
                                        ; implicit-def: $vgpr49
	v_cmpx_ne_u32_e64 v52, v53
	s_xor_b32 s13, exec_lo, s13
; %bb.12208:                            ;   in Loop: Header=BB6_11911 Depth=2
	v_cmp_lt_u32_e32 vcc_lo, 0xffffff, v51
	v_sub_nc_u32_e32 v49, v52, v53
	v_cndmask_b32_e64 v52, 0, 1, vcc_lo
	v_add_co_ci_u32_e64 v49, null, 0, v49, vcc_lo
	v_lshrrev_b32_e32 v51, v52, v51
; %bb.12209:                            ;   in Loop: Header=BB6_11911 Depth=2
	s_andn2_saveexec_b32 s13, s13
; %bb.12210:                            ;   in Loop: Header=BB6_11911 Depth=2
	v_bfe_u32 v49, v51, 23, 1
; %bb.12211:                            ;   in Loop: Header=BB6_11911 Depth=2
	s_or_b32 exec_lo, exec_lo, s13
	v_lshrrev_b32_e32 v51, 20, v51
	v_cmp_gt_i32_e32 vcc_lo, 16, v49
	v_min_i32_e32 v52, 15, v49
	v_and_b32_sdwa v50, v50, v81 dst_sel:DWORD dst_unused:UNUSED_PAD src0_sel:BYTE_3 src1_sel:DWORD
	v_cndmask_b32_e32 v51, 7, v51, vcc_lo
	v_lshlrev_b32_e32 v52, 3, v52
	v_and_b32_e32 v53, 7, v51
	v_or_b32_e32 v49, v49, v51
	v_or3_b32 v50, v52, v50, v53
	v_cmp_ne_u32_e32 vcc_lo, 0, v49
	v_cndmask_b32_e32 v49, 0, v50, vcc_lo
.LBB6_12212:                            ;   in Loop: Header=BB6_11911 Depth=2
	s_or_b32 exec_lo, exec_lo, s27
.LBB6_12213:                            ;   in Loop: Header=BB6_11911 Depth=2
	s_or_b32 exec_lo, exec_lo, s26
	flat_load_ubyte v50, v[10:11] offset:672 slc
	s_mov_b32 s13, 0
	s_mov_b32 s26, exec_lo
	s_waitcnt vmcnt(0) lgkmcnt(0)
	v_cmpx_lt_i16_e32 0x7f, v50
	s_xor_b32 s26, exec_lo, s26
	s_cbranch_execz .LBB6_12407
; %bb.12214:                            ;   in Loop: Header=BB6_11911 Depth=2
	s_mov_b32 s13, -1
	s_mov_b32 s27, exec_lo
	v_cmpx_eq_u16_e32 0x80, v50
; %bb.12215:                            ;   in Loop: Header=BB6_11911 Depth=2
	s_xor_b32 s13, exec_lo, -1
; %bb.12216:                            ;   in Loop: Header=BB6_11911 Depth=2
	s_or_b32 exec_lo, exec_lo, s27
	s_and_b32 s13, s13, exec_lo
	s_or_saveexec_b32 s26, s26
	v_mov_b32_e32 v51, 0x7f800001
	s_xor_b32 exec_lo, exec_lo, s26
	s_cbranch_execnz .LBB6_12408
.LBB6_12217:                            ;   in Loop: Header=BB6_11911 Depth=2
	s_or_b32 exec_lo, exec_lo, s26
	s_and_saveexec_b32 s26, s13
	s_cbranch_execz .LBB6_12219
.LBB6_12218:                            ;   in Loop: Header=BB6_11911 Depth=2
	v_and_b32_e32 v51, 0xffff, v50
	v_lshlrev_b32_e32 v50, 24, v50
	v_and_b32_e32 v52, 7, v51
	v_bfe_u32 v55, v51, 3, 4
	v_and_b32_e32 v50, 0x80000000, v50
	v_ffbh_u32_e32 v53, v52
	v_cmp_eq_u32_e32 vcc_lo, 0, v55
	v_min_u32_e32 v53, 32, v53
	v_subrev_nc_u32_e32 v54, 28, v53
	v_sub_nc_u32_e32 v53, 29, v53
	v_lshlrev_b32_e32 v51, v54, v51
	v_cndmask_b32_e32 v53, v55, v53, vcc_lo
	v_and_b32_e32 v51, 7, v51
	v_cndmask_b32_e32 v51, v52, v51, vcc_lo
	v_lshl_add_u32 v52, v53, 23, 0x3b800000
	v_lshlrev_b32_e32 v51, 20, v51
	v_or3_b32 v51, v50, v52, v51
.LBB6_12219:                            ;   in Loop: Header=BB6_11911 Depth=2
	s_or_b32 exec_lo, exec_lo, s26
	v_mul_f32_e32 v51, v7, v51
	v_and_b32_e32 v50, 0x7f800000, v51
	v_cmp_ne_u32_e32 vcc_lo, 0x7f800000, v50
	v_mov_b32_e32 v50, 0x80
	s_and_saveexec_b32 s26, vcc_lo
	s_cbranch_execz .LBB6_12227
; %bb.12220:                            ;   in Loop: Header=BB6_11911 Depth=2
	v_mov_b32_e32 v50, 0
	s_mov_b32 s27, exec_lo
	v_cmpx_ne_u32_e32 0, v51
	s_cbranch_execz .LBB6_12226
; %bb.12221:                            ;   in Loop: Header=BB6_11911 Depth=2
	v_bfe_u32 v50, v51, 23, 8
	v_and_b32_e32 v52, 0x7fffff, v51
	v_sub_nc_u32_e32 v53, 0x78, v50
	v_cmp_gt_u32_e32 vcc_lo, 0x79, v50
	v_or_b32_e32 v54, 0x800000, v52
	v_cndmask_b32_e32 v53, 0, v53, vcc_lo
	v_cmp_eq_u32_e32 vcc_lo, 0, v50
	v_add_nc_u32_e32 v50, 0xffffff89, v50
	v_cndmask_b32_e64 v53, v53, 0x77, vcc_lo
	v_cndmask_b32_e32 v52, v54, v52, vcc_lo
	v_cndmask_b32_e64 v50, v50, 0xffffff8a, vcc_lo
	v_lshl_add_u32 v54, 0x100000, v53, -1
	v_lshrrev_b32_e32 v55, v53, v52
	v_lshlrev_b32_e64 v65, v53, 0x80000
	v_add_nc_u32_e32 v53, v53, v50
	v_and_b32_e32 v52, v54, v52
	v_bfe_u32 v64, v55, 20, 1
	v_cmp_eq_u32_e64 s13, v52, v65
	v_add_nc_u32_e32 v54, -1, v64
	v_cndmask_b32_e64 v52, 0, v54, s13
	v_lshrrev_b32_e32 v54, 23, v55
	s_mov_b32 s13, exec_lo
	v_add_nc_u32_e32 v52, v52, v55
	v_xor_b32_e32 v54, 1, v54
	v_and_b32_e32 v50, 0xfffff, v52
	v_add_nc_u32_e32 v52, v50, v55
                                        ; implicit-def: $vgpr50
	v_cmpx_ne_u32_e64 v53, v54
	s_xor_b32 s13, exec_lo, s13
; %bb.12222:                            ;   in Loop: Header=BB6_11911 Depth=2
	v_cmp_lt_u32_e32 vcc_lo, 0xffffff, v52
	v_sub_nc_u32_e32 v50, v53, v54
	v_cndmask_b32_e64 v53, 0, 1, vcc_lo
	v_add_co_ci_u32_e64 v50, null, 0, v50, vcc_lo
	v_lshrrev_b32_e32 v52, v53, v52
; %bb.12223:                            ;   in Loop: Header=BB6_11911 Depth=2
	s_andn2_saveexec_b32 s13, s13
; %bb.12224:                            ;   in Loop: Header=BB6_11911 Depth=2
	v_bfe_u32 v50, v52, 23, 1
; %bb.12225:                            ;   in Loop: Header=BB6_11911 Depth=2
	s_or_b32 exec_lo, exec_lo, s13
	v_lshrrev_b32_e32 v52, 20, v52
	v_cmp_gt_i32_e32 vcc_lo, 16, v50
	v_min_i32_e32 v53, 15, v50
	v_and_b32_sdwa v51, v51, v81 dst_sel:DWORD dst_unused:UNUSED_PAD src0_sel:BYTE_3 src1_sel:DWORD
	v_cndmask_b32_e32 v52, 7, v52, vcc_lo
	v_lshlrev_b32_e32 v53, 3, v53
	v_and_b32_e32 v54, 7, v52
	v_or_b32_e32 v50, v50, v52
	v_or3_b32 v51, v53, v51, v54
	v_cmp_ne_u32_e32 vcc_lo, 0, v50
	v_cndmask_b32_e32 v50, 0, v51, vcc_lo
.LBB6_12226:                            ;   in Loop: Header=BB6_11911 Depth=2
	s_or_b32 exec_lo, exec_lo, s27
.LBB6_12227:                            ;   in Loop: Header=BB6_11911 Depth=2
	s_or_b32 exec_lo, exec_lo, s26
	flat_load_ubyte v51, v[10:11] offset:704 slc
	s_mov_b32 s13, 0
	s_mov_b32 s26, exec_lo
	s_waitcnt vmcnt(0) lgkmcnt(0)
	v_cmpx_lt_i16_e32 0x7f, v51
	s_xor_b32 s26, exec_lo, s26
	s_cbranch_execz .LBB6_12409
; %bb.12228:                            ;   in Loop: Header=BB6_11911 Depth=2
	s_mov_b32 s13, -1
	s_mov_b32 s27, exec_lo
	v_cmpx_eq_u16_e32 0x80, v51
; %bb.12229:                            ;   in Loop: Header=BB6_11911 Depth=2
	s_xor_b32 s13, exec_lo, -1
; %bb.12230:                            ;   in Loop: Header=BB6_11911 Depth=2
	s_or_b32 exec_lo, exec_lo, s27
	s_and_b32 s13, s13, exec_lo
	s_or_saveexec_b32 s26, s26
	v_mov_b32_e32 v52, 0x7f800001
	s_xor_b32 exec_lo, exec_lo, s26
	s_cbranch_execnz .LBB6_12410
.LBB6_12231:                            ;   in Loop: Header=BB6_11911 Depth=2
	s_or_b32 exec_lo, exec_lo, s26
	s_and_saveexec_b32 s26, s13
	s_cbranch_execz .LBB6_12233
.LBB6_12232:                            ;   in Loop: Header=BB6_11911 Depth=2
	v_and_b32_e32 v52, 0xffff, v51
	v_lshlrev_b32_e32 v51, 24, v51
	v_and_b32_e32 v53, 7, v52
	v_bfe_u32 v64, v52, 3, 4
	v_and_b32_e32 v51, 0x80000000, v51
	v_ffbh_u32_e32 v54, v53
	v_cmp_eq_u32_e32 vcc_lo, 0, v64
	v_min_u32_e32 v54, 32, v54
	v_subrev_nc_u32_e32 v55, 28, v54
	v_sub_nc_u32_e32 v54, 29, v54
	v_lshlrev_b32_e32 v52, v55, v52
	v_cndmask_b32_e32 v54, v64, v54, vcc_lo
	v_and_b32_e32 v52, 7, v52
	v_cndmask_b32_e32 v52, v53, v52, vcc_lo
	v_lshl_add_u32 v53, v54, 23, 0x3b800000
	v_lshlrev_b32_e32 v52, 20, v52
	v_or3_b32 v52, v51, v53, v52
.LBB6_12233:                            ;   in Loop: Header=BB6_11911 Depth=2
	s_or_b32 exec_lo, exec_lo, s26
	v_mul_f32_e32 v52, v7, v52
	v_and_b32_e32 v51, 0x7f800000, v52
	v_cmp_ne_u32_e32 vcc_lo, 0x7f800000, v51
	v_mov_b32_e32 v51, 0x80
	s_and_saveexec_b32 s26, vcc_lo
	s_cbranch_execz .LBB6_12241
; %bb.12234:                            ;   in Loop: Header=BB6_11911 Depth=2
	v_mov_b32_e32 v51, 0
	s_mov_b32 s27, exec_lo
	v_cmpx_ne_u32_e32 0, v52
	s_cbranch_execz .LBB6_12240
; %bb.12235:                            ;   in Loop: Header=BB6_11911 Depth=2
	v_bfe_u32 v51, v52, 23, 8
	v_and_b32_e32 v53, 0x7fffff, v52
	v_sub_nc_u32_e32 v54, 0x78, v51
	v_cmp_gt_u32_e32 vcc_lo, 0x79, v51
	v_or_b32_e32 v55, 0x800000, v53
	v_cndmask_b32_e32 v54, 0, v54, vcc_lo
	v_cmp_eq_u32_e32 vcc_lo, 0, v51
	v_add_nc_u32_e32 v51, 0xffffff89, v51
	v_cndmask_b32_e64 v54, v54, 0x77, vcc_lo
	v_cndmask_b32_e32 v53, v55, v53, vcc_lo
	v_cndmask_b32_e64 v51, v51, 0xffffff8a, vcc_lo
	v_lshl_add_u32 v55, 0x100000, v54, -1
	v_lshrrev_b32_e32 v64, v54, v53
	v_lshlrev_b32_e64 v66, v54, 0x80000
	v_add_nc_u32_e32 v54, v54, v51
	v_and_b32_e32 v53, v55, v53
	v_bfe_u32 v65, v64, 20, 1
	v_cmp_eq_u32_e64 s13, v53, v66
	v_add_nc_u32_e32 v55, -1, v65
	v_cndmask_b32_e64 v53, 0, v55, s13
	v_lshrrev_b32_e32 v55, 23, v64
	s_mov_b32 s13, exec_lo
	v_add_nc_u32_e32 v53, v53, v64
	v_xor_b32_e32 v55, 1, v55
	v_and_b32_e32 v51, 0xfffff, v53
	v_add_nc_u32_e32 v53, v51, v64
                                        ; implicit-def: $vgpr51
	v_cmpx_ne_u32_e64 v54, v55
	s_xor_b32 s13, exec_lo, s13
; %bb.12236:                            ;   in Loop: Header=BB6_11911 Depth=2
	v_cmp_lt_u32_e32 vcc_lo, 0xffffff, v53
	v_sub_nc_u32_e32 v51, v54, v55
	v_cndmask_b32_e64 v54, 0, 1, vcc_lo
	v_add_co_ci_u32_e64 v51, null, 0, v51, vcc_lo
	v_lshrrev_b32_e32 v53, v54, v53
; %bb.12237:                            ;   in Loop: Header=BB6_11911 Depth=2
	s_andn2_saveexec_b32 s13, s13
; %bb.12238:                            ;   in Loop: Header=BB6_11911 Depth=2
	v_bfe_u32 v51, v53, 23, 1
; %bb.12239:                            ;   in Loop: Header=BB6_11911 Depth=2
	s_or_b32 exec_lo, exec_lo, s13
	v_lshrrev_b32_e32 v53, 20, v53
	v_cmp_gt_i32_e32 vcc_lo, 16, v51
	v_min_i32_e32 v54, 15, v51
	v_and_b32_sdwa v52, v52, v81 dst_sel:DWORD dst_unused:UNUSED_PAD src0_sel:BYTE_3 src1_sel:DWORD
	v_cndmask_b32_e32 v53, 7, v53, vcc_lo
	v_lshlrev_b32_e32 v54, 3, v54
	v_and_b32_e32 v55, 7, v53
	v_or_b32_e32 v51, v51, v53
	v_or3_b32 v52, v54, v52, v55
	v_cmp_ne_u32_e32 vcc_lo, 0, v51
	v_cndmask_b32_e32 v51, 0, v52, vcc_lo
.LBB6_12240:                            ;   in Loop: Header=BB6_11911 Depth=2
	s_or_b32 exec_lo, exec_lo, s27
.LBB6_12241:                            ;   in Loop: Header=BB6_11911 Depth=2
	s_or_b32 exec_lo, exec_lo, s26
	flat_load_ubyte v52, v[10:11] offset:736 slc
	s_mov_b32 s13, 0
	s_mov_b32 s26, exec_lo
	s_waitcnt vmcnt(0) lgkmcnt(0)
	v_cmpx_lt_i16_e32 0x7f, v52
	s_xor_b32 s26, exec_lo, s26
	s_cbranch_execz .LBB6_12411
; %bb.12242:                            ;   in Loop: Header=BB6_11911 Depth=2
	s_mov_b32 s13, -1
	s_mov_b32 s27, exec_lo
	v_cmpx_eq_u16_e32 0x80, v52
; %bb.12243:                            ;   in Loop: Header=BB6_11911 Depth=2
	s_xor_b32 s13, exec_lo, -1
; %bb.12244:                            ;   in Loop: Header=BB6_11911 Depth=2
	s_or_b32 exec_lo, exec_lo, s27
	s_and_b32 s13, s13, exec_lo
	s_or_saveexec_b32 s26, s26
	v_mov_b32_e32 v53, 0x7f800001
	s_xor_b32 exec_lo, exec_lo, s26
	s_cbranch_execnz .LBB6_12412
.LBB6_12245:                            ;   in Loop: Header=BB6_11911 Depth=2
	s_or_b32 exec_lo, exec_lo, s26
	s_and_saveexec_b32 s26, s13
	s_cbranch_execz .LBB6_12247
.LBB6_12246:                            ;   in Loop: Header=BB6_11911 Depth=2
	v_and_b32_e32 v53, 0xffff, v52
	v_lshlrev_b32_e32 v52, 24, v52
	v_and_b32_e32 v54, 7, v53
	v_bfe_u32 v65, v53, 3, 4
	v_and_b32_e32 v52, 0x80000000, v52
	v_ffbh_u32_e32 v55, v54
	v_cmp_eq_u32_e32 vcc_lo, 0, v65
	v_min_u32_e32 v55, 32, v55
	v_subrev_nc_u32_e32 v64, 28, v55
	v_sub_nc_u32_e32 v55, 29, v55
	v_lshlrev_b32_e32 v53, v64, v53
	v_cndmask_b32_e32 v55, v65, v55, vcc_lo
	v_and_b32_e32 v53, 7, v53
	v_cndmask_b32_e32 v53, v54, v53, vcc_lo
	v_lshl_add_u32 v54, v55, 23, 0x3b800000
	v_lshlrev_b32_e32 v53, 20, v53
	v_or3_b32 v53, v52, v54, v53
.LBB6_12247:                            ;   in Loop: Header=BB6_11911 Depth=2
	s_or_b32 exec_lo, exec_lo, s26
	v_mul_f32_e32 v53, v7, v53
	v_and_b32_e32 v52, 0x7f800000, v53
	v_cmp_ne_u32_e32 vcc_lo, 0x7f800000, v52
	v_mov_b32_e32 v52, 0x80
	s_and_saveexec_b32 s26, vcc_lo
	s_cbranch_execz .LBB6_12255
; %bb.12248:                            ;   in Loop: Header=BB6_11911 Depth=2
	v_mov_b32_e32 v52, 0
	s_mov_b32 s27, exec_lo
	v_cmpx_ne_u32_e32 0, v53
	s_cbranch_execz .LBB6_12254
; %bb.12249:                            ;   in Loop: Header=BB6_11911 Depth=2
	v_bfe_u32 v52, v53, 23, 8
	v_and_b32_e32 v54, 0x7fffff, v53
	v_sub_nc_u32_e32 v55, 0x78, v52
	v_cmp_gt_u32_e32 vcc_lo, 0x79, v52
	v_or_b32_e32 v64, 0x800000, v54
	v_cndmask_b32_e32 v55, 0, v55, vcc_lo
	v_cmp_eq_u32_e32 vcc_lo, 0, v52
	v_add_nc_u32_e32 v52, 0xffffff89, v52
	v_cndmask_b32_e64 v55, v55, 0x77, vcc_lo
	v_cndmask_b32_e32 v54, v64, v54, vcc_lo
	v_cndmask_b32_e64 v52, v52, 0xffffff8a, vcc_lo
	v_lshl_add_u32 v64, 0x100000, v55, -1
	v_lshrrev_b32_e32 v65, v55, v54
	v_lshlrev_b32_e64 v67, v55, 0x80000
	v_add_nc_u32_e32 v55, v55, v52
	v_and_b32_e32 v54, v64, v54
	v_bfe_u32 v66, v65, 20, 1
	v_cmp_eq_u32_e64 s13, v54, v67
	v_add_nc_u32_e32 v64, -1, v66
	v_cndmask_b32_e64 v54, 0, v64, s13
	v_lshrrev_b32_e32 v64, 23, v65
	s_mov_b32 s13, exec_lo
	v_add_nc_u32_e32 v54, v54, v65
	v_xor_b32_e32 v64, 1, v64
	v_and_b32_e32 v52, 0xfffff, v54
	v_add_nc_u32_e32 v54, v52, v65
                                        ; implicit-def: $vgpr52
	v_cmpx_ne_u32_e64 v55, v64
	s_xor_b32 s13, exec_lo, s13
; %bb.12250:                            ;   in Loop: Header=BB6_11911 Depth=2
	v_cmp_lt_u32_e32 vcc_lo, 0xffffff, v54
	v_sub_nc_u32_e32 v52, v55, v64
	v_cndmask_b32_e64 v55, 0, 1, vcc_lo
	v_add_co_ci_u32_e64 v52, null, 0, v52, vcc_lo
	v_lshrrev_b32_e32 v54, v55, v54
; %bb.12251:                            ;   in Loop: Header=BB6_11911 Depth=2
	s_andn2_saveexec_b32 s13, s13
; %bb.12252:                            ;   in Loop: Header=BB6_11911 Depth=2
	v_bfe_u32 v52, v54, 23, 1
; %bb.12253:                            ;   in Loop: Header=BB6_11911 Depth=2
	s_or_b32 exec_lo, exec_lo, s13
	v_lshrrev_b32_e32 v54, 20, v54
	v_cmp_gt_i32_e32 vcc_lo, 16, v52
	v_min_i32_e32 v55, 15, v52
	v_and_b32_sdwa v53, v53, v81 dst_sel:DWORD dst_unused:UNUSED_PAD src0_sel:BYTE_3 src1_sel:DWORD
	v_cndmask_b32_e32 v54, 7, v54, vcc_lo
	v_lshlrev_b32_e32 v55, 3, v55
	v_and_b32_e32 v64, 7, v54
	v_or_b32_e32 v52, v52, v54
	v_or3_b32 v53, v55, v53, v64
	v_cmp_ne_u32_e32 vcc_lo, 0, v52
	v_cndmask_b32_e32 v52, 0, v53, vcc_lo
.LBB6_12254:                            ;   in Loop: Header=BB6_11911 Depth=2
	s_or_b32 exec_lo, exec_lo, s27
.LBB6_12255:                            ;   in Loop: Header=BB6_11911 Depth=2
	s_or_b32 exec_lo, exec_lo, s26
	flat_load_ubyte v53, v[10:11] offset:768 slc
	s_mov_b32 s13, 0
	s_mov_b32 s26, exec_lo
	s_waitcnt vmcnt(0) lgkmcnt(0)
	v_cmpx_lt_i16_e32 0x7f, v53
	s_xor_b32 s26, exec_lo, s26
	s_cbranch_execz .LBB6_12413
; %bb.12256:                            ;   in Loop: Header=BB6_11911 Depth=2
	s_mov_b32 s13, -1
	s_mov_b32 s27, exec_lo
	v_cmpx_eq_u16_e32 0x80, v53
; %bb.12257:                            ;   in Loop: Header=BB6_11911 Depth=2
	s_xor_b32 s13, exec_lo, -1
; %bb.12258:                            ;   in Loop: Header=BB6_11911 Depth=2
	s_or_b32 exec_lo, exec_lo, s27
	s_and_b32 s13, s13, exec_lo
	s_or_saveexec_b32 s26, s26
	v_mov_b32_e32 v54, 0x7f800001
	s_xor_b32 exec_lo, exec_lo, s26
	s_cbranch_execnz .LBB6_12414
.LBB6_12259:                            ;   in Loop: Header=BB6_11911 Depth=2
	s_or_b32 exec_lo, exec_lo, s26
	s_and_saveexec_b32 s26, s13
	s_cbranch_execz .LBB6_12261
.LBB6_12260:                            ;   in Loop: Header=BB6_11911 Depth=2
	v_and_b32_e32 v54, 0xffff, v53
	v_lshlrev_b32_e32 v53, 24, v53
	v_and_b32_e32 v55, 7, v54
	v_bfe_u32 v66, v54, 3, 4
	v_and_b32_e32 v53, 0x80000000, v53
	v_ffbh_u32_e32 v64, v55
	v_cmp_eq_u32_e32 vcc_lo, 0, v66
	v_min_u32_e32 v64, 32, v64
	v_subrev_nc_u32_e32 v65, 28, v64
	v_sub_nc_u32_e32 v64, 29, v64
	v_lshlrev_b32_e32 v54, v65, v54
	v_cndmask_b32_e32 v64, v66, v64, vcc_lo
	v_and_b32_e32 v54, 7, v54
	v_cndmask_b32_e32 v54, v55, v54, vcc_lo
	v_lshl_add_u32 v55, v64, 23, 0x3b800000
	v_lshlrev_b32_e32 v54, 20, v54
	v_or3_b32 v54, v53, v55, v54
.LBB6_12261:                            ;   in Loop: Header=BB6_11911 Depth=2
	s_or_b32 exec_lo, exec_lo, s26
	v_mul_f32_e32 v54, v7, v54
	v_and_b32_e32 v53, 0x7f800000, v54
	v_cmp_ne_u32_e32 vcc_lo, 0x7f800000, v53
	v_mov_b32_e32 v53, 0x80
	s_and_saveexec_b32 s26, vcc_lo
	s_cbranch_execz .LBB6_12269
; %bb.12262:                            ;   in Loop: Header=BB6_11911 Depth=2
	v_mov_b32_e32 v53, 0
	s_mov_b32 s27, exec_lo
	v_cmpx_ne_u32_e32 0, v54
	s_cbranch_execz .LBB6_12268
; %bb.12263:                            ;   in Loop: Header=BB6_11911 Depth=2
	v_bfe_u32 v53, v54, 23, 8
	v_and_b32_e32 v55, 0x7fffff, v54
	v_sub_nc_u32_e32 v64, 0x78, v53
	v_cmp_gt_u32_e32 vcc_lo, 0x79, v53
	v_or_b32_e32 v65, 0x800000, v55
	v_cndmask_b32_e32 v64, 0, v64, vcc_lo
	v_cmp_eq_u32_e32 vcc_lo, 0, v53
	v_add_nc_u32_e32 v53, 0xffffff89, v53
	v_cndmask_b32_e64 v64, v64, 0x77, vcc_lo
	v_cndmask_b32_e32 v55, v65, v55, vcc_lo
	v_cndmask_b32_e64 v53, v53, 0xffffff8a, vcc_lo
	v_lshl_add_u32 v65, 0x100000, v64, -1
	v_lshrrev_b32_e32 v66, v64, v55
	v_lshlrev_b32_e64 v68, v64, 0x80000
	v_add_nc_u32_e32 v64, v64, v53
	v_and_b32_e32 v55, v65, v55
	v_bfe_u32 v67, v66, 20, 1
	v_cmp_eq_u32_e64 s13, v55, v68
	v_add_nc_u32_e32 v65, -1, v67
	v_cndmask_b32_e64 v55, 0, v65, s13
	v_lshrrev_b32_e32 v65, 23, v66
	s_mov_b32 s13, exec_lo
	v_add_nc_u32_e32 v55, v55, v66
	v_xor_b32_e32 v65, 1, v65
	v_and_b32_e32 v53, 0xfffff, v55
	v_add_nc_u32_e32 v55, v53, v66
                                        ; implicit-def: $vgpr53
	v_cmpx_ne_u32_e64 v64, v65
	s_xor_b32 s13, exec_lo, s13
; %bb.12264:                            ;   in Loop: Header=BB6_11911 Depth=2
	v_cmp_lt_u32_e32 vcc_lo, 0xffffff, v55
	v_sub_nc_u32_e32 v53, v64, v65
	v_cndmask_b32_e64 v64, 0, 1, vcc_lo
	v_add_co_ci_u32_e64 v53, null, 0, v53, vcc_lo
	v_lshrrev_b32_e32 v55, v64, v55
; %bb.12265:                            ;   in Loop: Header=BB6_11911 Depth=2
	s_andn2_saveexec_b32 s13, s13
; %bb.12266:                            ;   in Loop: Header=BB6_11911 Depth=2
	v_bfe_u32 v53, v55, 23, 1
; %bb.12267:                            ;   in Loop: Header=BB6_11911 Depth=2
	s_or_b32 exec_lo, exec_lo, s13
	v_lshrrev_b32_e32 v55, 20, v55
	v_cmp_gt_i32_e32 vcc_lo, 16, v53
	v_min_i32_e32 v64, 15, v53
	v_and_b32_sdwa v54, v54, v81 dst_sel:DWORD dst_unused:UNUSED_PAD src0_sel:BYTE_3 src1_sel:DWORD
	v_cndmask_b32_e32 v55, 7, v55, vcc_lo
	v_lshlrev_b32_e32 v64, 3, v64
	v_and_b32_e32 v65, 7, v55
	v_or_b32_e32 v53, v53, v55
	v_or3_b32 v54, v64, v54, v65
	v_cmp_ne_u32_e32 vcc_lo, 0, v53
	v_cndmask_b32_e32 v53, 0, v54, vcc_lo
.LBB6_12268:                            ;   in Loop: Header=BB6_11911 Depth=2
	s_or_b32 exec_lo, exec_lo, s27
.LBB6_12269:                            ;   in Loop: Header=BB6_11911 Depth=2
	s_or_b32 exec_lo, exec_lo, s26
	flat_load_ubyte v54, v[10:11] offset:800 slc
	s_mov_b32 s13, 0
	s_mov_b32 s26, exec_lo
	s_waitcnt vmcnt(0) lgkmcnt(0)
	v_cmpx_lt_i16_e32 0x7f, v54
	s_xor_b32 s26, exec_lo, s26
	s_cbranch_execz .LBB6_12415
; %bb.12270:                            ;   in Loop: Header=BB6_11911 Depth=2
	s_mov_b32 s13, -1
	s_mov_b32 s27, exec_lo
	v_cmpx_eq_u16_e32 0x80, v54
; %bb.12271:                            ;   in Loop: Header=BB6_11911 Depth=2
	s_xor_b32 s13, exec_lo, -1
; %bb.12272:                            ;   in Loop: Header=BB6_11911 Depth=2
	s_or_b32 exec_lo, exec_lo, s27
	s_and_b32 s13, s13, exec_lo
	s_or_saveexec_b32 s26, s26
	v_mov_b32_e32 v55, 0x7f800001
	s_xor_b32 exec_lo, exec_lo, s26
	s_cbranch_execnz .LBB6_12416
.LBB6_12273:                            ;   in Loop: Header=BB6_11911 Depth=2
	s_or_b32 exec_lo, exec_lo, s26
	s_and_saveexec_b32 s26, s13
	s_cbranch_execz .LBB6_12275
.LBB6_12274:                            ;   in Loop: Header=BB6_11911 Depth=2
	v_and_b32_e32 v55, 0xffff, v54
	v_lshlrev_b32_e32 v54, 24, v54
	v_and_b32_e32 v64, 7, v55
	v_bfe_u32 v67, v55, 3, 4
	v_and_b32_e32 v54, 0x80000000, v54
	v_ffbh_u32_e32 v65, v64
	v_cmp_eq_u32_e32 vcc_lo, 0, v67
	v_min_u32_e32 v65, 32, v65
	v_subrev_nc_u32_e32 v66, 28, v65
	v_sub_nc_u32_e32 v65, 29, v65
	v_lshlrev_b32_e32 v55, v66, v55
	v_cndmask_b32_e32 v65, v67, v65, vcc_lo
	v_and_b32_e32 v55, 7, v55
	v_cndmask_b32_e32 v55, v64, v55, vcc_lo
	v_lshl_add_u32 v64, v65, 23, 0x3b800000
	v_lshlrev_b32_e32 v55, 20, v55
	v_or3_b32 v55, v54, v64, v55
.LBB6_12275:                            ;   in Loop: Header=BB6_11911 Depth=2
	s_or_b32 exec_lo, exec_lo, s26
	v_mul_f32_e32 v55, v7, v55
	v_and_b32_e32 v54, 0x7f800000, v55
	v_cmp_ne_u32_e32 vcc_lo, 0x7f800000, v54
	v_mov_b32_e32 v54, 0x80
	s_and_saveexec_b32 s26, vcc_lo
	s_cbranch_execz .LBB6_12283
; %bb.12276:                            ;   in Loop: Header=BB6_11911 Depth=2
	v_mov_b32_e32 v54, 0
	s_mov_b32 s27, exec_lo
	v_cmpx_ne_u32_e32 0, v55
	s_cbranch_execz .LBB6_12282
; %bb.12277:                            ;   in Loop: Header=BB6_11911 Depth=2
	v_bfe_u32 v54, v55, 23, 8
	v_and_b32_e32 v64, 0x7fffff, v55
	v_sub_nc_u32_e32 v65, 0x78, v54
	v_cmp_gt_u32_e32 vcc_lo, 0x79, v54
	v_or_b32_e32 v66, 0x800000, v64
	v_cndmask_b32_e32 v65, 0, v65, vcc_lo
	v_cmp_eq_u32_e32 vcc_lo, 0, v54
	v_add_nc_u32_e32 v54, 0xffffff89, v54
	v_cndmask_b32_e64 v65, v65, 0x77, vcc_lo
	v_cndmask_b32_e32 v64, v66, v64, vcc_lo
	v_cndmask_b32_e64 v54, v54, 0xffffff8a, vcc_lo
	v_lshl_add_u32 v66, 0x100000, v65, -1
	v_lshrrev_b32_e32 v67, v65, v64
	v_lshlrev_b32_e64 v69, v65, 0x80000
	v_add_nc_u32_e32 v65, v65, v54
	v_and_b32_e32 v64, v66, v64
	v_bfe_u32 v68, v67, 20, 1
	v_cmp_eq_u32_e64 s13, v64, v69
	v_add_nc_u32_e32 v66, -1, v68
	v_cndmask_b32_e64 v64, 0, v66, s13
	v_lshrrev_b32_e32 v66, 23, v67
	s_mov_b32 s13, exec_lo
	v_add_nc_u32_e32 v64, v64, v67
	v_xor_b32_e32 v66, 1, v66
	v_and_b32_e32 v54, 0xfffff, v64
	v_add_nc_u32_e32 v64, v54, v67
                                        ; implicit-def: $vgpr54
	v_cmpx_ne_u32_e64 v65, v66
	s_xor_b32 s13, exec_lo, s13
; %bb.12278:                            ;   in Loop: Header=BB6_11911 Depth=2
	v_cmp_lt_u32_e32 vcc_lo, 0xffffff, v64
	v_sub_nc_u32_e32 v54, v65, v66
	v_cndmask_b32_e64 v65, 0, 1, vcc_lo
	v_add_co_ci_u32_e64 v54, null, 0, v54, vcc_lo
	v_lshrrev_b32_e32 v64, v65, v64
; %bb.12279:                            ;   in Loop: Header=BB6_11911 Depth=2
	s_andn2_saveexec_b32 s13, s13
; %bb.12280:                            ;   in Loop: Header=BB6_11911 Depth=2
	v_bfe_u32 v54, v64, 23, 1
; %bb.12281:                            ;   in Loop: Header=BB6_11911 Depth=2
	s_or_b32 exec_lo, exec_lo, s13
	v_lshrrev_b32_e32 v64, 20, v64
	v_cmp_gt_i32_e32 vcc_lo, 16, v54
	v_min_i32_e32 v65, 15, v54
	v_and_b32_sdwa v55, v55, v81 dst_sel:DWORD dst_unused:UNUSED_PAD src0_sel:BYTE_3 src1_sel:DWORD
	v_cndmask_b32_e32 v64, 7, v64, vcc_lo
	v_lshlrev_b32_e32 v65, 3, v65
	v_and_b32_e32 v66, 7, v64
	v_or_b32_e32 v54, v54, v64
	v_or3_b32 v55, v65, v55, v66
	v_cmp_ne_u32_e32 vcc_lo, 0, v54
	v_cndmask_b32_e32 v54, 0, v55, vcc_lo
.LBB6_12282:                            ;   in Loop: Header=BB6_11911 Depth=2
	s_or_b32 exec_lo, exec_lo, s27
.LBB6_12283:                            ;   in Loop: Header=BB6_11911 Depth=2
	s_or_b32 exec_lo, exec_lo, s26
	flat_load_ubyte v55, v[10:11] offset:832 slc
	s_mov_b32 s13, 0
	s_mov_b32 s26, exec_lo
	s_waitcnt vmcnt(0) lgkmcnt(0)
	v_cmpx_lt_i16_e32 0x7f, v55
	s_xor_b32 s26, exec_lo, s26
	s_cbranch_execz .LBB6_12417
; %bb.12284:                            ;   in Loop: Header=BB6_11911 Depth=2
	s_mov_b32 s13, -1
	s_mov_b32 s27, exec_lo
	v_cmpx_eq_u16_e32 0x80, v55
; %bb.12285:                            ;   in Loop: Header=BB6_11911 Depth=2
	s_xor_b32 s13, exec_lo, -1
; %bb.12286:                            ;   in Loop: Header=BB6_11911 Depth=2
	s_or_b32 exec_lo, exec_lo, s27
	s_and_b32 s13, s13, exec_lo
	s_or_saveexec_b32 s26, s26
	v_mov_b32_e32 v64, 0x7f800001
	s_xor_b32 exec_lo, exec_lo, s26
	s_cbranch_execnz .LBB6_12418
.LBB6_12287:                            ;   in Loop: Header=BB6_11911 Depth=2
	s_or_b32 exec_lo, exec_lo, s26
	s_and_saveexec_b32 s26, s13
	s_cbranch_execz .LBB6_12289
.LBB6_12288:                            ;   in Loop: Header=BB6_11911 Depth=2
	v_and_b32_e32 v64, 0xffff, v55
	v_lshlrev_b32_e32 v55, 24, v55
	v_and_b32_e32 v65, 7, v64
	v_bfe_u32 v68, v64, 3, 4
	v_and_b32_e32 v55, 0x80000000, v55
	v_ffbh_u32_e32 v66, v65
	v_cmp_eq_u32_e32 vcc_lo, 0, v68
	v_min_u32_e32 v66, 32, v66
	v_subrev_nc_u32_e32 v67, 28, v66
	v_sub_nc_u32_e32 v66, 29, v66
	v_lshlrev_b32_e32 v64, v67, v64
	v_cndmask_b32_e32 v66, v68, v66, vcc_lo
	v_and_b32_e32 v64, 7, v64
	v_cndmask_b32_e32 v64, v65, v64, vcc_lo
	v_lshl_add_u32 v65, v66, 23, 0x3b800000
	v_lshlrev_b32_e32 v64, 20, v64
	v_or3_b32 v64, v55, v65, v64
.LBB6_12289:                            ;   in Loop: Header=BB6_11911 Depth=2
	s_or_b32 exec_lo, exec_lo, s26
	v_mul_f32_e32 v64, v7, v64
	v_and_b32_e32 v55, 0x7f800000, v64
	v_cmp_ne_u32_e32 vcc_lo, 0x7f800000, v55
	v_mov_b32_e32 v55, 0x80
	s_and_saveexec_b32 s26, vcc_lo
	s_cbranch_execz .LBB6_12297
; %bb.12290:                            ;   in Loop: Header=BB6_11911 Depth=2
	v_mov_b32_e32 v55, 0
	s_mov_b32 s27, exec_lo
	v_cmpx_ne_u32_e32 0, v64
	s_cbranch_execz .LBB6_12296
; %bb.12291:                            ;   in Loop: Header=BB6_11911 Depth=2
	v_bfe_u32 v55, v64, 23, 8
	v_and_b32_e32 v65, 0x7fffff, v64
	v_sub_nc_u32_e32 v66, 0x78, v55
	v_cmp_gt_u32_e32 vcc_lo, 0x79, v55
	v_or_b32_e32 v67, 0x800000, v65
	v_cndmask_b32_e32 v66, 0, v66, vcc_lo
	v_cmp_eq_u32_e32 vcc_lo, 0, v55
	v_add_nc_u32_e32 v55, 0xffffff89, v55
	v_cndmask_b32_e64 v66, v66, 0x77, vcc_lo
	v_cndmask_b32_e32 v65, v67, v65, vcc_lo
	v_cndmask_b32_e64 v55, v55, 0xffffff8a, vcc_lo
	v_lshl_add_u32 v67, 0x100000, v66, -1
	v_lshrrev_b32_e32 v68, v66, v65
	v_lshlrev_b32_e64 v70, v66, 0x80000
	v_add_nc_u32_e32 v66, v66, v55
	v_and_b32_e32 v65, v67, v65
	v_bfe_u32 v69, v68, 20, 1
	v_cmp_eq_u32_e64 s13, v65, v70
	v_add_nc_u32_e32 v67, -1, v69
	v_cndmask_b32_e64 v65, 0, v67, s13
	v_lshrrev_b32_e32 v67, 23, v68
	s_mov_b32 s13, exec_lo
	v_add_nc_u32_e32 v65, v65, v68
	v_xor_b32_e32 v67, 1, v67
	v_and_b32_e32 v55, 0xfffff, v65
	v_add_nc_u32_e32 v65, v55, v68
                                        ; implicit-def: $vgpr55
	v_cmpx_ne_u32_e64 v66, v67
	s_xor_b32 s13, exec_lo, s13
; %bb.12292:                            ;   in Loop: Header=BB6_11911 Depth=2
	v_cmp_lt_u32_e32 vcc_lo, 0xffffff, v65
	v_sub_nc_u32_e32 v55, v66, v67
	v_cndmask_b32_e64 v66, 0, 1, vcc_lo
	v_add_co_ci_u32_e64 v55, null, 0, v55, vcc_lo
	v_lshrrev_b32_e32 v65, v66, v65
; %bb.12293:                            ;   in Loop: Header=BB6_11911 Depth=2
	s_andn2_saveexec_b32 s13, s13
; %bb.12294:                            ;   in Loop: Header=BB6_11911 Depth=2
	v_bfe_u32 v55, v65, 23, 1
; %bb.12295:                            ;   in Loop: Header=BB6_11911 Depth=2
	s_or_b32 exec_lo, exec_lo, s13
	v_lshrrev_b32_e32 v65, 20, v65
	v_cmp_gt_i32_e32 vcc_lo, 16, v55
	v_min_i32_e32 v66, 15, v55
	v_and_b32_sdwa v64, v64, v81 dst_sel:DWORD dst_unused:UNUSED_PAD src0_sel:BYTE_3 src1_sel:DWORD
	v_cndmask_b32_e32 v65, 7, v65, vcc_lo
	v_lshlrev_b32_e32 v66, 3, v66
	v_and_b32_e32 v67, 7, v65
	v_or_b32_e32 v55, v55, v65
	v_or3_b32 v64, v66, v64, v67
	v_cmp_ne_u32_e32 vcc_lo, 0, v55
	v_cndmask_b32_e32 v55, 0, v64, vcc_lo
.LBB6_12296:                            ;   in Loop: Header=BB6_11911 Depth=2
	s_or_b32 exec_lo, exec_lo, s27
.LBB6_12297:                            ;   in Loop: Header=BB6_11911 Depth=2
	s_or_b32 exec_lo, exec_lo, s26
	flat_load_ubyte v64, v[10:11] offset:864 slc
	s_mov_b32 s13, 0
	s_mov_b32 s26, exec_lo
	s_waitcnt vmcnt(0) lgkmcnt(0)
	v_cmpx_lt_i16_e32 0x7f, v64
	s_xor_b32 s26, exec_lo, s26
	s_cbranch_execz .LBB6_12419
; %bb.12298:                            ;   in Loop: Header=BB6_11911 Depth=2
	s_mov_b32 s13, -1
	s_mov_b32 s27, exec_lo
	v_cmpx_eq_u16_e32 0x80, v64
; %bb.12299:                            ;   in Loop: Header=BB6_11911 Depth=2
	s_xor_b32 s13, exec_lo, -1
; %bb.12300:                            ;   in Loop: Header=BB6_11911 Depth=2
	s_or_b32 exec_lo, exec_lo, s27
	s_and_b32 s13, s13, exec_lo
	s_or_saveexec_b32 s26, s26
	v_mov_b32_e32 v65, 0x7f800001
	s_xor_b32 exec_lo, exec_lo, s26
	s_cbranch_execnz .LBB6_12420
.LBB6_12301:                            ;   in Loop: Header=BB6_11911 Depth=2
	s_or_b32 exec_lo, exec_lo, s26
	s_and_saveexec_b32 s26, s13
	s_cbranch_execz .LBB6_12303
.LBB6_12302:                            ;   in Loop: Header=BB6_11911 Depth=2
	v_and_b32_e32 v65, 0xffff, v64
	v_lshlrev_b32_e32 v64, 24, v64
	v_and_b32_e32 v66, 7, v65
	v_bfe_u32 v69, v65, 3, 4
	v_and_b32_e32 v64, 0x80000000, v64
	v_ffbh_u32_e32 v67, v66
	v_cmp_eq_u32_e32 vcc_lo, 0, v69
	v_min_u32_e32 v67, 32, v67
	v_subrev_nc_u32_e32 v68, 28, v67
	v_sub_nc_u32_e32 v67, 29, v67
	v_lshlrev_b32_e32 v65, v68, v65
	v_cndmask_b32_e32 v67, v69, v67, vcc_lo
	v_and_b32_e32 v65, 7, v65
	v_cndmask_b32_e32 v65, v66, v65, vcc_lo
	v_lshl_add_u32 v66, v67, 23, 0x3b800000
	v_lshlrev_b32_e32 v65, 20, v65
	v_or3_b32 v65, v64, v66, v65
.LBB6_12303:                            ;   in Loop: Header=BB6_11911 Depth=2
	s_or_b32 exec_lo, exec_lo, s26
	v_mul_f32_e32 v65, v7, v65
	v_and_b32_e32 v64, 0x7f800000, v65
	v_cmp_ne_u32_e32 vcc_lo, 0x7f800000, v64
	v_mov_b32_e32 v64, 0x80
	s_and_saveexec_b32 s26, vcc_lo
	s_cbranch_execz .LBB6_12311
; %bb.12304:                            ;   in Loop: Header=BB6_11911 Depth=2
	v_mov_b32_e32 v64, 0
	s_mov_b32 s27, exec_lo
	v_cmpx_ne_u32_e32 0, v65
	s_cbranch_execz .LBB6_12310
; %bb.12305:                            ;   in Loop: Header=BB6_11911 Depth=2
	v_bfe_u32 v64, v65, 23, 8
	v_and_b32_e32 v66, 0x7fffff, v65
	v_sub_nc_u32_e32 v67, 0x78, v64
	v_cmp_gt_u32_e32 vcc_lo, 0x79, v64
	v_or_b32_e32 v68, 0x800000, v66
	v_cndmask_b32_e32 v67, 0, v67, vcc_lo
	v_cmp_eq_u32_e32 vcc_lo, 0, v64
	v_add_nc_u32_e32 v64, 0xffffff89, v64
	v_cndmask_b32_e64 v67, v67, 0x77, vcc_lo
	v_cndmask_b32_e32 v66, v68, v66, vcc_lo
	v_cndmask_b32_e64 v64, v64, 0xffffff8a, vcc_lo
	v_lshl_add_u32 v68, 0x100000, v67, -1
	v_lshrrev_b32_e32 v69, v67, v66
	v_lshlrev_b32_e64 v71, v67, 0x80000
	v_add_nc_u32_e32 v67, v67, v64
	v_and_b32_e32 v66, v68, v66
	v_bfe_u32 v70, v69, 20, 1
	v_cmp_eq_u32_e64 s13, v66, v71
	v_add_nc_u32_e32 v68, -1, v70
	v_cndmask_b32_e64 v66, 0, v68, s13
	v_lshrrev_b32_e32 v68, 23, v69
	s_mov_b32 s13, exec_lo
	v_add_nc_u32_e32 v66, v66, v69
	v_xor_b32_e32 v68, 1, v68
	v_and_b32_e32 v64, 0xfffff, v66
	v_add_nc_u32_e32 v66, v64, v69
                                        ; implicit-def: $vgpr64
	v_cmpx_ne_u32_e64 v67, v68
	s_xor_b32 s13, exec_lo, s13
; %bb.12306:                            ;   in Loop: Header=BB6_11911 Depth=2
	v_cmp_lt_u32_e32 vcc_lo, 0xffffff, v66
	v_sub_nc_u32_e32 v64, v67, v68
	v_cndmask_b32_e64 v67, 0, 1, vcc_lo
	v_add_co_ci_u32_e64 v64, null, 0, v64, vcc_lo
	v_lshrrev_b32_e32 v66, v67, v66
; %bb.12307:                            ;   in Loop: Header=BB6_11911 Depth=2
	s_andn2_saveexec_b32 s13, s13
; %bb.12308:                            ;   in Loop: Header=BB6_11911 Depth=2
	v_bfe_u32 v64, v66, 23, 1
; %bb.12309:                            ;   in Loop: Header=BB6_11911 Depth=2
	s_or_b32 exec_lo, exec_lo, s13
	v_lshrrev_b32_e32 v66, 20, v66
	v_cmp_gt_i32_e32 vcc_lo, 16, v64
	v_min_i32_e32 v67, 15, v64
	v_and_b32_sdwa v65, v65, v81 dst_sel:DWORD dst_unused:UNUSED_PAD src0_sel:BYTE_3 src1_sel:DWORD
	v_cndmask_b32_e32 v66, 7, v66, vcc_lo
	v_lshlrev_b32_e32 v67, 3, v67
	v_and_b32_e32 v68, 7, v66
	v_or_b32_e32 v64, v64, v66
	v_or3_b32 v65, v67, v65, v68
	v_cmp_ne_u32_e32 vcc_lo, 0, v64
	v_cndmask_b32_e32 v64, 0, v65, vcc_lo
.LBB6_12310:                            ;   in Loop: Header=BB6_11911 Depth=2
	s_or_b32 exec_lo, exec_lo, s27
.LBB6_12311:                            ;   in Loop: Header=BB6_11911 Depth=2
	s_or_b32 exec_lo, exec_lo, s26
	flat_load_ubyte v65, v[10:11] offset:896 slc
	s_mov_b32 s13, 0
	s_mov_b32 s26, exec_lo
	s_waitcnt vmcnt(0) lgkmcnt(0)
	v_cmpx_lt_i16_e32 0x7f, v65
	s_xor_b32 s26, exec_lo, s26
	s_cbranch_execz .LBB6_12421
; %bb.12312:                            ;   in Loop: Header=BB6_11911 Depth=2
	s_mov_b32 s13, -1
	s_mov_b32 s27, exec_lo
	v_cmpx_eq_u16_e32 0x80, v65
; %bb.12313:                            ;   in Loop: Header=BB6_11911 Depth=2
	s_xor_b32 s13, exec_lo, -1
; %bb.12314:                            ;   in Loop: Header=BB6_11911 Depth=2
	s_or_b32 exec_lo, exec_lo, s27
	s_and_b32 s13, s13, exec_lo
	s_or_saveexec_b32 s26, s26
	v_mov_b32_e32 v66, 0x7f800001
	s_xor_b32 exec_lo, exec_lo, s26
	s_cbranch_execnz .LBB6_12422
.LBB6_12315:                            ;   in Loop: Header=BB6_11911 Depth=2
	s_or_b32 exec_lo, exec_lo, s26
	s_and_saveexec_b32 s26, s13
	s_cbranch_execz .LBB6_12317
.LBB6_12316:                            ;   in Loop: Header=BB6_11911 Depth=2
	v_and_b32_e32 v66, 0xffff, v65
	v_lshlrev_b32_e32 v65, 24, v65
	v_and_b32_e32 v67, 7, v66
	v_bfe_u32 v70, v66, 3, 4
	v_and_b32_e32 v65, 0x80000000, v65
	v_ffbh_u32_e32 v68, v67
	v_cmp_eq_u32_e32 vcc_lo, 0, v70
	v_min_u32_e32 v68, 32, v68
	v_subrev_nc_u32_e32 v69, 28, v68
	v_sub_nc_u32_e32 v68, 29, v68
	v_lshlrev_b32_e32 v66, v69, v66
	v_cndmask_b32_e32 v68, v70, v68, vcc_lo
	v_and_b32_e32 v66, 7, v66
	v_cndmask_b32_e32 v66, v67, v66, vcc_lo
	v_lshl_add_u32 v67, v68, 23, 0x3b800000
	v_lshlrev_b32_e32 v66, 20, v66
	v_or3_b32 v66, v65, v67, v66
.LBB6_12317:                            ;   in Loop: Header=BB6_11911 Depth=2
	s_or_b32 exec_lo, exec_lo, s26
	v_mul_f32_e32 v66, v7, v66
	v_and_b32_e32 v65, 0x7f800000, v66
	v_cmp_ne_u32_e32 vcc_lo, 0x7f800000, v65
	v_mov_b32_e32 v65, 0x80
	s_and_saveexec_b32 s26, vcc_lo
	s_cbranch_execz .LBB6_12325
; %bb.12318:                            ;   in Loop: Header=BB6_11911 Depth=2
	v_mov_b32_e32 v65, 0
	s_mov_b32 s27, exec_lo
	v_cmpx_ne_u32_e32 0, v66
	s_cbranch_execz .LBB6_12324
; %bb.12319:                            ;   in Loop: Header=BB6_11911 Depth=2
	v_bfe_u32 v65, v66, 23, 8
	v_and_b32_e32 v67, 0x7fffff, v66
	v_sub_nc_u32_e32 v68, 0x78, v65
	v_cmp_gt_u32_e32 vcc_lo, 0x79, v65
	v_or_b32_e32 v69, 0x800000, v67
	v_cndmask_b32_e32 v68, 0, v68, vcc_lo
	v_cmp_eq_u32_e32 vcc_lo, 0, v65
	v_add_nc_u32_e32 v65, 0xffffff89, v65
	v_cndmask_b32_e64 v68, v68, 0x77, vcc_lo
	v_cndmask_b32_e32 v67, v69, v67, vcc_lo
	v_cndmask_b32_e64 v65, v65, 0xffffff8a, vcc_lo
	v_lshl_add_u32 v69, 0x100000, v68, -1
	v_lshrrev_b32_e32 v70, v68, v67
	v_lshlrev_b32_e64 v84, v68, 0x80000
	v_add_nc_u32_e32 v68, v68, v65
	v_and_b32_e32 v67, v69, v67
	v_bfe_u32 v71, v70, 20, 1
	v_cmp_eq_u32_e64 s13, v67, v84
	v_add_nc_u32_e32 v69, -1, v71
	v_cndmask_b32_e64 v67, 0, v69, s13
	v_lshrrev_b32_e32 v69, 23, v70
	s_mov_b32 s13, exec_lo
	v_add_nc_u32_e32 v67, v67, v70
	v_xor_b32_e32 v69, 1, v69
	v_and_b32_e32 v65, 0xfffff, v67
	v_add_nc_u32_e32 v67, v65, v70
                                        ; implicit-def: $vgpr65
	v_cmpx_ne_u32_e64 v68, v69
	s_xor_b32 s13, exec_lo, s13
; %bb.12320:                            ;   in Loop: Header=BB6_11911 Depth=2
	v_cmp_lt_u32_e32 vcc_lo, 0xffffff, v67
	v_sub_nc_u32_e32 v65, v68, v69
	v_cndmask_b32_e64 v68, 0, 1, vcc_lo
	v_add_co_ci_u32_e64 v65, null, 0, v65, vcc_lo
	v_lshrrev_b32_e32 v67, v68, v67
; %bb.12321:                            ;   in Loop: Header=BB6_11911 Depth=2
	s_andn2_saveexec_b32 s13, s13
; %bb.12322:                            ;   in Loop: Header=BB6_11911 Depth=2
	v_bfe_u32 v65, v67, 23, 1
; %bb.12323:                            ;   in Loop: Header=BB6_11911 Depth=2
	s_or_b32 exec_lo, exec_lo, s13
	v_lshrrev_b32_e32 v67, 20, v67
	v_cmp_gt_i32_e32 vcc_lo, 16, v65
	v_min_i32_e32 v68, 15, v65
	v_and_b32_sdwa v66, v66, v81 dst_sel:DWORD dst_unused:UNUSED_PAD src0_sel:BYTE_3 src1_sel:DWORD
	v_cndmask_b32_e32 v67, 7, v67, vcc_lo
	v_lshlrev_b32_e32 v68, 3, v68
	v_and_b32_e32 v69, 7, v67
	v_or_b32_e32 v65, v65, v67
	v_or3_b32 v66, v68, v66, v69
	v_cmp_ne_u32_e32 vcc_lo, 0, v65
	v_cndmask_b32_e32 v65, 0, v66, vcc_lo
.LBB6_12324:                            ;   in Loop: Header=BB6_11911 Depth=2
	s_or_b32 exec_lo, exec_lo, s27
.LBB6_12325:                            ;   in Loop: Header=BB6_11911 Depth=2
	s_or_b32 exec_lo, exec_lo, s26
	flat_load_ubyte v66, v[10:11] offset:928 slc
	s_mov_b32 s13, 0
	s_mov_b32 s26, exec_lo
	s_waitcnt vmcnt(0) lgkmcnt(0)
	v_cmpx_lt_i16_e32 0x7f, v66
	s_xor_b32 s26, exec_lo, s26
	s_cbranch_execz .LBB6_12423
; %bb.12326:                            ;   in Loop: Header=BB6_11911 Depth=2
	s_mov_b32 s13, -1
	s_mov_b32 s27, exec_lo
	v_cmpx_eq_u16_e32 0x80, v66
; %bb.12327:                            ;   in Loop: Header=BB6_11911 Depth=2
	s_xor_b32 s13, exec_lo, -1
; %bb.12328:                            ;   in Loop: Header=BB6_11911 Depth=2
	s_or_b32 exec_lo, exec_lo, s27
	s_and_b32 s13, s13, exec_lo
	s_or_saveexec_b32 s26, s26
	v_mov_b32_e32 v67, 0x7f800001
	s_xor_b32 exec_lo, exec_lo, s26
	s_cbranch_execnz .LBB6_12424
.LBB6_12329:                            ;   in Loop: Header=BB6_11911 Depth=2
	s_or_b32 exec_lo, exec_lo, s26
	s_and_saveexec_b32 s26, s13
	s_cbranch_execz .LBB6_12331
.LBB6_12330:                            ;   in Loop: Header=BB6_11911 Depth=2
	v_and_b32_e32 v67, 0xffff, v66
	v_lshlrev_b32_e32 v66, 24, v66
	v_and_b32_e32 v68, 7, v67
	v_bfe_u32 v71, v67, 3, 4
	v_and_b32_e32 v66, 0x80000000, v66
	v_ffbh_u32_e32 v69, v68
	v_cmp_eq_u32_e32 vcc_lo, 0, v71
	v_min_u32_e32 v69, 32, v69
	v_subrev_nc_u32_e32 v70, 28, v69
	v_sub_nc_u32_e32 v69, 29, v69
	v_lshlrev_b32_e32 v67, v70, v67
	v_cndmask_b32_e32 v69, v71, v69, vcc_lo
	v_and_b32_e32 v67, 7, v67
	v_cndmask_b32_e32 v67, v68, v67, vcc_lo
	v_lshl_add_u32 v68, v69, 23, 0x3b800000
	v_lshlrev_b32_e32 v67, 20, v67
	v_or3_b32 v67, v66, v68, v67
.LBB6_12331:                            ;   in Loop: Header=BB6_11911 Depth=2
	s_or_b32 exec_lo, exec_lo, s26
	v_mul_f32_e32 v67, v7, v67
	v_and_b32_e32 v66, 0x7f800000, v67
	v_cmp_ne_u32_e32 vcc_lo, 0x7f800000, v66
	v_mov_b32_e32 v66, 0x80
	s_and_saveexec_b32 s26, vcc_lo
	s_cbranch_execz .LBB6_12339
; %bb.12332:                            ;   in Loop: Header=BB6_11911 Depth=2
	v_mov_b32_e32 v66, 0
	s_mov_b32 s27, exec_lo
	v_cmpx_ne_u32_e32 0, v67
	s_cbranch_execz .LBB6_12338
; %bb.12333:                            ;   in Loop: Header=BB6_11911 Depth=2
	v_bfe_u32 v66, v67, 23, 8
	v_and_b32_e32 v68, 0x7fffff, v67
	v_sub_nc_u32_e32 v69, 0x78, v66
	v_cmp_gt_u32_e32 vcc_lo, 0x79, v66
	v_or_b32_e32 v70, 0x800000, v68
	v_cndmask_b32_e32 v69, 0, v69, vcc_lo
	v_cmp_eq_u32_e32 vcc_lo, 0, v66
	v_add_nc_u32_e32 v66, 0xffffff89, v66
	v_cndmask_b32_e64 v69, v69, 0x77, vcc_lo
	v_cndmask_b32_e32 v68, v70, v68, vcc_lo
	v_cndmask_b32_e64 v66, v66, 0xffffff8a, vcc_lo
	v_lshl_add_u32 v70, 0x100000, v69, -1
	v_lshrrev_b32_e32 v71, v69, v68
	v_lshlrev_b32_e64 v85, v69, 0x80000
	v_add_nc_u32_e32 v69, v69, v66
	v_and_b32_e32 v68, v70, v68
	v_bfe_u32 v84, v71, 20, 1
	v_cmp_eq_u32_e64 s13, v68, v85
	v_add_nc_u32_e32 v70, -1, v84
	v_cndmask_b32_e64 v68, 0, v70, s13
	v_lshrrev_b32_e32 v70, 23, v71
	s_mov_b32 s13, exec_lo
	v_add_nc_u32_e32 v68, v68, v71
	v_xor_b32_e32 v70, 1, v70
	v_and_b32_e32 v66, 0xfffff, v68
	v_add_nc_u32_e32 v68, v66, v71
                                        ; implicit-def: $vgpr66
	v_cmpx_ne_u32_e64 v69, v70
	s_xor_b32 s13, exec_lo, s13
; %bb.12334:                            ;   in Loop: Header=BB6_11911 Depth=2
	v_cmp_lt_u32_e32 vcc_lo, 0xffffff, v68
	v_sub_nc_u32_e32 v66, v69, v70
	v_cndmask_b32_e64 v69, 0, 1, vcc_lo
	v_add_co_ci_u32_e64 v66, null, 0, v66, vcc_lo
	v_lshrrev_b32_e32 v68, v69, v68
; %bb.12335:                            ;   in Loop: Header=BB6_11911 Depth=2
	s_andn2_saveexec_b32 s13, s13
; %bb.12336:                            ;   in Loop: Header=BB6_11911 Depth=2
	v_bfe_u32 v66, v68, 23, 1
; %bb.12337:                            ;   in Loop: Header=BB6_11911 Depth=2
	s_or_b32 exec_lo, exec_lo, s13
	v_lshrrev_b32_e32 v68, 20, v68
	v_cmp_gt_i32_e32 vcc_lo, 16, v66
	v_min_i32_e32 v69, 15, v66
	v_and_b32_sdwa v67, v67, v81 dst_sel:DWORD dst_unused:UNUSED_PAD src0_sel:BYTE_3 src1_sel:DWORD
	v_cndmask_b32_e32 v68, 7, v68, vcc_lo
	v_lshlrev_b32_e32 v69, 3, v69
	v_and_b32_e32 v70, 7, v68
	v_or_b32_e32 v66, v66, v68
	v_or3_b32 v67, v69, v67, v70
	v_cmp_ne_u32_e32 vcc_lo, 0, v66
	v_cndmask_b32_e32 v66, 0, v67, vcc_lo
.LBB6_12338:                            ;   in Loop: Header=BB6_11911 Depth=2
	s_or_b32 exec_lo, exec_lo, s27
.LBB6_12339:                            ;   in Loop: Header=BB6_11911 Depth=2
	s_or_b32 exec_lo, exec_lo, s26
	flat_load_ubyte v67, v[10:11] offset:960 slc
	s_mov_b32 s13, 0
	s_mov_b32 s26, exec_lo
	s_waitcnt vmcnt(0) lgkmcnt(0)
	v_cmpx_lt_i16_e32 0x7f, v67
	s_xor_b32 s26, exec_lo, s26
	s_cbranch_execz .LBB6_12425
; %bb.12340:                            ;   in Loop: Header=BB6_11911 Depth=2
	s_mov_b32 s13, -1
	s_mov_b32 s27, exec_lo
	v_cmpx_eq_u16_e32 0x80, v67
; %bb.12341:                            ;   in Loop: Header=BB6_11911 Depth=2
	s_xor_b32 s13, exec_lo, -1
; %bb.12342:                            ;   in Loop: Header=BB6_11911 Depth=2
	s_or_b32 exec_lo, exec_lo, s27
	s_and_b32 s13, s13, exec_lo
	s_or_saveexec_b32 s26, s26
	v_mov_b32_e32 v68, 0x7f800001
	s_xor_b32 exec_lo, exec_lo, s26
	s_cbranch_execnz .LBB6_12426
.LBB6_12343:                            ;   in Loop: Header=BB6_11911 Depth=2
	s_or_b32 exec_lo, exec_lo, s26
	s_and_saveexec_b32 s26, s13
	s_cbranch_execz .LBB6_12345
.LBB6_12344:                            ;   in Loop: Header=BB6_11911 Depth=2
	v_and_b32_e32 v68, 0xffff, v67
	v_lshlrev_b32_e32 v67, 24, v67
	v_and_b32_e32 v69, 7, v68
	v_bfe_u32 v84, v68, 3, 4
	v_and_b32_e32 v67, 0x80000000, v67
	v_ffbh_u32_e32 v70, v69
	v_cmp_eq_u32_e32 vcc_lo, 0, v84
	v_min_u32_e32 v70, 32, v70
	v_subrev_nc_u32_e32 v71, 28, v70
	v_sub_nc_u32_e32 v70, 29, v70
	v_lshlrev_b32_e32 v68, v71, v68
	v_cndmask_b32_e32 v70, v84, v70, vcc_lo
	v_and_b32_e32 v68, 7, v68
	v_cndmask_b32_e32 v68, v69, v68, vcc_lo
	v_lshl_add_u32 v69, v70, 23, 0x3b800000
	v_lshlrev_b32_e32 v68, 20, v68
	v_or3_b32 v68, v67, v69, v68
.LBB6_12345:                            ;   in Loop: Header=BB6_11911 Depth=2
	s_or_b32 exec_lo, exec_lo, s26
	v_mul_f32_e32 v68, v7, v68
	v_and_b32_e32 v67, 0x7f800000, v68
	v_cmp_ne_u32_e32 vcc_lo, 0x7f800000, v67
	v_mov_b32_e32 v67, 0x80
	s_and_saveexec_b32 s26, vcc_lo
	s_cbranch_execz .LBB6_12353
; %bb.12346:                            ;   in Loop: Header=BB6_11911 Depth=2
	v_mov_b32_e32 v67, 0
	s_mov_b32 s27, exec_lo
	v_cmpx_ne_u32_e32 0, v68
	s_cbranch_execz .LBB6_12352
; %bb.12347:                            ;   in Loop: Header=BB6_11911 Depth=2
	v_bfe_u32 v67, v68, 23, 8
	v_and_b32_e32 v69, 0x7fffff, v68
	v_sub_nc_u32_e32 v70, 0x78, v67
	v_cmp_gt_u32_e32 vcc_lo, 0x79, v67
	v_or_b32_e32 v71, 0x800000, v69
	v_cndmask_b32_e32 v70, 0, v70, vcc_lo
	v_cmp_eq_u32_e32 vcc_lo, 0, v67
	v_add_nc_u32_e32 v67, 0xffffff89, v67
	v_cndmask_b32_e64 v70, v70, 0x77, vcc_lo
	v_cndmask_b32_e32 v69, v71, v69, vcc_lo
	v_cndmask_b32_e64 v67, v67, 0xffffff8a, vcc_lo
	v_lshl_add_u32 v71, 0x100000, v70, -1
	v_lshrrev_b32_e32 v84, v70, v69
	v_lshlrev_b32_e64 v87, v70, 0x80000
	v_add_nc_u32_e32 v70, v70, v67
	v_and_b32_e32 v69, v71, v69
	v_bfe_u32 v85, v84, 20, 1
	v_cmp_eq_u32_e64 s13, v69, v87
	v_add_nc_u32_e32 v71, -1, v85
	v_cndmask_b32_e64 v69, 0, v71, s13
	v_lshrrev_b32_e32 v71, 23, v84
	s_mov_b32 s13, exec_lo
	v_add_nc_u32_e32 v69, v69, v84
	v_xor_b32_e32 v71, 1, v71
	v_and_b32_e32 v67, 0xfffff, v69
	v_add_nc_u32_e32 v69, v67, v84
                                        ; implicit-def: $vgpr67
	v_cmpx_ne_u32_e64 v70, v71
	s_xor_b32 s13, exec_lo, s13
; %bb.12348:                            ;   in Loop: Header=BB6_11911 Depth=2
	v_cmp_lt_u32_e32 vcc_lo, 0xffffff, v69
	v_sub_nc_u32_e32 v67, v70, v71
	v_cndmask_b32_e64 v70, 0, 1, vcc_lo
	v_add_co_ci_u32_e64 v67, null, 0, v67, vcc_lo
	v_lshrrev_b32_e32 v69, v70, v69
; %bb.12349:                            ;   in Loop: Header=BB6_11911 Depth=2
	s_andn2_saveexec_b32 s13, s13
; %bb.12350:                            ;   in Loop: Header=BB6_11911 Depth=2
	v_bfe_u32 v67, v69, 23, 1
; %bb.12351:                            ;   in Loop: Header=BB6_11911 Depth=2
	s_or_b32 exec_lo, exec_lo, s13
	v_lshrrev_b32_e32 v69, 20, v69
	v_cmp_gt_i32_e32 vcc_lo, 16, v67
	v_min_i32_e32 v70, 15, v67
	v_and_b32_sdwa v68, v68, v81 dst_sel:DWORD dst_unused:UNUSED_PAD src0_sel:BYTE_3 src1_sel:DWORD
	v_cndmask_b32_e32 v69, 7, v69, vcc_lo
	v_lshlrev_b32_e32 v70, 3, v70
	v_and_b32_e32 v71, 7, v69
	v_or_b32_e32 v67, v67, v69
	v_or3_b32 v68, v70, v68, v71
	v_cmp_ne_u32_e32 vcc_lo, 0, v67
	v_cndmask_b32_e32 v67, 0, v68, vcc_lo
.LBB6_12352:                            ;   in Loop: Header=BB6_11911 Depth=2
	s_or_b32 exec_lo, exec_lo, s27
.LBB6_12353:                            ;   in Loop: Header=BB6_11911 Depth=2
	s_or_b32 exec_lo, exec_lo, s26
	flat_load_ubyte v10, v[10:11] offset:992 slc
	s_mov_b32 s13, 0
	s_mov_b32 s26, exec_lo
	s_waitcnt vmcnt(0) lgkmcnt(0)
	v_cmpx_lt_i16_e32 0x7f, v10
	s_xor_b32 s26, exec_lo, s26
	s_cbranch_execz .LBB6_12427
; %bb.12354:                            ;   in Loop: Header=BB6_11911 Depth=2
	s_mov_b32 s13, -1
	s_mov_b32 s27, exec_lo
	v_cmpx_eq_u16_e32 0x80, v10
; %bb.12355:                            ;   in Loop: Header=BB6_11911 Depth=2
	s_xor_b32 s13, exec_lo, -1
; %bb.12356:                            ;   in Loop: Header=BB6_11911 Depth=2
	s_or_b32 exec_lo, exec_lo, s27
	s_and_b32 s13, s13, exec_lo
	s_or_saveexec_b32 s26, s26
	v_mov_b32_e32 v11, 0x7f800001
	s_xor_b32 exec_lo, exec_lo, s26
	s_cbranch_execnz .LBB6_12428
.LBB6_12357:                            ;   in Loop: Header=BB6_11911 Depth=2
	s_or_b32 exec_lo, exec_lo, s26
	s_and_saveexec_b32 s26, s13
	s_cbranch_execz .LBB6_12359
.LBB6_12358:                            ;   in Loop: Header=BB6_11911 Depth=2
	v_and_b32_e32 v11, 0xffff, v10
	v_lshlrev_b32_e32 v10, 24, v10
	v_and_b32_e32 v68, 7, v11
	v_bfe_u32 v71, v11, 3, 4
	v_and_b32_e32 v10, 0x80000000, v10
	v_ffbh_u32_e32 v69, v68
	v_cmp_eq_u32_e32 vcc_lo, 0, v71
	v_min_u32_e32 v69, 32, v69
	v_subrev_nc_u32_e32 v70, 28, v69
	v_sub_nc_u32_e32 v69, 29, v69
	v_lshlrev_b32_e32 v11, v70, v11
	v_cndmask_b32_e32 v69, v71, v69, vcc_lo
	v_and_b32_e32 v11, 7, v11
	v_cndmask_b32_e32 v11, v68, v11, vcc_lo
	v_lshl_add_u32 v68, v69, 23, 0x3b800000
	v_lshlrev_b32_e32 v11, 20, v11
	v_or3_b32 v11, v10, v68, v11
.LBB6_12359:                            ;   in Loop: Header=BB6_11911 Depth=2
	s_or_b32 exec_lo, exec_lo, s26
	v_mul_f32_e32 v7, v7, v11
	v_and_b32_e32 v10, 0x7f800000, v7
	v_cmp_ne_u32_e32 vcc_lo, 0x7f800000, v10
	v_mov_b32_e32 v10, 0x80
	s_and_saveexec_b32 s26, vcc_lo
	s_cbranch_execz .LBB6_11910
; %bb.12360:                            ;   in Loop: Header=BB6_11911 Depth=2
	v_mov_b32_e32 v10, 0
	s_mov_b32 s27, exec_lo
	v_cmpx_ne_u32_e32 0, v7
	s_cbranch_execz .LBB6_11909
; %bb.12361:                            ;   in Loop: Header=BB6_11911 Depth=2
	v_bfe_u32 v10, v7, 23, 8
	v_and_b32_e32 v11, 0x7fffff, v7
	v_sub_nc_u32_e32 v68, 0x78, v10
	v_cmp_gt_u32_e32 vcc_lo, 0x79, v10
	v_or_b32_e32 v69, 0x800000, v11
	v_cndmask_b32_e32 v68, 0, v68, vcc_lo
	v_cmp_eq_u32_e32 vcc_lo, 0, v10
	v_add_nc_u32_e32 v10, 0xffffff89, v10
	v_cndmask_b32_e64 v68, v68, 0x77, vcc_lo
	v_cndmask_b32_e32 v11, v69, v11, vcc_lo
	v_cndmask_b32_e64 v10, v10, 0xffffff8a, vcc_lo
	v_lshl_add_u32 v69, 0x100000, v68, -1
	v_lshrrev_b32_e32 v70, v68, v11
	v_lshlrev_b32_e64 v84, v68, 0x80000
	v_add_nc_u32_e32 v68, v68, v10
	v_and_b32_e32 v11, v69, v11
	v_bfe_u32 v71, v70, 20, 1
	v_cmp_eq_u32_e64 s13, v11, v84
	v_add_nc_u32_e32 v69, -1, v71
	v_cndmask_b32_e64 v11, 0, v69, s13
	v_lshrrev_b32_e32 v69, 23, v70
	s_mov_b32 s13, exec_lo
	v_add_nc_u32_e32 v11, v11, v70
	v_xor_b32_e32 v69, 1, v69
	v_and_b32_e32 v10, 0xfffff, v11
	v_add_nc_u32_e32 v11, v10, v70
                                        ; implicit-def: $vgpr10
	v_cmpx_ne_u32_e64 v68, v69
	s_xor_b32 s13, exec_lo, s13
; %bb.12362:                            ;   in Loop: Header=BB6_11911 Depth=2
	v_cmp_lt_u32_e32 vcc_lo, 0xffffff, v11
	v_sub_nc_u32_e32 v10, v68, v69
	v_cndmask_b32_e64 v68, 0, 1, vcc_lo
	v_add_co_ci_u32_e64 v10, null, 0, v10, vcc_lo
	v_lshrrev_b32_e32 v11, v68, v11
; %bb.12363:                            ;   in Loop: Header=BB6_11911 Depth=2
	s_andn2_saveexec_b32 s13, s13
	s_cbranch_execz .LBB6_11908
; %bb.12364:                            ;   in Loop: Header=BB6_11911 Depth=2
	v_bfe_u32 v10, v11, 23, 1
	s_branch .LBB6_11908
.LBB6_12365:                            ;   in Loop: Header=BB6_11911 Depth=2
	s_or_saveexec_b32 s26, s26
	v_mov_b32_e32 v9, 0x7f800001
	s_xor_b32 exec_lo, exec_lo, s26
	s_cbranch_execz .LBB6_11923
.LBB6_12366:                            ;   in Loop: Header=BB6_11911 Depth=2
	v_cmp_ne_u16_e32 vcc_lo, 0, v8
	v_mov_b32_e32 v9, 0
	s_andn2_b32 s13, s13, exec_lo
	s_and_b32 s27, vcc_lo, exec_lo
	s_or_b32 s13, s13, s27
	s_or_b32 exec_lo, exec_lo, s26
	s_and_saveexec_b32 s26, s13
	s_cbranch_execnz .LBB6_11924
	s_branch .LBB6_11925
.LBB6_12367:                            ;   in Loop: Header=BB6_11911 Depth=2
	s_or_saveexec_b32 s26, s26
	v_mov_b32_e32 v12, 0x7f800001
	s_xor_b32 exec_lo, exec_lo, s26
	s_cbranch_execz .LBB6_11937
.LBB6_12368:                            ;   in Loop: Header=BB6_11911 Depth=2
	v_cmp_ne_u16_e32 vcc_lo, 0, v9
	v_mov_b32_e32 v12, 0
	s_andn2_b32 s13, s13, exec_lo
	s_and_b32 s27, vcc_lo, exec_lo
	s_or_b32 s13, s13, s27
	s_or_b32 exec_lo, exec_lo, s26
	s_and_saveexec_b32 s26, s13
	s_cbranch_execnz .LBB6_11938
	s_branch .LBB6_11939
.LBB6_12369:                            ;   in Loop: Header=BB6_11911 Depth=2
	s_or_saveexec_b32 s26, s26
	v_mov_b32_e32 v13, 0x7f800001
	s_xor_b32 exec_lo, exec_lo, s26
	s_cbranch_execz .LBB6_11951
.LBB6_12370:                            ;   in Loop: Header=BB6_11911 Depth=2
	v_cmp_ne_u16_e32 vcc_lo, 0, v12
	v_mov_b32_e32 v13, 0
	s_andn2_b32 s13, s13, exec_lo
	s_and_b32 s27, vcc_lo, exec_lo
	s_or_b32 s13, s13, s27
	s_or_b32 exec_lo, exec_lo, s26
	s_and_saveexec_b32 s26, s13
	s_cbranch_execnz .LBB6_11952
	s_branch .LBB6_11953
.LBB6_12371:                            ;   in Loop: Header=BB6_11911 Depth=2
	s_or_saveexec_b32 s26, s26
	v_mov_b32_e32 v23, 0x7f800001
	s_xor_b32 exec_lo, exec_lo, s26
	s_cbranch_execz .LBB6_11965
.LBB6_12372:                            ;   in Loop: Header=BB6_11911 Depth=2
	v_cmp_ne_u16_e32 vcc_lo, 0, v13
	v_mov_b32_e32 v23, 0
	s_andn2_b32 s13, s13, exec_lo
	s_and_b32 s27, vcc_lo, exec_lo
	s_or_b32 s13, s13, s27
	s_or_b32 exec_lo, exec_lo, s26
	s_and_saveexec_b32 s26, s13
	s_cbranch_execnz .LBB6_11966
	s_branch .LBB6_11967
.LBB6_12373:                            ;   in Loop: Header=BB6_11911 Depth=2
	s_or_saveexec_b32 s26, s26
	v_mov_b32_e32 v24, 0x7f800001
	s_xor_b32 exec_lo, exec_lo, s26
	s_cbranch_execz .LBB6_11979
.LBB6_12374:                            ;   in Loop: Header=BB6_11911 Depth=2
	v_cmp_ne_u16_e32 vcc_lo, 0, v23
	v_mov_b32_e32 v24, 0
	s_andn2_b32 s13, s13, exec_lo
	s_and_b32 s27, vcc_lo, exec_lo
	s_or_b32 s13, s13, s27
	s_or_b32 exec_lo, exec_lo, s26
	s_and_saveexec_b32 s26, s13
	s_cbranch_execnz .LBB6_11980
	s_branch .LBB6_11981
.LBB6_12375:                            ;   in Loop: Header=BB6_11911 Depth=2
	s_or_saveexec_b32 s26, s26
	v_mov_b32_e32 v25, 0x7f800001
	s_xor_b32 exec_lo, exec_lo, s26
	s_cbranch_execz .LBB6_11993
.LBB6_12376:                            ;   in Loop: Header=BB6_11911 Depth=2
	v_cmp_ne_u16_e32 vcc_lo, 0, v24
	v_mov_b32_e32 v25, 0
	s_andn2_b32 s13, s13, exec_lo
	s_and_b32 s27, vcc_lo, exec_lo
	s_or_b32 s13, s13, s27
	s_or_b32 exec_lo, exec_lo, s26
	s_and_saveexec_b32 s26, s13
	s_cbranch_execnz .LBB6_11994
	s_branch .LBB6_11995
.LBB6_12377:                            ;   in Loop: Header=BB6_11911 Depth=2
	s_or_saveexec_b32 s26, s26
	v_mov_b32_e32 v26, 0x7f800001
	s_xor_b32 exec_lo, exec_lo, s26
	s_cbranch_execz .LBB6_12007
.LBB6_12378:                            ;   in Loop: Header=BB6_11911 Depth=2
	v_cmp_ne_u16_e32 vcc_lo, 0, v25
	v_mov_b32_e32 v26, 0
	s_andn2_b32 s13, s13, exec_lo
	s_and_b32 s27, vcc_lo, exec_lo
	s_or_b32 s13, s13, s27
	s_or_b32 exec_lo, exec_lo, s26
	s_and_saveexec_b32 s26, s13
	s_cbranch_execnz .LBB6_12008
	s_branch .LBB6_12009
.LBB6_12379:                            ;   in Loop: Header=BB6_11911 Depth=2
	s_or_saveexec_b32 s26, s26
	v_mov_b32_e32 v27, 0x7f800001
	s_xor_b32 exec_lo, exec_lo, s26
	s_cbranch_execz .LBB6_12021
.LBB6_12380:                            ;   in Loop: Header=BB6_11911 Depth=2
	v_cmp_ne_u16_e32 vcc_lo, 0, v26
	v_mov_b32_e32 v27, 0
	s_andn2_b32 s13, s13, exec_lo
	s_and_b32 s27, vcc_lo, exec_lo
	s_or_b32 s13, s13, s27
	s_or_b32 exec_lo, exec_lo, s26
	s_and_saveexec_b32 s26, s13
	s_cbranch_execnz .LBB6_12022
	s_branch .LBB6_12023
.LBB6_12381:                            ;   in Loop: Header=BB6_11911 Depth=2
	s_or_saveexec_b32 s26, s26
	v_mov_b32_e32 v28, 0x7f800001
	s_xor_b32 exec_lo, exec_lo, s26
	s_cbranch_execz .LBB6_12035
.LBB6_12382:                            ;   in Loop: Header=BB6_11911 Depth=2
	v_cmp_ne_u16_e32 vcc_lo, 0, v27
	v_mov_b32_e32 v28, 0
	s_andn2_b32 s13, s13, exec_lo
	s_and_b32 s27, vcc_lo, exec_lo
	s_or_b32 s13, s13, s27
	s_or_b32 exec_lo, exec_lo, s26
	s_and_saveexec_b32 s26, s13
	s_cbranch_execnz .LBB6_12036
	s_branch .LBB6_12037
.LBB6_12383:                            ;   in Loop: Header=BB6_11911 Depth=2
	s_or_saveexec_b32 s26, s26
	v_mov_b32_e32 v29, 0x7f800001
	s_xor_b32 exec_lo, exec_lo, s26
	s_cbranch_execz .LBB6_12049
.LBB6_12384:                            ;   in Loop: Header=BB6_11911 Depth=2
	v_cmp_ne_u16_e32 vcc_lo, 0, v28
	v_mov_b32_e32 v29, 0
	s_andn2_b32 s13, s13, exec_lo
	s_and_b32 s27, vcc_lo, exec_lo
	s_or_b32 s13, s13, s27
	s_or_b32 exec_lo, exec_lo, s26
	s_and_saveexec_b32 s26, s13
	s_cbranch_execnz .LBB6_12050
	s_branch .LBB6_12051
.LBB6_12385:                            ;   in Loop: Header=BB6_11911 Depth=2
	s_or_saveexec_b32 s26, s26
	v_mov_b32_e32 v30, 0x7f800001
	s_xor_b32 exec_lo, exec_lo, s26
	s_cbranch_execz .LBB6_12063
.LBB6_12386:                            ;   in Loop: Header=BB6_11911 Depth=2
	v_cmp_ne_u16_e32 vcc_lo, 0, v29
	v_mov_b32_e32 v30, 0
	s_andn2_b32 s13, s13, exec_lo
	s_and_b32 s27, vcc_lo, exec_lo
	s_or_b32 s13, s13, s27
	s_or_b32 exec_lo, exec_lo, s26
	s_and_saveexec_b32 s26, s13
	s_cbranch_execnz .LBB6_12064
	s_branch .LBB6_12065
.LBB6_12387:                            ;   in Loop: Header=BB6_11911 Depth=2
	s_or_saveexec_b32 s26, s26
	v_mov_b32_e32 v31, 0x7f800001
	s_xor_b32 exec_lo, exec_lo, s26
	s_cbranch_execz .LBB6_12077
.LBB6_12388:                            ;   in Loop: Header=BB6_11911 Depth=2
	v_cmp_ne_u16_e32 vcc_lo, 0, v30
	v_mov_b32_e32 v31, 0
	s_andn2_b32 s13, s13, exec_lo
	s_and_b32 s27, vcc_lo, exec_lo
	s_or_b32 s13, s13, s27
	s_or_b32 exec_lo, exec_lo, s26
	s_and_saveexec_b32 s26, s13
	s_cbranch_execnz .LBB6_12078
	s_branch .LBB6_12079
.LBB6_12389:                            ;   in Loop: Header=BB6_11911 Depth=2
	s_or_saveexec_b32 s26, s26
	v_mov_b32_e32 v32, 0x7f800001
	s_xor_b32 exec_lo, exec_lo, s26
	s_cbranch_execz .LBB6_12091
.LBB6_12390:                            ;   in Loop: Header=BB6_11911 Depth=2
	v_cmp_ne_u16_e32 vcc_lo, 0, v31
	v_mov_b32_e32 v32, 0
	s_andn2_b32 s13, s13, exec_lo
	s_and_b32 s27, vcc_lo, exec_lo
	s_or_b32 s13, s13, s27
	s_or_b32 exec_lo, exec_lo, s26
	s_and_saveexec_b32 s26, s13
	s_cbranch_execnz .LBB6_12092
	s_branch .LBB6_12093
.LBB6_12391:                            ;   in Loop: Header=BB6_11911 Depth=2
	s_or_saveexec_b32 s26, s26
	v_mov_b32_e32 v33, 0x7f800001
	s_xor_b32 exec_lo, exec_lo, s26
	s_cbranch_execz .LBB6_12105
.LBB6_12392:                            ;   in Loop: Header=BB6_11911 Depth=2
	v_cmp_ne_u16_e32 vcc_lo, 0, v32
	v_mov_b32_e32 v33, 0
	s_andn2_b32 s13, s13, exec_lo
	s_and_b32 s27, vcc_lo, exec_lo
	s_or_b32 s13, s13, s27
	s_or_b32 exec_lo, exec_lo, s26
	s_and_saveexec_b32 s26, s13
	s_cbranch_execnz .LBB6_12106
	s_branch .LBB6_12107
.LBB6_12393:                            ;   in Loop: Header=BB6_11911 Depth=2
	s_or_saveexec_b32 s26, s26
	v_mov_b32_e32 v34, 0x7f800001
	s_xor_b32 exec_lo, exec_lo, s26
	s_cbranch_execz .LBB6_12119
.LBB6_12394:                            ;   in Loop: Header=BB6_11911 Depth=2
	v_cmp_ne_u16_e32 vcc_lo, 0, v33
	v_mov_b32_e32 v34, 0
	s_andn2_b32 s13, s13, exec_lo
	s_and_b32 s27, vcc_lo, exec_lo
	s_or_b32 s13, s13, s27
	s_or_b32 exec_lo, exec_lo, s26
	s_and_saveexec_b32 s26, s13
	s_cbranch_execnz .LBB6_12120
	s_branch .LBB6_12121
.LBB6_12395:                            ;   in Loop: Header=BB6_11911 Depth=2
	s_or_saveexec_b32 s26, s26
	v_mov_b32_e32 v35, 0x7f800001
	s_xor_b32 exec_lo, exec_lo, s26
	s_cbranch_execz .LBB6_12133
.LBB6_12396:                            ;   in Loop: Header=BB6_11911 Depth=2
	v_cmp_ne_u16_e32 vcc_lo, 0, v34
	v_mov_b32_e32 v35, 0
	s_andn2_b32 s13, s13, exec_lo
	s_and_b32 s27, vcc_lo, exec_lo
	s_or_b32 s13, s13, s27
	s_or_b32 exec_lo, exec_lo, s26
	s_and_saveexec_b32 s26, s13
	s_cbranch_execnz .LBB6_12134
	s_branch .LBB6_12135
.LBB6_12397:                            ;   in Loop: Header=BB6_11911 Depth=2
	s_or_saveexec_b32 s26, s26
	v_mov_b32_e32 v36, 0x7f800001
	s_xor_b32 exec_lo, exec_lo, s26
	s_cbranch_execz .LBB6_12147
.LBB6_12398:                            ;   in Loop: Header=BB6_11911 Depth=2
	v_cmp_ne_u16_e32 vcc_lo, 0, v35
	v_mov_b32_e32 v36, 0
	s_andn2_b32 s13, s13, exec_lo
	s_and_b32 s27, vcc_lo, exec_lo
	s_or_b32 s13, s13, s27
	s_or_b32 exec_lo, exec_lo, s26
	s_and_saveexec_b32 s26, s13
	s_cbranch_execnz .LBB6_12148
	s_branch .LBB6_12149
.LBB6_12399:                            ;   in Loop: Header=BB6_11911 Depth=2
	s_or_saveexec_b32 s26, s26
	v_mov_b32_e32 v37, 0x7f800001
	s_xor_b32 exec_lo, exec_lo, s26
	s_cbranch_execz .LBB6_12161
.LBB6_12400:                            ;   in Loop: Header=BB6_11911 Depth=2
	v_cmp_ne_u16_e32 vcc_lo, 0, v36
	v_mov_b32_e32 v37, 0
	s_andn2_b32 s13, s13, exec_lo
	s_and_b32 s27, vcc_lo, exec_lo
	s_or_b32 s13, s13, s27
	s_or_b32 exec_lo, exec_lo, s26
	s_and_saveexec_b32 s26, s13
	s_cbranch_execnz .LBB6_12162
	s_branch .LBB6_12163
.LBB6_12401:                            ;   in Loop: Header=BB6_11911 Depth=2
	s_or_saveexec_b32 s26, s26
	v_mov_b32_e32 v48, 0x7f800001
	s_xor_b32 exec_lo, exec_lo, s26
	s_cbranch_execz .LBB6_12175
.LBB6_12402:                            ;   in Loop: Header=BB6_11911 Depth=2
	v_cmp_ne_u16_e32 vcc_lo, 0, v37
	v_mov_b32_e32 v48, 0
	s_andn2_b32 s13, s13, exec_lo
	s_and_b32 s27, vcc_lo, exec_lo
	s_or_b32 s13, s13, s27
	s_or_b32 exec_lo, exec_lo, s26
	s_and_saveexec_b32 s26, s13
	s_cbranch_execnz .LBB6_12176
	s_branch .LBB6_12177
.LBB6_12403:                            ;   in Loop: Header=BB6_11911 Depth=2
	s_or_saveexec_b32 s26, s26
	v_mov_b32_e32 v49, 0x7f800001
	s_xor_b32 exec_lo, exec_lo, s26
	s_cbranch_execz .LBB6_12189
.LBB6_12404:                            ;   in Loop: Header=BB6_11911 Depth=2
	v_cmp_ne_u16_e32 vcc_lo, 0, v48
	v_mov_b32_e32 v49, 0
	s_andn2_b32 s13, s13, exec_lo
	s_and_b32 s27, vcc_lo, exec_lo
	s_or_b32 s13, s13, s27
	s_or_b32 exec_lo, exec_lo, s26
	s_and_saveexec_b32 s26, s13
	s_cbranch_execnz .LBB6_12190
	s_branch .LBB6_12191
.LBB6_12405:                            ;   in Loop: Header=BB6_11911 Depth=2
	s_or_saveexec_b32 s26, s26
	v_mov_b32_e32 v50, 0x7f800001
	s_xor_b32 exec_lo, exec_lo, s26
	s_cbranch_execz .LBB6_12203
.LBB6_12406:                            ;   in Loop: Header=BB6_11911 Depth=2
	v_cmp_ne_u16_e32 vcc_lo, 0, v49
	v_mov_b32_e32 v50, 0
	s_andn2_b32 s13, s13, exec_lo
	s_and_b32 s27, vcc_lo, exec_lo
	s_or_b32 s13, s13, s27
	s_or_b32 exec_lo, exec_lo, s26
	s_and_saveexec_b32 s26, s13
	s_cbranch_execnz .LBB6_12204
	s_branch .LBB6_12205
.LBB6_12407:                            ;   in Loop: Header=BB6_11911 Depth=2
	s_or_saveexec_b32 s26, s26
	v_mov_b32_e32 v51, 0x7f800001
	s_xor_b32 exec_lo, exec_lo, s26
	s_cbranch_execz .LBB6_12217
.LBB6_12408:                            ;   in Loop: Header=BB6_11911 Depth=2
	v_cmp_ne_u16_e32 vcc_lo, 0, v50
	v_mov_b32_e32 v51, 0
	s_andn2_b32 s13, s13, exec_lo
	s_and_b32 s27, vcc_lo, exec_lo
	s_or_b32 s13, s13, s27
	s_or_b32 exec_lo, exec_lo, s26
	s_and_saveexec_b32 s26, s13
	s_cbranch_execnz .LBB6_12218
	s_branch .LBB6_12219
.LBB6_12409:                            ;   in Loop: Header=BB6_11911 Depth=2
	s_or_saveexec_b32 s26, s26
	v_mov_b32_e32 v52, 0x7f800001
	s_xor_b32 exec_lo, exec_lo, s26
	s_cbranch_execz .LBB6_12231
.LBB6_12410:                            ;   in Loop: Header=BB6_11911 Depth=2
	v_cmp_ne_u16_e32 vcc_lo, 0, v51
	v_mov_b32_e32 v52, 0
	s_andn2_b32 s13, s13, exec_lo
	s_and_b32 s27, vcc_lo, exec_lo
	s_or_b32 s13, s13, s27
	s_or_b32 exec_lo, exec_lo, s26
	s_and_saveexec_b32 s26, s13
	s_cbranch_execnz .LBB6_12232
	s_branch .LBB6_12233
.LBB6_12411:                            ;   in Loop: Header=BB6_11911 Depth=2
	s_or_saveexec_b32 s26, s26
	v_mov_b32_e32 v53, 0x7f800001
	s_xor_b32 exec_lo, exec_lo, s26
	s_cbranch_execz .LBB6_12245
.LBB6_12412:                            ;   in Loop: Header=BB6_11911 Depth=2
	v_cmp_ne_u16_e32 vcc_lo, 0, v52
	v_mov_b32_e32 v53, 0
	s_andn2_b32 s13, s13, exec_lo
	s_and_b32 s27, vcc_lo, exec_lo
	s_or_b32 s13, s13, s27
	s_or_b32 exec_lo, exec_lo, s26
	s_and_saveexec_b32 s26, s13
	s_cbranch_execnz .LBB6_12246
	s_branch .LBB6_12247
.LBB6_12413:                            ;   in Loop: Header=BB6_11911 Depth=2
	s_or_saveexec_b32 s26, s26
	v_mov_b32_e32 v54, 0x7f800001
	s_xor_b32 exec_lo, exec_lo, s26
	s_cbranch_execz .LBB6_12259
.LBB6_12414:                            ;   in Loop: Header=BB6_11911 Depth=2
	v_cmp_ne_u16_e32 vcc_lo, 0, v53
	v_mov_b32_e32 v54, 0
	s_andn2_b32 s13, s13, exec_lo
	s_and_b32 s27, vcc_lo, exec_lo
	s_or_b32 s13, s13, s27
	s_or_b32 exec_lo, exec_lo, s26
	s_and_saveexec_b32 s26, s13
	s_cbranch_execnz .LBB6_12260
	s_branch .LBB6_12261
.LBB6_12415:                            ;   in Loop: Header=BB6_11911 Depth=2
	s_or_saveexec_b32 s26, s26
	v_mov_b32_e32 v55, 0x7f800001
	s_xor_b32 exec_lo, exec_lo, s26
	s_cbranch_execz .LBB6_12273
.LBB6_12416:                            ;   in Loop: Header=BB6_11911 Depth=2
	v_cmp_ne_u16_e32 vcc_lo, 0, v54
	v_mov_b32_e32 v55, 0
	s_andn2_b32 s13, s13, exec_lo
	s_and_b32 s27, vcc_lo, exec_lo
	s_or_b32 s13, s13, s27
	s_or_b32 exec_lo, exec_lo, s26
	s_and_saveexec_b32 s26, s13
	s_cbranch_execnz .LBB6_12274
	s_branch .LBB6_12275
.LBB6_12417:                            ;   in Loop: Header=BB6_11911 Depth=2
	s_or_saveexec_b32 s26, s26
	v_mov_b32_e32 v64, 0x7f800001
	s_xor_b32 exec_lo, exec_lo, s26
	s_cbranch_execz .LBB6_12287
.LBB6_12418:                            ;   in Loop: Header=BB6_11911 Depth=2
	v_cmp_ne_u16_e32 vcc_lo, 0, v55
	v_mov_b32_e32 v64, 0
	s_andn2_b32 s13, s13, exec_lo
	s_and_b32 s27, vcc_lo, exec_lo
	s_or_b32 s13, s13, s27
	s_or_b32 exec_lo, exec_lo, s26
	s_and_saveexec_b32 s26, s13
	s_cbranch_execnz .LBB6_12288
	s_branch .LBB6_12289
.LBB6_12419:                            ;   in Loop: Header=BB6_11911 Depth=2
	s_or_saveexec_b32 s26, s26
	v_mov_b32_e32 v65, 0x7f800001
	s_xor_b32 exec_lo, exec_lo, s26
	s_cbranch_execz .LBB6_12301
.LBB6_12420:                            ;   in Loop: Header=BB6_11911 Depth=2
	v_cmp_ne_u16_e32 vcc_lo, 0, v64
	v_mov_b32_e32 v65, 0
	s_andn2_b32 s13, s13, exec_lo
	s_and_b32 s27, vcc_lo, exec_lo
	s_or_b32 s13, s13, s27
	s_or_b32 exec_lo, exec_lo, s26
	s_and_saveexec_b32 s26, s13
	s_cbranch_execnz .LBB6_12302
	s_branch .LBB6_12303
.LBB6_12421:                            ;   in Loop: Header=BB6_11911 Depth=2
	s_or_saveexec_b32 s26, s26
	v_mov_b32_e32 v66, 0x7f800001
	s_xor_b32 exec_lo, exec_lo, s26
	s_cbranch_execz .LBB6_12315
.LBB6_12422:                            ;   in Loop: Header=BB6_11911 Depth=2
	v_cmp_ne_u16_e32 vcc_lo, 0, v65
	v_mov_b32_e32 v66, 0
	s_andn2_b32 s13, s13, exec_lo
	s_and_b32 s27, vcc_lo, exec_lo
	s_or_b32 s13, s13, s27
	s_or_b32 exec_lo, exec_lo, s26
	s_and_saveexec_b32 s26, s13
	s_cbranch_execnz .LBB6_12316
	s_branch .LBB6_12317
.LBB6_12423:                            ;   in Loop: Header=BB6_11911 Depth=2
	s_or_saveexec_b32 s26, s26
	v_mov_b32_e32 v67, 0x7f800001
	s_xor_b32 exec_lo, exec_lo, s26
	s_cbranch_execz .LBB6_12329
.LBB6_12424:                            ;   in Loop: Header=BB6_11911 Depth=2
	v_cmp_ne_u16_e32 vcc_lo, 0, v66
	v_mov_b32_e32 v67, 0
	s_andn2_b32 s13, s13, exec_lo
	s_and_b32 s27, vcc_lo, exec_lo
	s_or_b32 s13, s13, s27
	s_or_b32 exec_lo, exec_lo, s26
	s_and_saveexec_b32 s26, s13
	s_cbranch_execnz .LBB6_12330
	s_branch .LBB6_12331
.LBB6_12425:                            ;   in Loop: Header=BB6_11911 Depth=2
	s_or_saveexec_b32 s26, s26
	v_mov_b32_e32 v68, 0x7f800001
	s_xor_b32 exec_lo, exec_lo, s26
	s_cbranch_execz .LBB6_12343
.LBB6_12426:                            ;   in Loop: Header=BB6_11911 Depth=2
	v_cmp_ne_u16_e32 vcc_lo, 0, v67
	v_mov_b32_e32 v68, 0
	s_andn2_b32 s13, s13, exec_lo
	s_and_b32 s27, vcc_lo, exec_lo
	s_or_b32 s13, s13, s27
	s_or_b32 exec_lo, exec_lo, s26
	s_and_saveexec_b32 s26, s13
	s_cbranch_execnz .LBB6_12344
	s_branch .LBB6_12345
.LBB6_12427:                            ;   in Loop: Header=BB6_11911 Depth=2
	s_or_saveexec_b32 s26, s26
	v_mov_b32_e32 v11, 0x7f800001
	s_xor_b32 exec_lo, exec_lo, s26
	s_cbranch_execz .LBB6_12357
.LBB6_12428:                            ;   in Loop: Header=BB6_11911 Depth=2
	v_cmp_ne_u16_e32 vcc_lo, 0, v10
	v_mov_b32_e32 v11, 0
	s_andn2_b32 s13, s13, exec_lo
	s_and_b32 s27, vcc_lo, exec_lo
	s_or_b32 s13, s13, s27
	s_or_b32 exec_lo, exec_lo, s26
	s_and_saveexec_b32 s26, s13
	s_cbranch_execnz .LBB6_12358
	s_branch .LBB6_12359
.LBB6_12429:                            ;   in Loop: Header=BB6_9503 Depth=1
	s_or_b32 exec_lo, exec_lo, s25
.LBB6_12430:                            ;   in Loop: Header=BB6_9503 Depth=1
	s_or_b32 exec_lo, exec_lo, s24
	v_and_b32_e32 v5, 0xfffffc00, v1
	v_cmp_ne_u32_e32 vcc_lo, v1, v5
	s_and_b32 exec_lo, exec_lo, vcc_lo
	s_cbranch_execz .LBB6_12458
; %bb.12431:                            ;   in Loop: Header=BB6_9503 Depth=1
	v_lshlrev_b32_e32 v3, 5, v3
	v_lshlrev_b32_e32 v4, 5, v4
	v_and_b32_e32 v1, 0x3ff, v1
	v_sub_nc_u32_e32 v2, v2, v3
	v_sub_nc_u32_e32 v2, v2, v4
	;; [unrolled: 1-line block ×3, first 2 shown]
	v_cmp_lt_i32_e32 vcc_lo, 0, v1
	s_and_b32 exec_lo, exec_lo, vcc_lo
	s_cbranch_execz .LBB6_12458
; %bb.12432:                            ;   in Loop: Header=BB6_9503 Depth=1
	s_trap 2
	ds_read_b64 v[10:11], v0
	v_add3_u32 v0, v5, v0, v2
	s_mov_b32 s24, 0
	v_ashrrev_i32_e32 v2, 31, v0
	s_branch .LBB6_12436
.LBB6_12433:                            ;   in Loop: Header=BB6_12436 Depth=2
	s_or_b32 exec_lo, exec_lo, s13
	v_lshrrev_b32_e32 v5, 20, v5
	v_cmp_gt_i32_e32 vcc_lo, 16, v4
	v_min_i32_e32 v6, 15, v4
	v_and_b32_sdwa v3, v3, v81 dst_sel:DWORD dst_unused:UNUSED_PAD src0_sel:BYTE_3 src1_sel:DWORD
	v_cndmask_b32_e32 v5, 7, v5, vcc_lo
	v_lshlrev_b32_e32 v6, 3, v6
	v_and_b32_e32 v7, 7, v5
	v_or_b32_e32 v4, v4, v5
	v_or3_b32 v3, v6, v3, v7
	v_cmp_ne_u32_e32 vcc_lo, 0, v4
	v_cndmask_b32_e32 v4, 0, v3, vcc_lo
.LBB6_12434:                            ;   in Loop: Header=BB6_12436 Depth=2
	s_or_b32 exec_lo, exec_lo, s26
.LBB6_12435:                            ;   in Loop: Header=BB6_12436 Depth=2
	s_or_b32 exec_lo, exec_lo, s25
	buffer_load_dword v3, off, s[0:3], s33 offset:380 ; 4-byte Folded Reload
	flat_store_byte v[12:13], v4 glc slc
	s_waitcnt vmcnt(0)
	v_sub_nc_u32_e32 v1, v1, v3
	v_add_co_u32 v0, s13, v0, v3
	v_add_co_ci_u32_e64 v2, null, 0, v2, s13
	v_cmp_gt_i32_e32 vcc_lo, 1, v1
	s_or_b32 s24, vcc_lo, s24
	s_andn2_b32 exec_lo, exec_lo, s24
	s_cbranch_execz .LBB6_12458
.LBB6_12436:                            ;   Parent Loop BB6_9503 Depth=1
                                        ; =>  This Inner Loop Header: Depth=2
	s_trap 2
	ds_read_b64 v[12:13], v0
	s_waitcnt lgkmcnt(0)
	v_readfirstlane_b32 s13, v12
	s_and_b32 s25, s13, 0xff
	s_cmpk_lt_i32 s25, 0x80
	s_cbranch_scc1 .LBB6_12440
; %bb.12437:                            ;   in Loop: Header=BB6_12436 Depth=2
	s_and_b32 s26, 0xffff, s25
	s_cmpk_eq_i32 s26, 0x80
	s_mov_b32 s26, -1
	s_cbranch_scc0 .LBB6_12439
; %bb.12438:                            ;   in Loop: Header=BB6_12436 Depth=2
	s_mov_b32 s26, 0
.LBB6_12439:                            ;   in Loop: Header=BB6_12436 Depth=2
	s_mov_b32 s27, 0x7f800001
	s_branch .LBB6_12442
.LBB6_12440:                            ;   in Loop: Header=BB6_12436 Depth=2
	s_mov_b32 s26, 0
	s_mov_b32 s27, 0x7f800001
	s_cbranch_execz .LBB6_12442
; %bb.12441:                            ;   in Loop: Header=BB6_12436 Depth=2
	s_and_b32 s25, 0xffff, s25
	s_mov_b32 s27, 0
	s_cmp_lg_u32 s25, 0
	s_cselect_b32 s26, -1, 0
.LBB6_12442:                            ;   in Loop: Header=BB6_12436 Depth=2
	v_mov_b32_e32 v3, s27
	s_andn2_b32 vcc_lo, exec_lo, s26
	s_cbranch_vccnz .LBB6_12444
; %bb.12443:                            ;   in Loop: Header=BB6_12436 Depth=2
	s_and_b32 s25, s13, 7
	s_bfe_u32 s27, s13, 0x40003
	s_flbit_i32_b32 s26, s25
	v_lshlrev_b32_e32 v3, 24, v12
	s_min_u32 s26, s26, 32
	s_sub_i32 s28, s26, 28
	s_sub_i32 s26, 29, s26
	s_lshl_b32 s13, s13, s28
	v_and_b32_e32 v3, 0x80000000, v3
	s_and_b32 s13, s13, 7
	s_cmp_eq_u32 s27, 0
	s_cselect_b32 s26, s26, s27
	s_cselect_b32 s13, s13, s25
	s_lshl_b32 s25, s26, 23
	s_lshl_b32 s13, s13, 20
	s_add_i32 s25, s25, 0x3b800000
	v_or_b32_e32 v3, s25, v3
	v_or_b32_e32 v3, s13, v3
.LBB6_12444:                            ;   in Loop: Header=BB6_12436 Depth=2
	v_add_co_u32 v12, vcc_lo, v10, v0
	v_add_co_ci_u32_e64 v13, null, v11, v2, vcc_lo
	s_mov_b32 s13, 0
	s_mov_b32 s25, exec_lo
	flat_load_ubyte v4, v[12:13] slc
	s_waitcnt vmcnt(0) lgkmcnt(0)
	v_cmpx_lt_i16_e32 0x7f, v4
	s_xor_b32 s25, exec_lo, s25
	s_cbranch_execz .LBB6_12456
; %bb.12445:                            ;   in Loop: Header=BB6_12436 Depth=2
	s_mov_b32 s13, -1
	s_mov_b32 s26, exec_lo
	v_cmpx_eq_u16_e32 0x80, v4
; %bb.12446:                            ;   in Loop: Header=BB6_12436 Depth=2
	s_xor_b32 s13, exec_lo, -1
; %bb.12447:                            ;   in Loop: Header=BB6_12436 Depth=2
	s_or_b32 exec_lo, exec_lo, s26
	s_and_b32 s13, s13, exec_lo
	s_or_saveexec_b32 s25, s25
	v_mov_b32_e32 v5, 0x7f800001
	s_xor_b32 exec_lo, exec_lo, s25
	s_cbranch_execnz .LBB6_12457
.LBB6_12448:                            ;   in Loop: Header=BB6_12436 Depth=2
	s_or_b32 exec_lo, exec_lo, s25
	s_and_saveexec_b32 s25, s13
	s_cbranch_execz .LBB6_12450
.LBB6_12449:                            ;   in Loop: Header=BB6_12436 Depth=2
	v_and_b32_e32 v5, 0xffff, v4
	v_lshlrev_b32_e32 v4, 24, v4
	v_and_b32_e32 v6, 7, v5
	v_bfe_u32 v9, v5, 3, 4
	v_and_b32_e32 v4, 0x80000000, v4
	v_ffbh_u32_e32 v7, v6
	v_cmp_eq_u32_e32 vcc_lo, 0, v9
	v_min_u32_e32 v7, 32, v7
	v_subrev_nc_u32_e32 v8, 28, v7
	v_sub_nc_u32_e32 v7, 29, v7
	v_lshlrev_b32_e32 v5, v8, v5
	v_cndmask_b32_e32 v7, v9, v7, vcc_lo
	v_and_b32_e32 v5, 7, v5
	v_cndmask_b32_e32 v5, v6, v5, vcc_lo
	v_lshl_add_u32 v6, v7, 23, 0x3b800000
	v_lshlrev_b32_e32 v5, 20, v5
	v_or3_b32 v5, v4, v6, v5
.LBB6_12450:                            ;   in Loop: Header=BB6_12436 Depth=2
	s_or_b32 exec_lo, exec_lo, s25
	v_mul_f32_e32 v3, v3, v5
	v_and_b32_e32 v4, 0x7f800000, v3
	v_cmp_ne_u32_e32 vcc_lo, 0x7f800000, v4
	v_mov_b32_e32 v4, 0x80
	s_and_saveexec_b32 s25, vcc_lo
	s_cbranch_execz .LBB6_12435
; %bb.12451:                            ;   in Loop: Header=BB6_12436 Depth=2
	v_mov_b32_e32 v4, 0
	s_mov_b32 s26, exec_lo
	v_cmpx_ne_u32_e32 0, v3
	s_cbranch_execz .LBB6_12434
; %bb.12452:                            ;   in Loop: Header=BB6_12436 Depth=2
	v_bfe_u32 v4, v3, 23, 8
	v_and_b32_e32 v5, 0x7fffff, v3
	v_sub_nc_u32_e32 v6, 0x78, v4
	v_cmp_gt_u32_e32 vcc_lo, 0x79, v4
	v_or_b32_e32 v7, 0x800000, v5
	v_cndmask_b32_e32 v6, 0, v6, vcc_lo
	v_cmp_eq_u32_e32 vcc_lo, 0, v4
	v_add_nc_u32_e32 v4, 0xffffff89, v4
	v_cndmask_b32_e64 v6, v6, 0x77, vcc_lo
	v_cndmask_b32_e32 v5, v7, v5, vcc_lo
	v_cndmask_b32_e64 v4, v4, 0xffffff8a, vcc_lo
	v_lshl_add_u32 v7, 0x100000, v6, -1
	v_lshrrev_b32_e32 v8, v6, v5
	v_lshlrev_b32_e64 v19, v6, 0x80000
	v_add_nc_u32_e32 v6, v6, v4
	v_and_b32_e32 v5, v7, v5
	v_bfe_u32 v9, v8, 20, 1
	v_cmp_eq_u32_e64 s13, v5, v19
	v_add_nc_u32_e32 v7, -1, v9
	v_cndmask_b32_e64 v5, 0, v7, s13
	v_lshrrev_b32_e32 v7, 23, v8
	s_mov_b32 s13, exec_lo
	v_add_nc_u32_e32 v5, v5, v8
	v_xor_b32_e32 v7, 1, v7
	v_and_b32_e32 v4, 0xfffff, v5
	v_add_nc_u32_e32 v5, v4, v8
                                        ; implicit-def: $vgpr4
	v_cmpx_ne_u32_e64 v6, v7
	s_xor_b32 s13, exec_lo, s13
; %bb.12453:                            ;   in Loop: Header=BB6_12436 Depth=2
	v_cmp_lt_u32_e32 vcc_lo, 0xffffff, v5
	v_sub_nc_u32_e32 v4, v6, v7
	v_cndmask_b32_e64 v6, 0, 1, vcc_lo
	v_add_co_ci_u32_e64 v4, null, 0, v4, vcc_lo
	v_lshrrev_b32_e32 v5, v6, v5
; %bb.12454:                            ;   in Loop: Header=BB6_12436 Depth=2
	s_andn2_saveexec_b32 s13, s13
	s_cbranch_execz .LBB6_12433
; %bb.12455:                            ;   in Loop: Header=BB6_12436 Depth=2
	v_bfe_u32 v4, v5, 23, 1
	s_branch .LBB6_12433
.LBB6_12456:                            ;   in Loop: Header=BB6_12436 Depth=2
	s_or_saveexec_b32 s25, s25
	v_mov_b32_e32 v5, 0x7f800001
	s_xor_b32 exec_lo, exec_lo, s25
	s_cbranch_execz .LBB6_12448
.LBB6_12457:                            ;   in Loop: Header=BB6_12436 Depth=2
	v_cmp_ne_u16_e32 vcc_lo, 0, v4
	v_mov_b32_e32 v5, 0
	s_andn2_b32 s13, s13, exec_lo
	s_and_b32 s26, vcc_lo, exec_lo
	s_or_b32 s13, s13, s26
	s_or_b32 exec_lo, exec_lo, s25
	s_and_saveexec_b32 s25, s13
	s_cbranch_execnz .LBB6_12449
	s_branch .LBB6_12450
.LBB6_12458:                            ;   in Loop: Header=BB6_9503 Depth=1
	s_or_b32 exec_lo, exec_lo, s14
	buffer_load_dword v0, off, s[0:3], s33 offset:392 ; 4-byte Folded Reload
	s_waitcnt vmcnt(0)
	v_cmp_ne_u32_e64 s13, 0, v0
	s_and_saveexec_b32 s14, s6
	s_cbranch_execz .LBB6_12477
.LBB6_12459:                            ;   in Loop: Header=BB6_9503 Depth=1
	s_and_saveexec_b32 s24, s16
	s_xor_b32 s24, exec_lo, s24
	s_cbranch_execz .LBB6_12474
; %bb.12460:                            ;   in Loop: Header=BB6_9503 Depth=1
	s_and_saveexec_b32 s25, s7
	s_cbranch_execz .LBB6_12473
; %bb.12461:                            ;   in Loop: Header=BB6_9503 Depth=1
	s_mov_b32 s27, exec_lo
	s_mov_b32 s26, exec_lo
	v_mbcnt_lo_u32_b32 v0, s27, 0
	s_waitcnt lgkmcnt(0)
	s_waitcnt_vscnt null, 0x0
	buffer_gl1_inv
	buffer_gl0_inv
	v_cmpx_eq_u32_e32 0, v0
	s_cbranch_execz .LBB6_12463
; %bb.12462:                            ;   in Loop: Header=BB6_9503 Depth=1
	s_bcnt1_i32_b32 s27, s27
	v_mov_b32_e32 v1, v15
	v_mov_b32_e32 v0, s27
	ds_add_u64 v0, v[0:1]
	s_trap 2
.LBB6_12463:                            ;   in Loop: Header=BB6_9503 Depth=1
	s_or_b32 exec_lo, exec_lo, s26
	s_trap 2
	ds_read_b64 v[0:1], v0
	s_waitcnt lgkmcnt(0)
	buffer_gl0_inv
	s_clause 0x1
	buffer_load_dword v2, off, s[0:3], s33 offset:216
	buffer_load_dword v3, off, s[0:3], s33 offset:220
	s_mov_b32 s26, exec_lo
	s_waitcnt vmcnt(1)
	v_add_co_u32 v2, vcc_lo, v2, v59
	s_waitcnt vmcnt(0)
	v_add_co_ci_u32_e64 v3, null, 0, v3, vcc_lo
	buffer_store_dword v2, off, s[0:3], s33 offset:216 ; 4-byte Folded Spill
	buffer_store_dword v3, off, s[0:3], s33 offset:220 ; 4-byte Folded Spill
	v_cmpx_lt_u64_e64 v[0:1], v[2:3]
	s_cbranch_execz .LBB6_12472
; %bb.12464:                            ;   in Loop: Header=BB6_9503 Depth=1
	s_mov_b32 s27, 0
	s_mov_b32 s40, 0
                                        ; implicit-def: $sgpr28
                                        ; implicit-def: $sgpr29
	s_inst_prefetch 0x1
	s_branch .LBB6_12466
	.p2align	6
.LBB6_12465:                            ;   in Loop: Header=BB6_12466 Depth=2
	s_or_b32 exec_lo, exec_lo, s42
	s_and_b32 s41, exec_lo, s43
	s_or_b32 s27, s41, s27
	s_andn2_b32 s28, s28, exec_lo
	s_and_b32 s41, s29, exec_lo
	s_or_b32 s28, s28, s41
	s_andn2_b32 exec_lo, exec_lo, s27
	s_cbranch_execz .LBB6_12470
.LBB6_12466:                            ;   Parent Loop BB6_9503 Depth=1
                                        ; =>  This Inner Loop Header: Depth=2
	s_add_i32 s40, s40, 1
	s_cmpk_lg_i32 s40, 0x2710
	s_cselect_b32 s41, -1, 0
	s_and_b32 vcc_lo, exec_lo, s41
	s_cbranch_vccz .LBB6_12468
; %bb.12467:                            ;   in Loop: Header=BB6_12466 Depth=2
	s_mov_b32 s43, -1
	s_or_b32 s29, s29, exec_lo
	s_and_saveexec_b32 s42, s41
	s_cbranch_execz .LBB6_12465
	s_branch .LBB6_12469
.LBB6_12468:                            ;   in Loop: Header=BB6_12466 Depth=2
	s_trap 2
	ds_read_b64 v[0:1], v0
	s_andn2_b32 s41, s41, exec_lo
	s_mov_b32 s40, 0
	s_waitcnt lgkmcnt(0)
	s_waitcnt_vscnt null, 0x0
	flat_load_dword v0, v[0:1] glc dlc
	s_waitcnt vmcnt(0) lgkmcnt(0)
	buffer_gl1_inv
	buffer_gl0_inv
	v_cmp_eq_u32_e32 vcc_lo, 0, v0
	s_and_b32 s42, vcc_lo, exec_lo
	s_or_b32 s41, s41, s42
	s_mov_b32 s43, -1
	s_or_b32 s29, s29, exec_lo
	s_and_saveexec_b32 s42, s41
	s_cbranch_execz .LBB6_12465
.LBB6_12469:                            ;   in Loop: Header=BB6_12466 Depth=2
	s_sleep 1
	s_trap 2
	ds_read_b64 v[0:1], v0
	s_waitcnt lgkmcnt(0)
	buffer_gl0_inv
	s_clause 0x1
	buffer_load_dword v2, off, s[0:3], s33 offset:216
	buffer_load_dword v3, off, s[0:3], s33 offset:220
	s_andn2_b32 s29, s29, exec_lo
	s_waitcnt vmcnt(0)
	v_cmp_ge_u64_e32 vcc_lo, v[0:1], v[2:3]
	s_orn2_b32 s43, vcc_lo, exec_lo
	s_branch .LBB6_12465
.LBB6_12470:                            ;   in Loop: Header=BB6_9503 Depth=1
	s_inst_prefetch 0x2
	s_or_b32 exec_lo, exec_lo, s27
	s_and_saveexec_b32 s27, s28
	s_xor_b32 s27, exec_lo, s27
	s_cbranch_execz .LBB6_12472
; %bb.12471:                            ;   in Loop: Header=BB6_9503 Depth=1
	v_mov_b32_e32 v0, 1
	ds_write_b32 v0, v0
	s_trap 2
.LBB6_12472:                            ;   in Loop: Header=BB6_9503 Depth=1
	s_or_b32 exec_lo, exec_lo, s26
	;;#ASMSTART
	s_wakeup
	;;#ASMEND
.LBB6_12473:                            ;   in Loop: Header=BB6_9503 Depth=1
	s_or_b32 exec_lo, exec_lo, s25
.LBB6_12474:                            ;   in Loop: Header=BB6_9503 Depth=1
	s_andn2_saveexec_b32 s24, s24
	s_cbranch_execz .LBB6_12476
; %bb.12475:                            ;   in Loop: Header=BB6_9503 Depth=1
	s_waitcnt lgkmcnt(0)
	s_waitcnt_vscnt null, 0x0
	buffer_gl1_inv
	buffer_gl0_inv
	s_barrier
.LBB6_12476:                            ;   in Loop: Header=BB6_9503 Depth=1
	s_or_b32 exec_lo, exec_lo, s24
.LBB6_12477:                            ;   in Loop: Header=BB6_9503 Depth=1
	s_or_b32 exec_lo, exec_lo, s14
	buffer_load_dword v0, off, s[0:3], s33 offset:196 ; 4-byte Folded Reload
	s_waitcnt vmcnt(0)
	v_and_b32_e32 v0, 16, v0
	v_cmp_ne_u32_e32 vcc_lo, 0, v0
	s_and_b32 s14, vcc_lo, s13
	s_and_saveexec_b32 s13, s14
	s_cbranch_execz .LBB6_12479
; %bb.12478:                            ;   in Loop: Header=BB6_9503 Depth=1
	s_waitcnt lgkmcnt(0)
	s_waitcnt_vscnt null, 0x0
	buffer_gl1_inv
	buffer_gl0_inv
.LBB6_12479:                            ;   in Loop: Header=BB6_9503 Depth=1
	s_or_b32 exec_lo, exec_lo, s13
	s_mov_b32 s13, exec_lo
	v_cmpx_ne_u32_e32 0, v0
	s_cbranch_execz .LBB6_12483
; %bb.12480:                            ;   in Loop: Header=BB6_9503 Depth=1
	s_and_saveexec_b32 s14, s12
	s_cbranch_execz .LBB6_12482
; %bb.12481:                            ;   in Loop: Header=BB6_9503 Depth=1
	s_clause 0x1
	buffer_load_dword v0, off, s[0:3], s33 offset:400
	buffer_load_dword v1, off, s[0:3], s33 offset:404
	v_mov_b32_e32 v2, 1
	s_waitcnt vmcnt(0) lgkmcnt(0)
	s_waitcnt_vscnt null, 0x0
	flat_store_dword v[0:1], v2
.LBB6_12482:                            ;   in Loop: Header=BB6_9503 Depth=1
	s_or_b32 exec_lo, exec_lo, s14
	s_clause 0x3
	buffer_load_dword v0, off, s[0:3], s33 offset:200
	buffer_load_dword v1, off, s[0:3], s33 offset:204
	;; [unrolled: 1-line block ×4, first 2 shown]
	s_waitcnt vmcnt(1)
	v_add_co_u32 v2, vcc_lo, v2, 1
	s_waitcnt vmcnt(0)
	v_add_co_ci_u32_e64 v3, null, 0, v3, vcc_lo
	buffer_store_dword v0, off, s[0:3], s33 offset:200 ; 4-byte Folded Spill
	buffer_store_dword v1, off, s[0:3], s33 offset:204 ; 4-byte Folded Spill
	;; [unrolled: 1-line block ×4, first 2 shown]
	s_clause 0x1
	buffer_load_dword v0, off, s[0:3], s33 offset:188
	buffer_load_dword v1, off, s[0:3], s33 offset:192
	s_waitcnt vmcnt(0) lgkmcnt(0)
	s_waitcnt_vscnt null, 0x0
	flat_store_dwordx2 v[0:1], v[2:3]
.LBB6_12483:                            ;   in Loop: Header=BB6_9503 Depth=1
	s_or_b32 exec_lo, exec_lo, s13
	v_mov_b32_e32 v0, v14
.LBB6_12484:                            ;   in Loop: Header=BB6_9503 Depth=1
	s_or_b32 exec_lo, exec_lo, s23
	s_mov_b32 s14, exec_lo
	s_clause 0x3
	buffer_load_dword v19, off, s[0:3], s33 offset:344
	buffer_load_dword v20, off, s[0:3], s33 offset:348
	;; [unrolled: 1-line block ×4, first 2 shown]
	s_and_b32 s13, s14, s22
	s_mov_b32 exec_lo, s13
	s_cbranch_execz .LBB6_9502
; %bb.12485:                            ;   in Loop: Header=BB6_9503 Depth=1
	buffer_load_dword v1, off, s[0:3], s33 offset:196 ; 4-byte Folded Reload
	v_sub_nc_u32_e32 v0, v18, v0
	s_mov_b32 s22, exec_lo
	v_min_i32_e32 v10, v14, v0
	s_waitcnt vmcnt(0)
	v_and_b32_e32 v1, 8, v1
	v_cmpx_ne_u32_e32 0, v1
	s_cbranch_execz .LBB6_12507
; %bb.12486:                            ;   in Loop: Header=BB6_9503 Depth=1
	s_clause 0x3
	buffer_load_dword v2, off, s[0:3], s33 offset:200
	buffer_load_dword v3, off, s[0:3], s33 offset:204
	;; [unrolled: 1-line block ×4, first 2 shown]
	v_add_co_u32 v0, vcc_lo, v38, 8
	v_add_co_ci_u32_e64 v1, null, 0, v39, vcc_lo
	s_mov_b32 s23, exec_lo
	s_waitcnt vmcnt(1)
	v_add_co_u32 v12, vcc_lo, v4, 1
	s_waitcnt vmcnt(0)
	v_add_co_ci_u32_e64 v13, null, 0, v5, vcc_lo
	v_cmpx_lt_u64_e64 v[0:1], v[12:13]
	s_cbranch_execz .LBB6_12498
; %bb.12487:                            ;   in Loop: Header=BB6_9503 Depth=1
	buffer_load_dword v0, off, s[0:3], s33 offset:196 ; 4-byte Folded Reload
	s_mov_b32 s24, 0
	s_mov_b32 s28, 0
                                        ; implicit-def: $sgpr25
                                        ; implicit-def: $sgpr26
                                        ; implicit-def: $sgpr27
	s_waitcnt vmcnt(0)
	v_and_b32_e32 v0, 64, v0
	v_cmp_eq_u32_e32 vcc_lo, 0, v0
	s_branch .LBB6_12491
.LBB6_12488:                            ;   in Loop: Header=BB6_12491 Depth=2
	s_waitcnt vmcnt(0) lgkmcnt(0)
	v_add_co_u32 v1, s13, v38, 8
	v_add_co_ci_u32_e64 v2, null, 0, v39, s13
	s_or_b32 s41, s41, exec_lo
	v_cmp_ge_u64_e64 s13, v[1:2], v[12:13]
	s_orn2_b32 s40, s13, exec_lo
.LBB6_12489:                            ;   in Loop: Header=BB6_12491 Depth=2
	s_or_b32 exec_lo, exec_lo, s43
	s_andn2_b32 s13, s27, exec_lo
	s_and_b32 s27, s41, exec_lo
	s_andn2_b32 s26, s26, exec_lo
	s_and_b32 s40, s40, exec_lo
	s_or_b32 s27, s13, s27
	s_or_b32 s26, s26, s40
.LBB6_12490:                            ;   in Loop: Header=BB6_12491 Depth=2
	s_or_b32 exec_lo, exec_lo, s29
	s_and_b32 s13, exec_lo, s26
	s_or_b32 s24, s13, s24
	s_andn2_b32 s13, s25, exec_lo
	s_and_b32 s25, s27, exec_lo
	s_or_b32 s25, s13, s25
	s_andn2_b32 exec_lo, exec_lo, s24
	s_cbranch_execz .LBB6_12495
.LBB6_12491:                            ;   Parent Loop BB6_9503 Depth=1
                                        ; =>  This Inner Loop Header: Depth=2
	s_sleep 1
	s_clause 0x1
	buffer_load_dword v0, off, s[0:3], s33 offset:188
	buffer_load_dword v1, off, s[0:3], s33 offset:192
	s_or_b32 s27, s27, exec_lo
	s_or_b32 s26, s26, exec_lo
	s_waitcnt vmcnt(0) lgkmcnt(0)
	flat_load_dwordx2 v[38:39], v[0:1] glc dlc
                                        ; implicit-def: $vgpr0
	s_and_saveexec_b32 s29, vcc_lo
	s_cbranch_execz .LBB6_12490
; %bb.12492:                            ;   in Loop: Header=BB6_12491 Depth=2
	s_cmpk_lt_i32 s28, 0x270f
	s_mov_b32 s40, -1
	s_cselect_b32 s42, -1, 0
	s_cmpk_gt_i32 s28, 0x270e
	s_cbranch_scc0 .LBB6_12494
; %bb.12493:                            ;   in Loop: Header=BB6_12491 Depth=2
	s_trap 2
	ds_read_b64 v[0:1], v0
	s_andn2_b32 s28, s42, exec_lo
	s_mov_b32 s41, 0
	s_waitcnt vmcnt(0) lgkmcnt(0)
	s_waitcnt_vscnt null, 0x0
	flat_load_dword v0, v[0:1] glc dlc
	s_waitcnt vmcnt(0) lgkmcnt(0)
	buffer_gl1_inv
	buffer_gl0_inv
	v_cmp_eq_u32_e64 s13, 0, v0
	s_and_b32 s13, s13, exec_lo
	s_or_b32 s42, s28, s13
	s_mov_b32 s28, 0
	s_and_saveexec_b32 s43, s42
	s_cbranch_execz .LBB6_12489
	s_branch .LBB6_12488
.LBB6_12494:                            ;   in Loop: Header=BB6_12491 Depth=2
	s_add_i32 s28, s28, 1
	s_mov_b32 s41, -1
                                        ; implicit-def: $vgpr0
	s_and_saveexec_b32 s43, s42
	s_cbranch_execz .LBB6_12489
	s_branch .LBB6_12488
.LBB6_12495:                            ;   in Loop: Header=BB6_9503 Depth=1
	s_or_b32 exec_lo, exec_lo, s24
	s_xor_b32 s13, s25, -1
	s_and_saveexec_b32 s24, s13
	s_xor_b32 s13, exec_lo, s24
	s_cbranch_execz .LBB6_12497
; %bb.12496:                            ;   in Loop: Header=BB6_9503 Depth=1
	buffer_load_dword v1, off, s[0:3], s33 offset:196 ; 4-byte Folded Reload
	s_waitcnt vmcnt(0)
	v_or_b32_e32 v1, 64, v1
	buffer_store_dword v1, off, s[0:3], s33 offset:196 ; 4-byte Folded Spill
	s_waitcnt lgkmcnt(0)
	s_waitcnt_vscnt null, 0x0
	ds_write_b32 v0, v0
	s_trap 2
.LBB6_12497:                            ;   in Loop: Header=BB6_9503 Depth=1
	s_or_b32 exec_lo, exec_lo, s13
.LBB6_12498:                            ;   in Loop: Header=BB6_9503 Depth=1
	s_or_b32 exec_lo, exec_lo, s23
	buffer_load_dword v0, off, s[0:3], s33 offset:196 ; 4-byte Folded Reload
	s_mov_b32 s13, -1
                                        ; implicit-def: $vgpr8_vgpr9
	s_waitcnt vmcnt(0)
	v_and_b32_e32 v0, 0x100, v0
	v_cmp_ne_u32_e32 vcc_lo, 0, v0
	s_clause 0x3
	buffer_load_dword v0, off, s[0:3], s33 offset:200
	buffer_load_dword v1, off, s[0:3], s33 offset:204
	;; [unrolled: 1-line block ×4, first 2 shown]
	;;#ASMSTART
	s_wakeup
	;;#ASMEND
	s_waitcnt vmcnt(1)
	v_and_b32_e32 v0, 7, v2
	s_and_saveexec_b32 s23, vcc_lo
	s_cbranch_execz .LBB6_12502
; %bb.12499:                            ;   in Loop: Header=BB6_9503 Depth=1
	s_clause 0x3
	buffer_load_dword v1, off, s[0:3], s33 offset:200
	buffer_load_dword v2, off, s[0:3], s33 offset:204
	;; [unrolled: 1-line block ×4, first 2 shown]
	v_ashrrev_i32_e32 v11, 31, v10
	s_mov_b32 s24, exec_lo
                                        ; implicit-def: $vgpr8_vgpr9
	s_waitcnt vmcnt(2)
	v_mad_u64_u32 v[18:19], null, v0, 24, v[1:2]
	flat_load_dword v1, v[18:19]
	flat_store_dwordx2 v[18:19], v[10:11] offset:8
	s_waitcnt vmcnt(0) lgkmcnt(1)
	v_cmp_ne_u32_e32 vcc_lo, 1, v1
	v_cmpx_eq_u32_e32 1, v1
	s_cbranch_execz .LBB6_12501
; %bb.12500:                            ;   in Loop: Header=BB6_9503 Depth=1
	flat_load_dword v8, v[18:19] offset:4 glc dlc
	s_waitcnt vmcnt(0) lgkmcnt(0)
	v_ashrrev_i32_e32 v9, 31, v8
.LBB6_12501:                            ;   in Loop: Header=BB6_9503 Depth=1
	s_or_b32 exec_lo, exec_lo, s24
	s_clause 0x3
	buffer_load_dword v19, off, s[0:3], s33 offset:344
	buffer_load_dword v20, off, s[0:3], s33 offset:348
	;; [unrolled: 1-line block ×4, first 2 shown]
	s_orn2_b32 s13, vcc_lo, exec_lo
.LBB6_12502:                            ;   in Loop: Header=BB6_9503 Depth=1
	s_or_b32 exec_lo, exec_lo, s23
	s_and_saveexec_b32 s23, s13
	s_cbranch_execz .LBB6_12504
; %bb.12503:                            ;   in Loop: Header=BB6_9503 Depth=1
	buffer_load_dword v1, off, s[0:3], s33 offset:396 ; 4-byte Folded Reload
	s_waitcnt vmcnt(0)
	v_mad_i64_i32 v[8:9], null, v0, v1, 0
.LBB6_12504:                            ;   in Loop: Header=BB6_9503 Depth=1
	s_or_b32 exec_lo, exec_lo, s23
	buffer_load_dword v0, off, s[0:3], s33 offset:196 ; 4-byte Folded Reload
	s_mov_b32 s13, exec_lo
	s_waitcnt vmcnt(0)
	v_and_b32_e32 v2, 0x2000, v0
	s_clause 0x1
	buffer_load_dword v0, off, s[0:3], s33 offset:368
	buffer_load_dword v1, off, s[0:3], s33 offset:372
	s_waitcnt vmcnt(1)
	v_add_co_u32 v0, vcc_lo, v0, v8
	s_waitcnt vmcnt(0)
	v_add_co_ci_u32_e64 v1, null, v1, v9, vcc_lo
	ds_write_b64 v0, v[0:1] offset:784
	v_cmpx_ne_u32_e32 0, v2
	s_cbranch_execz .LBB6_12506
; %bb.12505:                            ;   in Loop: Header=BB6_9503 Depth=1
	ds_read_b64 v[0:1], v0 offset:872
	s_waitcnt lgkmcnt(0)
	v_add_co_u32 v0, vcc_lo, v0, 1
	v_add_co_ci_u32_e64 v1, null, 0, v1, vcc_lo
	ds_write_b64 v0, v[0:1] offset:872
.LBB6_12506:                            ;   in Loop: Header=BB6_9503 Depth=1
	s_or_b32 exec_lo, exec_lo, s13
	s_clause 0x3
	buffer_load_dword v0, off, s[0:3], s33 offset:200
	buffer_load_dword v1, off, s[0:3], s33 offset:204
	;; [unrolled: 1-line block ×4, first 2 shown]
	s_waitcnt vmcnt(0)
	v_mov_b32_e32 v2, v12
	v_mov_b32_e32 v3, v13
	buffer_store_dword v0, off, s[0:3], s33 offset:200 ; 4-byte Folded Spill
	buffer_store_dword v1, off, s[0:3], s33 offset:204 ; 4-byte Folded Spill
	;; [unrolled: 1-line block ×4, first 2 shown]
.LBB6_12507:                            ;   in Loop: Header=BB6_9503 Depth=1
	s_or_b32 exec_lo, exec_lo, s22
	s_and_saveexec_b32 s13, s6
	s_cbranch_execz .LBB6_12526
; %bb.12508:                            ;   in Loop: Header=BB6_9503 Depth=1
	s_and_saveexec_b32 s22, s16
	s_xor_b32 s22, exec_lo, s22
	s_cbranch_execz .LBB6_12523
; %bb.12509:                            ;   in Loop: Header=BB6_9503 Depth=1
	s_and_saveexec_b32 s23, s7
	s_cbranch_execz .LBB6_12522
; %bb.12510:                            ;   in Loop: Header=BB6_9503 Depth=1
	s_mov_b32 s25, exec_lo
	s_mov_b32 s24, exec_lo
	v_mbcnt_lo_u32_b32 v0, s25, 0
	s_waitcnt lgkmcnt(0)
	s_waitcnt_vscnt null, 0x0
	buffer_gl1_inv
	buffer_gl0_inv
	v_cmpx_eq_u32_e32 0, v0
	s_cbranch_execz .LBB6_12512
; %bb.12511:                            ;   in Loop: Header=BB6_9503 Depth=1
	s_bcnt1_i32_b32 s25, s25
	v_mov_b32_e32 v14, s25
	ds_add_u64 v0, v[14:15]
	s_trap 2
.LBB6_12512:                            ;   in Loop: Header=BB6_9503 Depth=1
	s_or_b32 exec_lo, exec_lo, s24
	s_trap 2
	ds_read_b64 v[0:1], v0
	s_waitcnt lgkmcnt(0)
	buffer_gl0_inv
	s_clause 0x1
	buffer_load_dword v2, off, s[0:3], s33 offset:216
	buffer_load_dword v3, off, s[0:3], s33 offset:220
	s_mov_b32 s24, exec_lo
	s_waitcnt vmcnt(1)
	v_add_co_u32 v2, vcc_lo, v2, v59
	s_waitcnt vmcnt(0)
	v_add_co_ci_u32_e64 v3, null, 0, v3, vcc_lo
	buffer_store_dword v2, off, s[0:3], s33 offset:216 ; 4-byte Folded Spill
	buffer_store_dword v3, off, s[0:3], s33 offset:220 ; 4-byte Folded Spill
	v_cmpx_lt_u64_e64 v[0:1], v[2:3]
	s_cbranch_execz .LBB6_12521
; %bb.12513:                            ;   in Loop: Header=BB6_9503 Depth=1
	s_mov_b32 s25, 0
	s_mov_b32 s28, 0
                                        ; implicit-def: $sgpr26
                                        ; implicit-def: $sgpr27
	s_inst_prefetch 0x1
	s_branch .LBB6_12515
	.p2align	6
.LBB6_12514:                            ;   in Loop: Header=BB6_12515 Depth=2
	s_or_b32 exec_lo, exec_lo, s40
	s_and_b32 s29, exec_lo, s41
	s_or_b32 s25, s29, s25
	s_andn2_b32 s26, s26, exec_lo
	s_and_b32 s29, s27, exec_lo
	s_or_b32 s26, s26, s29
	s_andn2_b32 exec_lo, exec_lo, s25
	s_cbranch_execz .LBB6_12519
.LBB6_12515:                            ;   Parent Loop BB6_9503 Depth=1
                                        ; =>  This Inner Loop Header: Depth=2
	s_add_i32 s28, s28, 1
	s_cmpk_lg_i32 s28, 0x2710
	s_cselect_b32 s29, -1, 0
	s_and_b32 vcc_lo, exec_lo, s29
	s_cbranch_vccz .LBB6_12517
; %bb.12516:                            ;   in Loop: Header=BB6_12515 Depth=2
	s_mov_b32 s41, -1
	s_or_b32 s27, s27, exec_lo
	s_and_saveexec_b32 s40, s29
	s_cbranch_execz .LBB6_12514
	s_branch .LBB6_12518
.LBB6_12517:                            ;   in Loop: Header=BB6_12515 Depth=2
	s_trap 2
	ds_read_b64 v[0:1], v0
	s_andn2_b32 s29, s29, exec_lo
	s_mov_b32 s28, 0
	s_waitcnt lgkmcnt(0)
	s_waitcnt_vscnt null, 0x0
	flat_load_dword v0, v[0:1] glc dlc
	s_waitcnt vmcnt(0) lgkmcnt(0)
	buffer_gl1_inv
	buffer_gl0_inv
	v_cmp_eq_u32_e32 vcc_lo, 0, v0
	s_and_b32 s40, vcc_lo, exec_lo
	s_or_b32 s29, s29, s40
	s_mov_b32 s41, -1
	s_or_b32 s27, s27, exec_lo
	s_and_saveexec_b32 s40, s29
	s_cbranch_execz .LBB6_12514
.LBB6_12518:                            ;   in Loop: Header=BB6_12515 Depth=2
	s_sleep 1
	s_trap 2
	ds_read_b64 v[0:1], v0
	s_waitcnt lgkmcnt(0)
	buffer_gl0_inv
	s_clause 0x1
	buffer_load_dword v2, off, s[0:3], s33 offset:216
	buffer_load_dword v3, off, s[0:3], s33 offset:220
	s_andn2_b32 s27, s27, exec_lo
	s_waitcnt vmcnt(0)
	v_cmp_ge_u64_e32 vcc_lo, v[0:1], v[2:3]
	s_orn2_b32 s41, vcc_lo, exec_lo
	s_branch .LBB6_12514
.LBB6_12519:                            ;   in Loop: Header=BB6_9503 Depth=1
	s_inst_prefetch 0x2
	s_or_b32 exec_lo, exec_lo, s25
	s_and_saveexec_b32 s25, s26
	s_xor_b32 s25, exec_lo, s25
	s_cbranch_execz .LBB6_12521
; %bb.12520:                            ;   in Loop: Header=BB6_9503 Depth=1
	v_mov_b32_e32 v0, 1
	ds_write_b32 v0, v0
	s_trap 2
.LBB6_12521:                            ;   in Loop: Header=BB6_9503 Depth=1
	s_or_b32 exec_lo, exec_lo, s24
	;;#ASMSTART
	s_wakeup
	;;#ASMEND
.LBB6_12522:                            ;   in Loop: Header=BB6_9503 Depth=1
	s_or_b32 exec_lo, exec_lo, s23
.LBB6_12523:                            ;   in Loop: Header=BB6_9503 Depth=1
	s_andn2_saveexec_b32 s22, s22
	s_cbranch_execz .LBB6_12525
; %bb.12524:                            ;   in Loop: Header=BB6_9503 Depth=1
	s_waitcnt lgkmcnt(0)
	s_waitcnt_vscnt null, 0x0
	buffer_gl1_inv
	buffer_gl0_inv
	s_barrier
.LBB6_12525:                            ;   in Loop: Header=BB6_9503 Depth=1
	s_or_b32 exec_lo, exec_lo, s22
.LBB6_12526:                            ;   in Loop: Header=BB6_9503 Depth=1
	s_or_b32 exec_lo, exec_lo, s13
	s_trap 2
	ds_read_b32 v0, v0
	v_cmp_lt_i32_e32 vcc_lo, 0, v10
	s_waitcnt lgkmcnt(0)
	v_readfirstlane_b32 s13, v0
	buffer_load_dword v0, off, s[0:3], s33 offset:196 ; 4-byte Folded Reload
	s_cmp_eq_u32 s13, 0
	s_cselect_b32 s22, -1, 0
	s_and_b32 s22, vcc_lo, s22
	s_waitcnt vmcnt(0)
	v_and_b32_e32 v0, 16, v0
	v_cmp_ne_u32_e64 s13, 0, v0
	s_and_b32 s22, s13, s22
	s_and_saveexec_b32 s13, s22
	s_cbranch_execz .LBB6_12528
; %bb.12527:                            ;   in Loop: Header=BB6_9503 Depth=1
	s_waitcnt_vscnt null, 0x0
	buffer_gl1_inv
	buffer_gl0_inv
.LBB6_12528:                            ;   in Loop: Header=BB6_9503 Depth=1
	s_or_b32 exec_lo, exec_lo, s13
	s_mov_b32 s13, exec_lo
	v_cmpx_ne_u32_e32 0, v0
	s_cbranch_execz .LBB6_9501
; %bb.12529:                            ;   in Loop: Header=BB6_9503 Depth=1
	s_and_saveexec_b32 s22, s12
	s_cbranch_execz .LBB6_9500
; %bb.12530:                            ;   in Loop: Header=BB6_9503 Depth=1
	s_clause 0x1
	buffer_load_dword v0, off, s[0:3], s33 offset:400
	buffer_load_dword v1, off, s[0:3], s33 offset:404
	v_mov_b32_e32 v2, 1
	s_waitcnt vmcnt(0)
	s_waitcnt_vscnt null, 0x0
	flat_store_dword v[0:1], v2
	s_branch .LBB6_9500
.LBB6_12531:
	s_or_b32 exec_lo, exec_lo, s19
.LBB6_12532:
	s_or_b32 exec_lo, exec_lo, s18
.LBB6_12533:
	s_or_b32 exec_lo, exec_lo, s17
	buffer_load_dword v1, off, s[0:3], s33 offset:196 ; 4-byte Folded Reload
	s_mov_b32 s5, exec_lo
	s_waitcnt vmcnt(0)
	v_and_b32_e32 v0, 0x800, v1
	v_cmpx_eq_u32_e32 0, v0
	s_cbranch_execz .LBB6_12566
; %bb.12534:
	v_and_b32_e32 v0, 48, v1
	s_mov_b32 s4, exec_lo
	v_cmpx_ne_u32_e32 0, v0
	s_cbranch_execz .LBB6_12536
; %bb.12535:
	s_clause 0x5
	buffer_load_dword v0, off, s[0:3], s33 offset:200
	buffer_load_dword v1, off, s[0:3], s33 offset:204
	;; [unrolled: 1-line block ×6, first 2 shown]
	s_waitcnt vmcnt(0)
	flat_store_dwordx2 v[0:1], v[2:3] offset:104
.LBB6_12536:
	s_or_b32 exec_lo, exec_lo, s4
	buffer_load_dword v3, off, s[0:3], s33 offset:196 ; 4-byte Folded Reload
	s_mov_b32 s6, exec_lo
	s_waitcnt vmcnt(0)
	v_and_b32_e32 v0, 0x88, v3
	v_cmpx_eq_u32_e32 0x88, v0
	s_cbranch_execz .LBB6_12546
; %bb.12537:
	s_clause 0x3
	buffer_load_dword v4, off, s[0:3], s33 offset:200
	buffer_load_dword v5, off, s[0:3], s33 offset:204
	;; [unrolled: 1-line block ×4, first 2 shown]
	v_and_b32_e32 v2, 64, v3
	s_mov_b32 s7, 0
	v_cmp_eq_u32_e64 s4, 0, v2
	s_waitcnt vmcnt(1)
	v_add_nc_u32_e32 v0, -1, v6
	v_and_b32_e32 v0, 7, v0
	v_mad_u64_u32 v[4:5], null, v0, 24, v[4:5]
	flat_load_dwordx2 v[0:1], v[4:5] offset:8 glc dlc
	s_waitcnt vmcnt(0) lgkmcnt(0)
	v_cmp_ne_u64_e32 vcc_lo, -1, v[0:1]
	s_and_b32 s4, vcc_lo, s4
	s_and_b32 exec_lo, exec_lo, s4
	s_cbranch_execz .LBB6_12546
; %bb.12538:
	s_mov_b32 s11, 0
                                        ; implicit-def: $sgpr4
                                        ; implicit-def: $sgpr10
	s_inst_prefetch 0x1
	s_branch .LBB6_12541
	.p2align	6
.LBB6_12539:                            ;   in Loop: Header=BB6_12541 Depth=1
	flat_load_dwordx2 v[1:2], v[4:5] offset:8 glc dlc
	s_waitcnt vmcnt(0)
	s_andn2_b32 s10, s10, exec_lo
	s_waitcnt lgkmcnt(0)
	v_cmp_eq_u64_e32 vcc_lo, -1, v[1:2]
	s_orn2_b32 s13, vcc_lo, exec_lo
.LBB6_12540:                            ;   in Loop: Header=BB6_12541 Depth=1
	s_or_b32 exec_lo, exec_lo, s14
	s_and_b32 s12, exec_lo, s13
	s_or_b32 s7, s12, s7
	s_andn2_b32 s4, s4, exec_lo
	s_and_b32 s12, s10, exec_lo
	s_or_b32 s4, s4, s12
	s_andn2_b32 exec_lo, exec_lo, s7
	s_cbranch_execz .LBB6_12544
.LBB6_12541:                            ; =>This Inner Loop Header: Depth=1
	s_cmpk_lt_i32 s11, 0x270f
	s_cselect_b32 s12, -1, 0
	s_and_b32 vcc_lo, exec_lo, s12
	s_cbranch_vccnz .LBB6_12543
; %bb.12542:                            ;   in Loop: Header=BB6_12541 Depth=1
	s_trap 2
	ds_read_b64 v[0:1], v0
	s_andn2_b32 s12, s12, exec_lo
	s_mov_b32 s11, 0
	s_waitcnt lgkmcnt(0)
	s_waitcnt_vscnt null, 0x0
	flat_load_dword v0, v[0:1] glc dlc
	s_waitcnt vmcnt(0) lgkmcnt(0)
	buffer_gl1_inv
	buffer_gl0_inv
	v_cmp_eq_u32_e32 vcc_lo, 0, v0
	s_and_b32 s13, vcc_lo, exec_lo
	s_or_b32 s12, s12, s13
	s_mov_b32 s13, -1
	s_or_b32 s10, s10, exec_lo
	s_and_saveexec_b32 s14, s12
	s_cbranch_execz .LBB6_12540
	s_branch .LBB6_12539
	.p2align	6
.LBB6_12543:                            ;   in Loop: Header=BB6_12541 Depth=1
	s_add_i32 s11, s11, 1
                                        ; implicit-def: $vgpr0
	s_mov_b32 s13, -1
	s_or_b32 s10, s10, exec_lo
	s_and_saveexec_b32 s14, s12
	s_cbranch_execz .LBB6_12540
	s_branch .LBB6_12539
.LBB6_12544:
	s_inst_prefetch 0x2
	s_or_b32 exec_lo, exec_lo, s7
	s_mov_b32 s7, exec_lo
	buffer_load_dword v3, off, s[0:3], s33 offset:196 ; 4-byte Folded Reload
	s_and_b32 s4, s7, s4
	s_xor_b32 s7, s4, s7
	s_mov_b32 exec_lo, s4
	s_cbranch_execz .LBB6_12546
; %bb.12545:
	s_waitcnt vmcnt(0)
	s_waitcnt_vscnt null, 0x0
	ds_write_b32 v0, v0
	s_trap 2
.LBB6_12546:
	s_or_b32 exec_lo, exec_lo, s6
	s_waitcnt vmcnt(0)
	v_and_b32_e32 v0, 0x2000, v3
	s_mov_b32 s4, exec_lo
	v_cmpx_ne_u32_e32 0, v0
	s_cbranch_execz .LBB6_12548
; %bb.12547:
	s_trap 2
	ds_read_b64 v[0:1], v0
	s_clause 0x1
	buffer_load_dword v2, off, s[0:3], s33 offset:440
	buffer_load_dword v3, off, s[0:3], s33 offset:444
	s_waitcnt vmcnt(0) lgkmcnt(0)
	flat_store_dwordx2 v[2:3], v[0:1] offset:16
.LBB6_12548:
	s_or_b32 exec_lo, exec_lo, s4
	buffer_load_dword v0, off, s[0:3], s33 offset:384 ; 4-byte Folded Reload
	s_waitcnt vmcnt(0)
	v_cmp_ne_u32_e32 vcc_lo, 32, v0
	s_and_b32 exec_lo, exec_lo, vcc_lo
	s_cbranch_execz .LBB6_12566
; %bb.12549:
	s_clause 0x1
	buffer_load_dword v0, off, s[0:3], s33 offset:384
	buffer_load_dword v1, off, s[0:3], s33 offset:428
	s_waitcnt vmcnt(0)
	v_cmp_ne_u32_sdwa s4, v0, v1 src0_sel:DWORD src1_sel:WORD_0
	s_and_saveexec_b32 s6, s4
	s_xor_b32 s4, exec_lo, s6
	s_cbranch_execz .LBB6_12564
; %bb.12550:
	buffer_load_dword v0, off, s[0:3], s33 offset:424 ; 4-byte Folded Reload
	s_mov_b32 s6, exec_lo
	s_waitcnt vmcnt(0)
	v_and_b32_e32 v0, 31, v0
	v_cmpx_eq_u32_e32 0, v0
	s_cbranch_execz .LBB6_12563
; %bb.12551:
	s_mov_b32 s10, exec_lo
	s_mov_b32 s7, exec_lo
	v_mbcnt_lo_u32_b32 v0, s10, 0
	s_waitcnt lgkmcnt(0)
	s_waitcnt_vscnt null, 0x0
	buffer_gl1_inv
	buffer_gl0_inv
	v_cmpx_eq_u32_e32 0, v0
	s_cbranch_execz .LBB6_12553
; %bb.12552:
	s_bcnt1_i32_b32 s10, s10
	v_mov_b32_e32 v1, 0
	v_mov_b32_e32 v0, s10
	ds_add_u64 v0, v[0:1]
	s_trap 2
.LBB6_12553:
	s_or_b32 exec_lo, exec_lo, s7
	s_trap 2
	ds_read_b64 v[2:3], v0
	s_waitcnt lgkmcnt(0)
	buffer_gl0_inv
	s_clause 0x2
	buffer_load_dword v0, off, s[0:3], s33 offset:384
	buffer_load_dword v4, off, s[0:3], s33 offset:216
	;; [unrolled: 1-line block ×3, first 2 shown]
	s_mov_b32 s7, exec_lo
	s_waitcnt vmcnt(2)
	v_lshrrev_b32_e32 v0, 5, v0
	s_waitcnt vmcnt(1)
	v_add_co_u32 v0, vcc_lo, v4, v0
	s_waitcnt vmcnt(0)
	v_add_co_ci_u32_e64 v1, null, 0, v5, vcc_lo
	v_cmpx_lt_u64_e64 v[2:3], v[0:1]
	s_cbranch_execz .LBB6_12562
; %bb.12554:
	s_mov_b32 s10, 0
	s_mov_b32 s13, 0
                                        ; implicit-def: $sgpr11
                                        ; implicit-def: $sgpr12
	s_inst_prefetch 0x1
	s_branch .LBB6_12556
	.p2align	6
.LBB6_12555:                            ;   in Loop: Header=BB6_12556 Depth=1
	s_or_b32 exec_lo, exec_lo, s16
	s_and_b32 s14, exec_lo, s17
	s_or_b32 s10, s14, s10
	s_andn2_b32 s11, s11, exec_lo
	s_and_b32 s14, s12, exec_lo
	s_or_b32 s11, s11, s14
	s_andn2_b32 exec_lo, exec_lo, s10
	s_cbranch_execz .LBB6_12560
.LBB6_12556:                            ; =>This Inner Loop Header: Depth=1
	s_add_i32 s13, s13, 1
	s_cmpk_lg_i32 s13, 0x2710
	s_cselect_b32 s14, -1, 0
	s_and_b32 vcc_lo, exec_lo, s14
	s_cbranch_vccz .LBB6_12558
; %bb.12557:                            ;   in Loop: Header=BB6_12556 Depth=1
	s_mov_b32 s17, -1
	s_or_b32 s12, s12, exec_lo
	s_and_saveexec_b32 s16, s14
	s_cbranch_execz .LBB6_12555
	s_branch .LBB6_12559
.LBB6_12558:                            ;   in Loop: Header=BB6_12556 Depth=1
	s_trap 2
	ds_read_b64 v[2:3], v0
	s_andn2_b32 s14, s14, exec_lo
	s_mov_b32 s13, 0
	s_waitcnt lgkmcnt(0)
	flat_load_dword v2, v[2:3] glc dlc
	s_waitcnt vmcnt(0) lgkmcnt(0)
	buffer_gl1_inv
	buffer_gl0_inv
	v_cmp_eq_u32_e32 vcc_lo, 0, v2
	s_and_b32 s16, vcc_lo, exec_lo
	s_or_b32 s14, s14, s16
	s_mov_b32 s17, -1
	s_or_b32 s12, s12, exec_lo
	s_and_saveexec_b32 s16, s14
	s_cbranch_execz .LBB6_12555
.LBB6_12559:                            ;   in Loop: Header=BB6_12556 Depth=1
	s_sleep 1
	s_trap 2
	ds_read_b64 v[2:3], v0
	s_waitcnt lgkmcnt(0)
	buffer_gl0_inv
	s_andn2_b32 s12, s12, exec_lo
	v_cmp_ge_u64_e32 vcc_lo, v[2:3], v[0:1]
	s_orn2_b32 s17, vcc_lo, exec_lo
	s_branch .LBB6_12555
.LBB6_12560:
	s_inst_prefetch 0x2
	s_or_b32 exec_lo, exec_lo, s10
	s_and_saveexec_b32 s10, s11
	s_xor_b32 s10, exec_lo, s10
	s_cbranch_execz .LBB6_12562
; %bb.12561:
	v_mov_b32_e32 v0, 1
	ds_write_b32 v0, v0
	s_trap 2
.LBB6_12562:
	s_or_b32 exec_lo, exec_lo, s7
	;;#ASMSTART
	s_wakeup
	;;#ASMEND
.LBB6_12563:
	s_or_b32 exec_lo, exec_lo, s6
.LBB6_12564:
	s_andn2_saveexec_b32 s4, s4
	s_cbranch_execz .LBB6_12566
; %bb.12565:
	s_waitcnt lgkmcnt(0)
	s_waitcnt_vscnt null, 0x0
	buffer_gl1_inv
	buffer_gl0_inv
	s_barrier
.LBB6_12566:
	s_or_b32 exec_lo, exec_lo, s5
.LBB6_12567:
	s_andn2_saveexec_b32 s25, s15
	s_cbranch_execz .LBB6_12569
; %bb.12568:
	s_getpc_b64 s[4:5]
	s_add_u32 s4, s4, __PRETTY_FUNCTION__._ZN10PrimitivesI11rccl_float813FuncPreMulSumIS0_E12FanSymmetricILi1EELi0E11ProtoSimpleILi1ELi1ELi0ELi4ELi0ELi0EELi0ELb0ELi0ELi0ELi0EEC2EiiPKiS9_PKvPvmhhhP15ncclDevWorkCollP14ncclDevWorkP2pii@rel32@lo+4
	s_addc_u32 s5, s5, __PRETTY_FUNCTION__._ZN10PrimitivesI11rccl_float813FuncPreMulSumIS0_E12FanSymmetricILi1EELi0E11ProtoSimpleILi1ELi1ELi0ELi4ELi0ELi0EELi0ELb0ELi0ELi0ELi0EEC2EiiPKiS9_PKvPvmhhhP15ncclDevWorkCollP14ncclDevWorkP2pii@rel32@hi+12
	v_mov_b32_e32 v0, s4
	v_mov_b32_e32 v1, s5
	s_getpc_b64 s[6:7]
	s_add_u32 s6, s6, __assert_fail@rel32@lo+4
	s_addc_u32 s7, s7, __assert_fail@rel32@hi+12
	s_swappc_b64 s[30:31], s[6:7]
	; divergent unreachable
.LBB6_12569:
	s_or_b32 exec_lo, exec_lo, s25
	s_clause 0x2e
	buffer_load_dword v126, off, s[0:3], s33
	buffer_load_dword v125, off, s[0:3], s33 offset:4
	buffer_load_dword v124, off, s[0:3], s33 offset:8
	;; [unrolled: 1-line block ×46, first 2 shown]
	v_readlane_b32 s30, v127, 0
	v_readlane_b32 s31, v127, 1
	s_mov_b32 s32, s33
	s_or_saveexec_b32 s4, -1
	buffer_load_dword v127, off, s[0:3], s33 offset:452 ; 4-byte Folded Reload
	s_mov_b32 exec_lo, s4
	s_mov_b32 s33, s47
	s_waitcnt vmcnt(0) lgkmcnt(0)
	s_setpc_b64 s[30:31]
.Lfunc_end6:
	.size	_ZN12_GLOBAL__N_17runRingI11rccl_float813FuncPreMulSumIS1_E11ProtoSimpleILi1ELi1ELi0ELi4ELi0ELi0EELi0ELi4ELi0EEEviiP15ncclDevWorkColl, .Lfunc_end6-_ZN12_GLOBAL__N_17runRingI11rccl_float813FuncPreMulSumIS1_E11ProtoSimpleILi1ELi1ELi0ELi4ELi0ELi0EELi0ELi4ELi0EEEviiP15ncclDevWorkColl
                                        ; -- End function
	.set .L_ZN12_GLOBAL__N_17runRingI11rccl_float813FuncPreMulSumIS1_E11ProtoSimpleILi1ELi1ELi0ELi4ELi0ELi0EELi0ELi4ELi0EEEviiP15ncclDevWorkColl.num_vgpr, max(128, .L__assert_fail.num_vgpr)
	.set .L_ZN12_GLOBAL__N_17runRingI11rccl_float813FuncPreMulSumIS1_E11ProtoSimpleILi1ELi1ELi0ELi4ELi0ELi0EELi0ELi4ELi0EEEviiP15ncclDevWorkColl.num_agpr, max(0, .L__assert_fail.num_agpr)
	.set .L_ZN12_GLOBAL__N_17runRingI11rccl_float813FuncPreMulSumIS1_E11ProtoSimpleILi1ELi1ELi0ELi4ELi0ELi0EELi0ELi4ELi0EEEviiP15ncclDevWorkColl.numbered_sgpr, max(48, .L__assert_fail.numbered_sgpr)
	.set .L_ZN12_GLOBAL__N_17runRingI11rccl_float813FuncPreMulSumIS1_E11ProtoSimpleILi1ELi1ELi0ELi4ELi0ELi0EELi0ELi4ELi0EEEviiP15ncclDevWorkColl.num_named_barrier, max(0, .L__assert_fail.num_named_barrier)
	.set .L_ZN12_GLOBAL__N_17runRingI11rccl_float813FuncPreMulSumIS1_E11ProtoSimpleILi1ELi1ELi0ELi4ELi0ELi0EELi0ELi4ELi0EEEviiP15ncclDevWorkColl.private_seg_size, 464+max(.L__assert_fail.private_seg_size)
	.set .L_ZN12_GLOBAL__N_17runRingI11rccl_float813FuncPreMulSumIS1_E11ProtoSimpleILi1ELi1ELi0ELi4ELi0ELi0EELi0ELi4ELi0EEEviiP15ncclDevWorkColl.uses_vcc, or(1, .L__assert_fail.uses_vcc)
	.set .L_ZN12_GLOBAL__N_17runRingI11rccl_float813FuncPreMulSumIS1_E11ProtoSimpleILi1ELi1ELi0ELi4ELi0ELi0EELi0ELi4ELi0EEEviiP15ncclDevWorkColl.uses_flat_scratch, or(1, .L__assert_fail.uses_flat_scratch)
	.set .L_ZN12_GLOBAL__N_17runRingI11rccl_float813FuncPreMulSumIS1_E11ProtoSimpleILi1ELi1ELi0ELi4ELi0ELi0EELi0ELi4ELi0EEEviiP15ncclDevWorkColl.has_dyn_sized_stack, or(0, .L__assert_fail.has_dyn_sized_stack)
	.set .L_ZN12_GLOBAL__N_17runRingI11rccl_float813FuncPreMulSumIS1_E11ProtoSimpleILi1ELi1ELi0ELi4ELi0ELi0EELi0ELi4ELi0EEEviiP15ncclDevWorkColl.has_recursion, or(1, .L__assert_fail.has_recursion)
	.set .L_ZN12_GLOBAL__N_17runRingI11rccl_float813FuncPreMulSumIS1_E11ProtoSimpleILi1ELi1ELi0ELi4ELi0ELi0EELi0ELi4ELi0EEEviiP15ncclDevWorkColl.has_indirect_call, or(0, .L__assert_fail.has_indirect_call)
	.section	.AMDGPU.csdata,"",@progbits
; Function info:
; codeLenInByte = 464728
; TotalNumSgprs: 50
; NumVgprs: 128
; ScratchSize: 528
; MemoryBound: 1
	.text
	.p2align	2                               ; -- Begin function _Z53ncclDevFunc_Reduce_RING_SIMPLE_PreMulSum_f8e4m3_0_0_4v
	.type	_Z53ncclDevFunc_Reduce_RING_SIMPLE_PreMulSum_f8e4m3_0_0_4v,@function
_Z53ncclDevFunc_Reduce_RING_SIMPLE_PreMulSum_f8e4m3_0_0_4v: ; @_Z53ncclDevFunc_Reduce_RING_SIMPLE_PreMulSum_f8e4m3_0_0_4v
; %bb.0:
	s_waitcnt vmcnt(0) expcnt(0) lgkmcnt(0)
	s_mov_b32 s61, s33
	s_mov_b32 s33, s32
	s_or_saveexec_b32 s4, -1
	buffer_store_dword v43, off, s[0:3], s33 offset:16 ; 4-byte Folded Spill
	s_mov_b32 exec_lo, s4
	s_addk_i32 s32, 0x400
	buffer_store_dword v40, off, s[0:3], s33 offset:12 ; 4-byte Folded Spill
	buffer_store_dword v41, off, s[0:3], s33 offset:8 ; 4-byte Folded Spill
	;; [unrolled: 1-line block ×3, first 2 shown]
	buffer_store_dword v127, off, s[0:3], s33 ; 4-byte Folded Spill
	v_writelane_b32 v43, s34, 0
	v_writelane_b32 v43, s35, 1
	;; [unrolled: 1-line block ×4, first 2 shown]
	s_trap 2
	ds_read_b32 v0, v0
	v_mov_b32_e32 v40, v31
	s_mov_b32 s58, s12
	s_mov_b64 s[56:57], s[8:9]
	s_mov_b32 s4, exec_lo
	v_and_b32_e32 v41, 0x3ff, v40
	s_waitcnt lgkmcnt(0)
	v_cmpx_lt_i32_e64 v41, v0
	s_cbranch_execz .LBB7_5
; %bb.1:
	s_load_dword s5, s[56:57], 0x0
	v_mov_b32_e32 v1, 0
	v_mov_b32_e32 v3, v41
                                        ; implicit-def: $vgpr4
	s_waitcnt lgkmcnt(0)
	s_cmp_lt_u32 s58, s5
	s_cselect_b32 s5, 12, 18
	s_add_u32 s6, s56, s5
	s_addc_u32 s7, s57, 0
	s_mov_b32 s5, 0
	global_load_ushort v1, v1, s[6:7]
	s_trap 2
	ds_read_b32 v2, v0
	s_mov_b32 s6, 0
	s_waitcnt vmcnt(0) lgkmcnt(0)
	v_mul_lo_u32 v2, v2, v1
	s_branch .LBB7_3
	.p2align	6
.LBB7_2:                                ;   in Loop: Header=BB7_3 Depth=1
	s_or_b32 exec_lo, exec_lo, s7
	v_add_nc_u32_e32 v3, v3, v1
	v_add_nc_u32_e32 v4, v4, v2
	v_cmp_ge_i32_e32 vcc_lo, v3, v0
	s_or_b32 s6, vcc_lo, s6
	s_andn2_b32 exec_lo, exec_lo, s6
	s_cbranch_execz .LBB7_5
.LBB7_3:                                ; =>This Inner Loop Header: Depth=1
	ds_read_b32 v5, v4
	s_mov_b32 s7, exec_lo
	s_waitcnt lgkmcnt(0)
	v_and_b32_e32 v5, 0x1000000, v5
	v_cmpx_ne_u32_e32 0, v5
	s_cbranch_execz .LBB7_2
; %bb.4:                                ;   in Loop: Header=BB7_3 Depth=1
	ds_read_b64 v[5:6], v4 offset:104
	s_waitcnt lgkmcnt(0)
	flat_load_ubyte v5, v[5:6]
	v_mov_b32_e32 v6, s5
	s_waitcnt vmcnt(0) lgkmcnt(0)
	v_and_b32_e32 v5, 0xffff, v5
	ds_write_b64 v4, v[5:6] offset:104
	s_branch .LBB7_2
.LBB7_5:
	s_or_b32 exec_lo, exec_lo, s4
	s_waitcnt lgkmcnt(0)
	s_waitcnt_vscnt null, 0x0
	s_barrier
	buffer_gl0_inv
	s_trap 2
	ds_read_b32 v0, v0
	s_waitcnt lgkmcnt(0)
	v_cmp_gt_i32_e32 vcc_lo, 1, v0
	s_cbranch_vccnz .LBB7_13
; %bb.6:
	v_mov_b32_e32 v42, 5
	s_mov_b32 s59, 0
	s_inst_prefetch 0x1
	s_branch .LBB7_8
	.p2align	6
.LBB7_7:                                ;   in Loop: Header=BB7_8 Depth=1
	s_or_b32 exec_lo, exec_lo, s60
	s_trap 2
	ds_read_b32 v0, v0
	s_add_i32 s59, s59, 1
	s_waitcnt lgkmcnt(0)
	v_cmp_lt_i32_e32 vcc_lo, s59, v0
	s_cbranch_vccz .LBB7_13
.LBB7_8:                                ; =>This Inner Loop Header: Depth=1
	s_trap 2
	ds_read_b32 v0, v0
	s_cmp_eq_u32 s59, 0
	s_cbranch_scc1 .LBB7_11
; %bb.9:                                ;   in Loop: Header=BB7_8 Depth=1
	s_trap 2
	s_waitcnt lgkmcnt(0)
	ds_read_b32 v1, v0
	s_waitcnt lgkmcnt(0)
	v_xor_b32_e32 v1, v1, v0
	v_and_b32_e32 v1, 0xff0000, v1
	v_cmp_eq_u32_e32 vcc_lo, 0, v1
	s_cbranch_vccnz .LBB7_11
; %bb.10:                               ;   in Loop: Header=BB7_8 Depth=1
	s_barrier
	buffer_gl0_inv
	ds_read_b32 v0, v0
.LBB7_11:                               ;   in Loop: Header=BB7_8 Depth=1
	s_waitcnt lgkmcnt(0)
	v_lshlrev_b32_sdwa v1, v42, v0 dst_sel:DWORD dst_unused:UNUSED_PAD src0_sel:DWORD src1_sel:BYTE_2
	s_mov_b32 s60, exec_lo
	v_cmpx_lt_u32_e64 v41, v1
	s_cbranch_execz .LBB7_7
; %bb.12:                               ;   in Loop: Header=BB7_8 Depth=1
	s_mov_b64 s[4:5], src_shared_base
	v_mov_b32_e32 v31, v40
	v_mov_b32_e32 v0, v41
	;; [unrolled: 1-line block ×3, first 2 shown]
	s_getpc_b64 s[6:7]
	s_add_u32 s6, s6, _ZN12_GLOBAL__N_17runRingI11rccl_float813FuncPreMulSumIS1_E11ProtoSimpleILi1ELi1ELi0ELi4ELi0ELi0EELi0ELi4ELi0EEEviiP15ncclDevWorkColl@rel32@lo+4
	s_addc_u32 s7, s7, _ZN12_GLOBAL__N_17runRingI11rccl_float813FuncPreMulSumIS1_E11ProtoSimpleILi1ELi1ELi0ELi4ELi0ELi0EELi0ELi4ELi0EEEviiP15ncclDevWorkColl@rel32@hi+12
	s_mov_b64 s[8:9], s[56:57]
	s_mov_b32 s12, s58
	s_swappc_b64 s[30:31], s[6:7]
	s_branch .LBB7_7
.LBB7_13:
	s_inst_prefetch 0x2
	s_clause 0x3
	buffer_load_dword v127, off, s[0:3], s33
	buffer_load_dword v42, off, s[0:3], s33 offset:4
	buffer_load_dword v41, off, s[0:3], s33 offset:8
	;; [unrolled: 1-line block ×3, first 2 shown]
	v_readlane_b32 s30, v43, 2
	v_readlane_b32 s31, v43, 3
	;; [unrolled: 1-line block ×4, first 2 shown]
	s_mov_b32 s32, s33
	s_or_saveexec_b32 s4, -1
	buffer_load_dword v43, off, s[0:3], s33 offset:16 ; 4-byte Folded Reload
	s_mov_b32 exec_lo, s4
	s_mov_b32 s33, s61
	s_waitcnt vmcnt(0)
	s_setpc_b64 s[30:31]
.Lfunc_end7:
	.size	_Z53ncclDevFunc_Reduce_RING_SIMPLE_PreMulSum_f8e4m3_0_0_4v, .Lfunc_end7-_Z53ncclDevFunc_Reduce_RING_SIMPLE_PreMulSum_f8e4m3_0_0_4v
                                        ; -- End function
	.set .L_Z53ncclDevFunc_Reduce_RING_SIMPLE_PreMulSum_f8e4m3_0_0_4v.num_vgpr, max(128, .L_ZN12_GLOBAL__N_17runRingI11rccl_float813FuncPreMulSumIS1_E11ProtoSimpleILi1ELi1ELi0ELi4ELi0ELi0EELi0ELi4ELi0EEEviiP15ncclDevWorkColl.num_vgpr)
	.set .L_Z53ncclDevFunc_Reduce_RING_SIMPLE_PreMulSum_f8e4m3_0_0_4v.num_agpr, max(0, .L_ZN12_GLOBAL__N_17runRingI11rccl_float813FuncPreMulSumIS1_E11ProtoSimpleILi1ELi1ELi0ELi4ELi0ELi0EELi0ELi4ELi0EEEviiP15ncclDevWorkColl.num_agpr)
	.set .L_Z53ncclDevFunc_Reduce_RING_SIMPLE_PreMulSum_f8e4m3_0_0_4v.numbered_sgpr, max(62, .L_ZN12_GLOBAL__N_17runRingI11rccl_float813FuncPreMulSumIS1_E11ProtoSimpleILi1ELi1ELi0ELi4ELi0ELi0EELi0ELi4ELi0EEEviiP15ncclDevWorkColl.numbered_sgpr)
	.set .L_Z53ncclDevFunc_Reduce_RING_SIMPLE_PreMulSum_f8e4m3_0_0_4v.num_named_barrier, max(0, .L_ZN12_GLOBAL__N_17runRingI11rccl_float813FuncPreMulSumIS1_E11ProtoSimpleILi1ELi1ELi0ELi4ELi0ELi0EELi0ELi4ELi0EEEviiP15ncclDevWorkColl.num_named_barrier)
	.set .L_Z53ncclDevFunc_Reduce_RING_SIMPLE_PreMulSum_f8e4m3_0_0_4v.private_seg_size, 32+max(.L_ZN12_GLOBAL__N_17runRingI11rccl_float813FuncPreMulSumIS1_E11ProtoSimpleILi1ELi1ELi0ELi4ELi0ELi0EELi0ELi4ELi0EEEviiP15ncclDevWorkColl.private_seg_size)
	.set .L_Z53ncclDevFunc_Reduce_RING_SIMPLE_PreMulSum_f8e4m3_0_0_4v.uses_vcc, or(1, .L_ZN12_GLOBAL__N_17runRingI11rccl_float813FuncPreMulSumIS1_E11ProtoSimpleILi1ELi1ELi0ELi4ELi0ELi0EELi0ELi4ELi0EEEviiP15ncclDevWorkColl.uses_vcc)
	.set .L_Z53ncclDevFunc_Reduce_RING_SIMPLE_PreMulSum_f8e4m3_0_0_4v.uses_flat_scratch, or(0, .L_ZN12_GLOBAL__N_17runRingI11rccl_float813FuncPreMulSumIS1_E11ProtoSimpleILi1ELi1ELi0ELi4ELi0ELi0EELi0ELi4ELi0EEEviiP15ncclDevWorkColl.uses_flat_scratch)
	.set .L_Z53ncclDevFunc_Reduce_RING_SIMPLE_PreMulSum_f8e4m3_0_0_4v.has_dyn_sized_stack, or(0, .L_ZN12_GLOBAL__N_17runRingI11rccl_float813FuncPreMulSumIS1_E11ProtoSimpleILi1ELi1ELi0ELi4ELi0ELi0EELi0ELi4ELi0EEEviiP15ncclDevWorkColl.has_dyn_sized_stack)
	.set .L_Z53ncclDevFunc_Reduce_RING_SIMPLE_PreMulSum_f8e4m3_0_0_4v.has_recursion, or(1, .L_ZN12_GLOBAL__N_17runRingI11rccl_float813FuncPreMulSumIS1_E11ProtoSimpleILi1ELi1ELi0ELi4ELi0ELi0EELi0ELi4ELi0EEEviiP15ncclDevWorkColl.has_recursion)
	.set .L_Z53ncclDevFunc_Reduce_RING_SIMPLE_PreMulSum_f8e4m3_0_0_4v.has_indirect_call, or(0, .L_ZN12_GLOBAL__N_17runRingI11rccl_float813FuncPreMulSumIS1_E11ProtoSimpleILi1ELi1ELi0ELi4ELi0ELi0EELi0ELi4ELi0EEEviiP15ncclDevWorkColl.has_indirect_call)
	.section	.AMDGPU.csdata,"",@progbits
; Function info:
; codeLenInByte = 744
; TotalNumSgprs: 64
; NumVgprs: 128
; ScratchSize: 560
; MemoryBound: 0
	.text
	.p2alignl 6, 3214868480
	.fill 48, 4, 3214868480
	.section	.AMDGPU.gpr_maximums,"",@progbits
	.set amdgpu.max_num_vgpr, 128
	.set amdgpu.max_num_agpr, 0
	.set amdgpu.max_num_sgpr, 62
	.text
	.type	__const.__assert_fail.fmt,@object ; @__const.__assert_fail.fmt
	.section	.rodata.str1.16,"aMS",@progbits,1
	.p2align	4, 0x0
__const.__assert_fail.fmt:
	.asciz	"%s:%u: %s: Device-side assertion `%s' failed.\n"
	.size	__const.__assert_fail.fmt, 47

	.type	.str.3,@object                  ; @.str.3
	.section	.rodata.str1.1,"aMS",@progbits,1
.str.3:
	.asciz	"2*(nrecv+nsend) <= nthreads"
	.size	.str.3, 28

	.type	.str.4,@object                  ; @.str.4
.str.4:
	.asciz	"/root/src/amdgpu-assembly/repos/ROCm__rccl/hipify/src/device/prims_simple.h"
	.size	.str.4, 76

	.type	__PRETTY_FUNCTION__._ZN10PrimitivesI11rccl_float813FuncPreMulSumIS0_E12FanSymmetricILi1EELi0E11ProtoSimpleILi1ELi1ELi0ELi1ELi0ELi0EELi0ELb0ELi0ELi0ELi0EEC2EiiPKiS9_PKvPvmhhhP15ncclDevWorkCollP14ncclDevWorkP2pii,@object ; @__PRETTY_FUNCTION__._ZN10PrimitivesI11rccl_float813FuncPreMulSumIS0_E12FanSymmetricILi1EELi0E11ProtoSimpleILi1ELi1ELi0ELi1ELi0ELi0EELi0ELb0ELi0ELi0ELi0EEC2EiiPKiS9_PKvPvmhhhP15ncclDevWorkCollP14ncclDevWorkP2pii
__PRETTY_FUNCTION__._ZN10PrimitivesI11rccl_float813FuncPreMulSumIS0_E12FanSymmetricILi1EELi0E11ProtoSimpleILi1ELi1ELi0ELi1ELi0ELi0EELi0ELb0ELi0ELi0ELi0EEC2EiiPKiS9_PKvPvmhhhP15ncclDevWorkCollP14ncclDevWorkP2pii:
	.asciz	"Primitives<rccl_float8, FuncPreMulSum<rccl_float8>, FanSymmetric<1>, 0, ProtoSimple<1, 1, 0, 1>, 0>::Primitives(int, int, const int *, const int *, const void *, void *, uint64_t, uint8_t, uint8_t, uint8_t, struct ncclDevWorkColl *, struct ncclDevWorkP2p *, int, int) [T = rccl_float8, RedOp = FuncPreMulSum<rccl_float8>, Fan = FanSymmetric<1>, Direct = 0, Proto = ProtoSimple<1, 1, 0, 1>, P2p = 0, isNetOffload = false, Metadata = 0, Pipeline = 0, useAcc = 0]"
	.size	__PRETTY_FUNCTION__._ZN10PrimitivesI11rccl_float813FuncPreMulSumIS0_E12FanSymmetricILi1EELi0E11ProtoSimpleILi1ELi1ELi0ELi1ELi0ELi0EELi0ELb0ELi0ELi0ELi0EEC2EiiPKiS9_PKvPvmhhhP15ncclDevWorkCollP14ncclDevWorkP2pii, 461

	.type	__PRETTY_FUNCTION__._ZN10PrimitivesI11rccl_float813FuncPreMulSumIS0_E12FanSymmetricILi1EELi0E11ProtoSimpleILi1ELi1ELi0ELi2ELi0ELi0EELi0ELb0ELi0ELi0ELi0EEC2EiiPKiS9_PKvPvmhhhP15ncclDevWorkCollP14ncclDevWorkP2pii,@object ; @__PRETTY_FUNCTION__._ZN10PrimitivesI11rccl_float813FuncPreMulSumIS0_E12FanSymmetricILi1EELi0E11ProtoSimpleILi1ELi1ELi0ELi2ELi0ELi0EELi0ELb0ELi0ELi0ELi0EEC2EiiPKiS9_PKvPvmhhhP15ncclDevWorkCollP14ncclDevWorkP2pii
__PRETTY_FUNCTION__._ZN10PrimitivesI11rccl_float813FuncPreMulSumIS0_E12FanSymmetricILi1EELi0E11ProtoSimpleILi1ELi1ELi0ELi2ELi0ELi0EELi0ELb0ELi0ELi0ELi0EEC2EiiPKiS9_PKvPvmhhhP15ncclDevWorkCollP14ncclDevWorkP2pii:
	.asciz	"Primitives<rccl_float8, FuncPreMulSum<rccl_float8>, FanSymmetric<1>, 0, ProtoSimple<1, 1, 0, 2>, 0>::Primitives(int, int, const int *, const int *, const void *, void *, uint64_t, uint8_t, uint8_t, uint8_t, struct ncclDevWorkColl *, struct ncclDevWorkP2p *, int, int) [T = rccl_float8, RedOp = FuncPreMulSum<rccl_float8>, Fan = FanSymmetric<1>, Direct = 0, Proto = ProtoSimple<1, 1, 0, 2>, P2p = 0, isNetOffload = false, Metadata = 0, Pipeline = 0, useAcc = 0]"
	.size	__PRETTY_FUNCTION__._ZN10PrimitivesI11rccl_float813FuncPreMulSumIS0_E12FanSymmetricILi1EELi0E11ProtoSimpleILi1ELi1ELi0ELi2ELi0ELi0EELi0ELb0ELi0ELi0ELi0EEC2EiiPKiS9_PKvPvmhhhP15ncclDevWorkCollP14ncclDevWorkP2pii, 461

	.type	__PRETTY_FUNCTION__._ZN10PrimitivesI11rccl_float813FuncPreMulSumIS0_E12FanSymmetricILi1EELi0E11ProtoSimpleILi1ELi1ELi0ELi4ELi0ELi0EELi0ELb0ELi0ELi0ELi0EEC2EiiPKiS9_PKvPvmhhhP15ncclDevWorkCollP14ncclDevWorkP2pii,@object ; @__PRETTY_FUNCTION__._ZN10PrimitivesI11rccl_float813FuncPreMulSumIS0_E12FanSymmetricILi1EELi0E11ProtoSimpleILi1ELi1ELi0ELi4ELi0ELi0EELi0ELb0ELi0ELi0ELi0EEC2EiiPKiS9_PKvPvmhhhP15ncclDevWorkCollP14ncclDevWorkP2pii
__PRETTY_FUNCTION__._ZN10PrimitivesI11rccl_float813FuncPreMulSumIS0_E12FanSymmetricILi1EELi0E11ProtoSimpleILi1ELi1ELi0ELi4ELi0ELi0EELi0ELb0ELi0ELi0ELi0EEC2EiiPKiS9_PKvPvmhhhP15ncclDevWorkCollP14ncclDevWorkP2pii:
	.asciz	"Primitives<rccl_float8, FuncPreMulSum<rccl_float8>, FanSymmetric<1>, 0, ProtoSimple<1, 1, 0, 4>, 0>::Primitives(int, int, const int *, const int *, const void *, void *, uint64_t, uint8_t, uint8_t, uint8_t, struct ncclDevWorkColl *, struct ncclDevWorkP2p *, int, int) [T = rccl_float8, RedOp = FuncPreMulSum<rccl_float8>, Fan = FanSymmetric<1>, Direct = 0, Proto = ProtoSimple<1, 1, 0, 4>, P2p = 0, isNetOffload = false, Metadata = 0, Pipeline = 0, useAcc = 0]"
	.size	__PRETTY_FUNCTION__._ZN10PrimitivesI11rccl_float813FuncPreMulSumIS0_E12FanSymmetricILi1EELi0E11ProtoSimpleILi1ELi1ELi0ELi4ELi0ELi0EELi0ELb0ELi0ELi0ELi0EEC2EiiPKiS9_PKvPvmhhhP15ncclDevWorkCollP14ncclDevWorkP2pii, 461

	.type	__hip_cuid_fc91795df8b75efd,@object ; @__hip_cuid_fc91795df8b75efd
	.section	.bss,"aw",@nobits
	.globl	__hip_cuid_fc91795df8b75efd
__hip_cuid_fc91795df8b75efd:
	.byte	0                               ; 0x0
	.size	__hip_cuid_fc91795df8b75efd, 1

	.ident	"AMD clang version 22.0.0git (https://github.com/RadeonOpenCompute/llvm-project roc-7.2.4 26084 f58b06dce1f9c15707c5f808fd002e18c2accf7e)"
	.section	".note.GNU-stack","",@progbits
	.addrsig
	.addrsig_sym _Z53ncclDevFunc_Reduce_RING_SIMPLE_PreMulSum_f8e4m3_0_0_1v
	.addrsig_sym _Z53ncclDevFunc_Reduce_RING_SIMPLE_PreMulSum_f8e4m3_0_0_2v
	.addrsig_sym _Z53ncclDevFunc_Reduce_RING_SIMPLE_PreMulSum_f8e4m3_0_0_4v
	.addrsig_sym ncclShmem
	.addrsig_sym __hip_cuid_fc91795df8b75efd
	.amdgpu_metadata
---
amdhsa.kernels:  []
amdhsa.target:   amdgcn-amd-amdhsa--gfx1030
amdhsa.version:
  - 1
  - 2
...

	.end_amdgpu_metadata
